;; amdgpu-corpus repo=ROCm/rccl kind=compiled arch=gfx1100 opt=O3
	.text
	.amdgcn_target "amdgcn-amd-amdhsa--gfx1100"
	.amdhsa_code_object_version 6
	.p2align	2                               ; -- Begin function __ockl_fprintf_append_string_n
	.type	__ockl_fprintf_append_string_n,@function
__ockl_fprintf_append_string_n:         ; @__ockl_fprintf_append_string_n
; %bb.0:
	s_waitcnt vmcnt(0) expcnt(0) lgkmcnt(0)
	v_dual_mov_b32 v8, v3 :: v_dual_mov_b32 v7, v2
	v_or_b32_e32 v2, 2, v0
	v_cmp_eq_u32_e32 vcc_lo, 0, v6
	v_mbcnt_lo_u32_b32 v33, -1, 0
	s_mov_b32 s11, 0
	s_mov_b32 s0, exec_lo
	v_cndmask_b32_e32 v0, v2, v0, vcc_lo
	v_cmpx_ne_u64_e32 0, v[7:8]
	s_xor_b32 s10, exec_lo, s0
	s_cbranch_execz .LBB0_86
; %bb.1:
	s_load_b64 s[2:3], s[8:9], 0x50
	v_dual_mov_b32 v11, 2 :: v_dual_and_b32 v6, 2, v0
	v_mov_b32_e32 v10, 0
	v_and_b32_e32 v0, -3, v0
	v_mov_b32_e32 v12, 1
	s_mov_b32 s12, 0
	s_branch .LBB0_3
.LBB0_2:                                ;   in Loop: Header=BB0_3 Depth=1
	s_or_b32 exec_lo, exec_lo, s1
	v_sub_co_u32 v4, vcc_lo, v4, v29
	v_sub_co_ci_u32_e32 v5, vcc_lo, v5, v30, vcc_lo
	v_add_co_u32 v7, s0, v7, v29
	s_delay_alu instid0(VALU_DEP_1) | instskip(NEXT) | instid1(VALU_DEP_3)
	v_add_co_ci_u32_e64 v8, s0, v8, v30, s0
	v_cmp_eq_u64_e32 vcc_lo, 0, v[4:5]
	s_or_b32 s12, vcc_lo, s12
	s_delay_alu instid0(SALU_CYCLE_1)
	s_and_not1_b32 exec_lo, exec_lo, s12
	s_cbranch_execz .LBB0_85
.LBB0_3:                                ; =>This Loop Header: Depth=1
                                        ;     Child Loop BB0_6 Depth 2
                                        ;     Child Loop BB0_14 Depth 2
	;; [unrolled: 1-line block ×11, first 2 shown]
	v_cmp_gt_u64_e32 vcc_lo, 56, v[4:5]
	s_mov_b32 s1, exec_lo
                                        ; implicit-def: $vgpr2_vgpr3
                                        ; implicit-def: $sgpr4
	v_dual_cndmask_b32 v30, 0, v5 :: v_dual_cndmask_b32 v29, 56, v4
	v_cmpx_gt_u64_e32 8, v[4:5]
	s_xor_b32 s1, exec_lo, s1
	s_cbranch_execz .LBB0_9
; %bb.4:                                ;   in Loop: Header=BB0_3 Depth=1
	s_waitcnt vmcnt(0)
	v_mov_b32_e32 v2, 0
	v_mov_b32_e32 v3, 0
	s_mov_b64 s[4:5], 0
	s_mov_b32 s6, exec_lo
	v_cmpx_ne_u64_e32 0, v[4:5]
	s_cbranch_execz .LBB0_8
; %bb.5:                                ;   in Loop: Header=BB0_3 Depth=1
	v_lshlrev_b64 v[13:14], 3, v[29:30]
	v_dual_mov_b32 v2, 0 :: v_dual_mov_b32 v15, v8
	v_dual_mov_b32 v3, 0 :: v_dual_mov_b32 v14, v7
	s_mov_b32 s7, 0
	.p2align	6
.LBB0_6:                                ;   Parent Loop BB0_3 Depth=1
                                        ; =>  This Inner Loop Header: Depth=2
	flat_load_u8 v9, v[14:15]
	v_mov_b32_e32 v17, s11
	v_add_co_u32 v14, vcc_lo, v14, 1
	v_add_co_ci_u32_e32 v15, vcc_lo, 0, v15, vcc_lo
	s_waitcnt vmcnt(0) lgkmcnt(0)
	v_and_b32_e32 v16, 0xffff, v9
	s_delay_alu instid0(VALU_DEP_1) | instskip(SKIP_3) | instid1(VALU_DEP_2)
	v_lshlrev_b64 v[16:17], s4, v[16:17]
	s_add_u32 s4, s4, 8
	s_addc_u32 s5, s5, 0
	v_cmp_eq_u32_e64 s0, s4, v13
	v_or_b32_e32 v3, v17, v3
	s_delay_alu instid0(VALU_DEP_3) | instskip(NEXT) | instid1(VALU_DEP_3)
	v_or_b32_e32 v2, v16, v2
	s_or_b32 s7, s0, s7
	s_delay_alu instid0(SALU_CYCLE_1)
	s_and_not1_b32 exec_lo, exec_lo, s7
	s_cbranch_execnz .LBB0_6
; %bb.7:                                ;   in Loop: Header=BB0_3 Depth=1
	s_or_b32 exec_lo, exec_lo, s7
.LBB0_8:                                ;   in Loop: Header=BB0_3 Depth=1
	s_delay_alu instid0(SALU_CYCLE_1)
	s_or_b32 exec_lo, exec_lo, s6
	s_mov_b32 s4, 0
.LBB0_9:                                ;   in Loop: Header=BB0_3 Depth=1
	s_or_saveexec_b32 s0, s1
	v_dual_mov_b32 v9, s4 :: v_dual_mov_b32 v26, v8
	v_mov_b32_e32 v25, v7
	s_xor_b32 exec_lo, exec_lo, s0
	s_cbranch_execz .LBB0_11
; %bb.10:                               ;   in Loop: Header=BB0_3 Depth=1
	s_waitcnt vmcnt(0)
	flat_load_b64 v[2:3], v[7:8]
	v_add_co_u32 v25, vcc_lo, v7, 8
	v_add_co_ci_u32_e32 v26, vcc_lo, 0, v8, vcc_lo
	s_waitcnt vmcnt(0) lgkmcnt(0)
	v_and_b32_e32 v9, 0xff, v3
	v_and_b32_e32 v13, 0xff00, v3
	;; [unrolled: 1-line block ×4, first 2 shown]
	v_or3_b32 v2, v2, 0, 0
	s_delay_alu instid0(VALU_DEP_4) | instskip(SKIP_1) | instid1(VALU_DEP_2)
	v_or_b32_e32 v13, v9, v13
	v_add_nc_u32_e32 v9, -8, v29
	v_or3_b32 v3, v13, v14, v3
.LBB0_11:                               ;   in Loop: Header=BB0_3 Depth=1
	s_or_b32 exec_lo, exec_lo, s0
                                        ; implicit-def: $vgpr13_vgpr14
                                        ; implicit-def: $sgpr1
	s_delay_alu instid0(SALU_CYCLE_1) | instskip(NEXT) | instid1(VALU_DEP_2)
	s_mov_b32 s0, exec_lo
	v_cmpx_gt_u32_e32 8, v9
	s_xor_b32 s6, exec_lo, s0
	s_cbranch_execz .LBB0_17
; %bb.12:                               ;   in Loop: Header=BB0_3 Depth=1
	v_mov_b32_e32 v13, 0
	v_mov_b32_e32 v14, 0
	s_mov_b32 s7, exec_lo
	v_cmpx_ne_u32_e32 0, v9
	s_cbranch_execz .LBB0_16
; %bb.13:                               ;   in Loop: Header=BB0_3 Depth=1
	v_mov_b32_e32 v13, 0
	v_mov_b32_e32 v14, 0
	s_mov_b64 s[0:1], 0
	s_mov_b32 s13, 0
	s_mov_b64 s[4:5], 0
	.p2align	6
.LBB0_14:                               ;   Parent Loop BB0_3 Depth=1
                                        ; =>  This Inner Loop Header: Depth=2
	s_delay_alu instid0(SALU_CYCLE_1)
	v_add_co_u32 v15, vcc_lo, v25, s4
	v_add_co_ci_u32_e32 v16, vcc_lo, s5, v26, vcc_lo
	s_add_u32 s4, s4, 1
	s_addc_u32 s5, s5, 0
	v_cmp_eq_u32_e32 vcc_lo, s4, v9
	flat_load_u8 v15, v[15:16]
	s_waitcnt vmcnt(0) lgkmcnt(0)
	v_dual_mov_b32 v16, s11 :: v_dual_and_b32 v15, 0xffff, v15
	s_delay_alu instid0(VALU_DEP_1) | instskip(SKIP_3) | instid1(VALU_DEP_1)
	v_lshlrev_b64 v[15:16], s0, v[15:16]
	s_add_u32 s0, s0, 8
	s_addc_u32 s1, s1, 0
	s_or_b32 s13, vcc_lo, s13
	v_or_b32_e32 v14, v16, v14
	s_delay_alu instid0(VALU_DEP_2)
	v_or_b32_e32 v13, v15, v13
	s_and_not1_b32 exec_lo, exec_lo, s13
	s_cbranch_execnz .LBB0_14
; %bb.15:                               ;   in Loop: Header=BB0_3 Depth=1
	s_or_b32 exec_lo, exec_lo, s13
.LBB0_16:                               ;   in Loop: Header=BB0_3 Depth=1
	s_delay_alu instid0(SALU_CYCLE_1)
	s_or_b32 exec_lo, exec_lo, s7
	s_mov_b32 s1, 0
                                        ; implicit-def: $vgpr9
.LBB0_17:                               ;   in Loop: Header=BB0_3 Depth=1
	s_or_saveexec_b32 s0, s6
	v_mov_b32_e32 v17, s1
	s_xor_b32 exec_lo, exec_lo, s0
	s_cbranch_execz .LBB0_19
; %bb.18:                               ;   in Loop: Header=BB0_3 Depth=1
	flat_load_b64 v[13:14], v[25:26]
	v_add_co_u32 v25, vcc_lo, v25, 8
	v_add_nc_u32_e32 v17, -8, v9
	v_add_co_ci_u32_e32 v26, vcc_lo, 0, v26, vcc_lo
	s_waitcnt vmcnt(0) lgkmcnt(0)
	v_and_b32_e32 v15, 0xff, v14
	v_and_b32_e32 v16, 0xff00, v14
	;; [unrolled: 1-line block ×4, first 2 shown]
	v_or3_b32 v13, v13, 0, 0
	s_delay_alu instid0(VALU_DEP_4) | instskip(NEXT) | instid1(VALU_DEP_1)
	v_or_b32_e32 v15, v15, v16
	v_or3_b32 v14, v15, v18, v14
.LBB0_19:                               ;   in Loop: Header=BB0_3 Depth=1
	s_or_b32 exec_lo, exec_lo, s0
                                        ; implicit-def: $sgpr1
	s_delay_alu instid0(SALU_CYCLE_1)
	s_mov_b32 s0, exec_lo
	v_cmpx_gt_u32_e32 8, v17
	s_xor_b32 s6, exec_lo, s0
	s_cbranch_execz .LBB0_25
; %bb.20:                               ;   in Loop: Header=BB0_3 Depth=1
	v_mov_b32_e32 v15, 0
	v_mov_b32_e32 v16, 0
	s_mov_b32 s7, exec_lo
	v_cmpx_ne_u32_e32 0, v17
	s_cbranch_execz .LBB0_24
; %bb.21:                               ;   in Loop: Header=BB0_3 Depth=1
	v_mov_b32_e32 v15, 0
	v_mov_b32_e32 v16, 0
	s_mov_b64 s[0:1], 0
	s_mov_b32 s13, 0
	s_mov_b64 s[4:5], 0
	.p2align	6
.LBB0_22:                               ;   Parent Loop BB0_3 Depth=1
                                        ; =>  This Inner Loop Header: Depth=2
	s_delay_alu instid0(SALU_CYCLE_1)
	v_add_co_u32 v18, vcc_lo, v25, s4
	v_add_co_ci_u32_e32 v19, vcc_lo, s5, v26, vcc_lo
	s_add_u32 s4, s4, 1
	s_addc_u32 s5, s5, 0
	v_cmp_eq_u32_e32 vcc_lo, s4, v17
	flat_load_u8 v9, v[18:19]
	s_waitcnt vmcnt(0) lgkmcnt(0)
	v_dual_mov_b32 v19, s11 :: v_dual_and_b32 v18, 0xffff, v9
	s_delay_alu instid0(VALU_DEP_1) | instskip(SKIP_3) | instid1(VALU_DEP_1)
	v_lshlrev_b64 v[18:19], s0, v[18:19]
	s_add_u32 s0, s0, 8
	s_addc_u32 s1, s1, 0
	s_or_b32 s13, vcc_lo, s13
	v_or_b32_e32 v16, v19, v16
	s_delay_alu instid0(VALU_DEP_2)
	v_or_b32_e32 v15, v18, v15
	s_and_not1_b32 exec_lo, exec_lo, s13
	s_cbranch_execnz .LBB0_22
; %bb.23:                               ;   in Loop: Header=BB0_3 Depth=1
	s_or_b32 exec_lo, exec_lo, s13
.LBB0_24:                               ;   in Loop: Header=BB0_3 Depth=1
	s_delay_alu instid0(SALU_CYCLE_1)
	s_or_b32 exec_lo, exec_lo, s7
	s_mov_b32 s1, 0
                                        ; implicit-def: $vgpr17
.LBB0_25:                               ;   in Loop: Header=BB0_3 Depth=1
	s_or_saveexec_b32 s0, s6
	v_mov_b32_e32 v9, s1
	s_xor_b32 exec_lo, exec_lo, s0
	s_cbranch_execz .LBB0_27
; %bb.26:                               ;   in Loop: Header=BB0_3 Depth=1
	flat_load_b64 v[15:16], v[25:26]
	v_add_co_u32 v25, vcc_lo, v25, 8
	v_add_co_ci_u32_e32 v26, vcc_lo, 0, v26, vcc_lo
	s_waitcnt vmcnt(0) lgkmcnt(0)
	v_and_b32_e32 v9, 0xff, v16
	v_and_b32_e32 v18, 0xff00, v16
	;; [unrolled: 1-line block ×4, first 2 shown]
	v_or3_b32 v15, v15, 0, 0
	s_delay_alu instid0(VALU_DEP_4) | instskip(SKIP_1) | instid1(VALU_DEP_2)
	v_or_b32_e32 v18, v9, v18
	v_add_nc_u32_e32 v9, -8, v17
	v_or3_b32 v16, v18, v19, v16
.LBB0_27:                               ;   in Loop: Header=BB0_3 Depth=1
	s_or_b32 exec_lo, exec_lo, s0
                                        ; implicit-def: $vgpr17_vgpr18
                                        ; implicit-def: $sgpr1
	s_delay_alu instid0(SALU_CYCLE_1) | instskip(NEXT) | instid1(VALU_DEP_1)
	s_mov_b32 s0, exec_lo
	v_cmpx_gt_u32_e32 8, v9
	s_xor_b32 s6, exec_lo, s0
	s_cbranch_execz .LBB0_33
; %bb.28:                               ;   in Loop: Header=BB0_3 Depth=1
	v_mov_b32_e32 v17, 0
	v_mov_b32_e32 v18, 0
	s_mov_b32 s7, exec_lo
	v_cmpx_ne_u32_e32 0, v9
	s_cbranch_execz .LBB0_32
; %bb.29:                               ;   in Loop: Header=BB0_3 Depth=1
	v_mov_b32_e32 v17, 0
	v_mov_b32_e32 v18, 0
	s_mov_b64 s[0:1], 0
	s_mov_b32 s13, 0
	s_mov_b64 s[4:5], 0
	.p2align	6
.LBB0_30:                               ;   Parent Loop BB0_3 Depth=1
                                        ; =>  This Inner Loop Header: Depth=2
	s_delay_alu instid0(SALU_CYCLE_1)
	v_add_co_u32 v19, vcc_lo, v25, s4
	v_add_co_ci_u32_e32 v20, vcc_lo, s5, v26, vcc_lo
	s_add_u32 s4, s4, 1
	s_addc_u32 s5, s5, 0
	v_cmp_eq_u32_e32 vcc_lo, s4, v9
	flat_load_u8 v19, v[19:20]
	s_waitcnt vmcnt(0) lgkmcnt(0)
	v_dual_mov_b32 v20, s11 :: v_dual_and_b32 v19, 0xffff, v19
	s_delay_alu instid0(VALU_DEP_1) | instskip(SKIP_3) | instid1(VALU_DEP_1)
	v_lshlrev_b64 v[19:20], s0, v[19:20]
	s_add_u32 s0, s0, 8
	s_addc_u32 s1, s1, 0
	s_or_b32 s13, vcc_lo, s13
	v_or_b32_e32 v18, v20, v18
	s_delay_alu instid0(VALU_DEP_2)
	v_or_b32_e32 v17, v19, v17
	s_and_not1_b32 exec_lo, exec_lo, s13
	s_cbranch_execnz .LBB0_30
; %bb.31:                               ;   in Loop: Header=BB0_3 Depth=1
	s_or_b32 exec_lo, exec_lo, s13
.LBB0_32:                               ;   in Loop: Header=BB0_3 Depth=1
	s_delay_alu instid0(SALU_CYCLE_1)
	s_or_b32 exec_lo, exec_lo, s7
	s_mov_b32 s1, 0
                                        ; implicit-def: $vgpr9
.LBB0_33:                               ;   in Loop: Header=BB0_3 Depth=1
	s_or_saveexec_b32 s0, s6
	v_mov_b32_e32 v21, s1
	s_xor_b32 exec_lo, exec_lo, s0
	s_cbranch_execz .LBB0_35
; %bb.34:                               ;   in Loop: Header=BB0_3 Depth=1
	flat_load_b64 v[17:18], v[25:26]
	v_add_co_u32 v25, vcc_lo, v25, 8
	v_add_nc_u32_e32 v21, -8, v9
	v_add_co_ci_u32_e32 v26, vcc_lo, 0, v26, vcc_lo
	s_waitcnt vmcnt(0) lgkmcnt(0)
	v_and_b32_e32 v19, 0xff, v18
	v_and_b32_e32 v20, 0xff00, v18
	;; [unrolled: 1-line block ×4, first 2 shown]
	v_or3_b32 v17, v17, 0, 0
	s_delay_alu instid0(VALU_DEP_4) | instskip(NEXT) | instid1(VALU_DEP_1)
	v_or_b32_e32 v19, v19, v20
	v_or3_b32 v18, v19, v22, v18
.LBB0_35:                               ;   in Loop: Header=BB0_3 Depth=1
	s_or_b32 exec_lo, exec_lo, s0
                                        ; implicit-def: $sgpr1
	s_delay_alu instid0(SALU_CYCLE_1)
	s_mov_b32 s0, exec_lo
	v_cmpx_gt_u32_e32 8, v21
	s_xor_b32 s6, exec_lo, s0
	s_cbranch_execz .LBB0_41
; %bb.36:                               ;   in Loop: Header=BB0_3 Depth=1
	v_mov_b32_e32 v19, 0
	v_mov_b32_e32 v20, 0
	s_mov_b32 s7, exec_lo
	v_cmpx_ne_u32_e32 0, v21
	s_cbranch_execz .LBB0_40
; %bb.37:                               ;   in Loop: Header=BB0_3 Depth=1
	v_mov_b32_e32 v19, 0
	v_mov_b32_e32 v20, 0
	s_mov_b64 s[0:1], 0
	s_mov_b32 s13, 0
	s_mov_b64 s[4:5], 0
	.p2align	6
.LBB0_38:                               ;   Parent Loop BB0_3 Depth=1
                                        ; =>  This Inner Loop Header: Depth=2
	s_delay_alu instid0(SALU_CYCLE_1)
	v_add_co_u32 v22, vcc_lo, v25, s4
	v_add_co_ci_u32_e32 v23, vcc_lo, s5, v26, vcc_lo
	s_add_u32 s4, s4, 1
	s_addc_u32 s5, s5, 0
	v_cmp_eq_u32_e32 vcc_lo, s4, v21
	flat_load_u8 v9, v[22:23]
	s_waitcnt vmcnt(0) lgkmcnt(0)
	v_dual_mov_b32 v23, s11 :: v_dual_and_b32 v22, 0xffff, v9
	s_delay_alu instid0(VALU_DEP_1) | instskip(SKIP_3) | instid1(VALU_DEP_1)
	v_lshlrev_b64 v[22:23], s0, v[22:23]
	s_add_u32 s0, s0, 8
	s_addc_u32 s1, s1, 0
	s_or_b32 s13, vcc_lo, s13
	v_or_b32_e32 v20, v23, v20
	s_delay_alu instid0(VALU_DEP_2)
	v_or_b32_e32 v19, v22, v19
	s_and_not1_b32 exec_lo, exec_lo, s13
	s_cbranch_execnz .LBB0_38
; %bb.39:                               ;   in Loop: Header=BB0_3 Depth=1
	s_or_b32 exec_lo, exec_lo, s13
.LBB0_40:                               ;   in Loop: Header=BB0_3 Depth=1
	s_delay_alu instid0(SALU_CYCLE_1)
	s_or_b32 exec_lo, exec_lo, s7
	s_mov_b32 s1, 0
                                        ; implicit-def: $vgpr21
.LBB0_41:                               ;   in Loop: Header=BB0_3 Depth=1
	s_or_saveexec_b32 s0, s6
	v_mov_b32_e32 v9, s1
	s_xor_b32 exec_lo, exec_lo, s0
	s_cbranch_execz .LBB0_43
; %bb.42:                               ;   in Loop: Header=BB0_3 Depth=1
	flat_load_b64 v[19:20], v[25:26]
	v_add_co_u32 v25, vcc_lo, v25, 8
	v_add_co_ci_u32_e32 v26, vcc_lo, 0, v26, vcc_lo
	s_waitcnt vmcnt(0) lgkmcnt(0)
	v_and_b32_e32 v9, 0xff, v20
	v_and_b32_e32 v22, 0xff00, v20
	;; [unrolled: 1-line block ×4, first 2 shown]
	v_or3_b32 v19, v19, 0, 0
	s_delay_alu instid0(VALU_DEP_4) | instskip(SKIP_1) | instid1(VALU_DEP_2)
	v_or_b32_e32 v22, v9, v22
	v_add_nc_u32_e32 v9, -8, v21
	v_or3_b32 v20, v22, v23, v20
.LBB0_43:                               ;   in Loop: Header=BB0_3 Depth=1
	s_or_b32 exec_lo, exec_lo, s0
                                        ; implicit-def: $vgpr21_vgpr22
                                        ; implicit-def: $sgpr1
	s_delay_alu instid0(SALU_CYCLE_1) | instskip(NEXT) | instid1(VALU_DEP_1)
	s_mov_b32 s0, exec_lo
	v_cmpx_gt_u32_e32 8, v9
	s_xor_b32 s6, exec_lo, s0
	s_cbranch_execz .LBB0_49
; %bb.44:                               ;   in Loop: Header=BB0_3 Depth=1
	v_mov_b32_e32 v21, 0
	v_mov_b32_e32 v22, 0
	s_mov_b32 s7, exec_lo
	v_cmpx_ne_u32_e32 0, v9
	s_cbranch_execz .LBB0_48
; %bb.45:                               ;   in Loop: Header=BB0_3 Depth=1
	v_mov_b32_e32 v21, 0
	v_mov_b32_e32 v22, 0
	s_mov_b64 s[0:1], 0
	s_mov_b32 s13, 0
	s_mov_b64 s[4:5], 0
	.p2align	6
.LBB0_46:                               ;   Parent Loop BB0_3 Depth=1
                                        ; =>  This Inner Loop Header: Depth=2
	s_delay_alu instid0(SALU_CYCLE_1)
	v_add_co_u32 v23, vcc_lo, v25, s4
	v_add_co_ci_u32_e32 v24, vcc_lo, s5, v26, vcc_lo
	s_add_u32 s4, s4, 1
	s_addc_u32 s5, s5, 0
	v_cmp_eq_u32_e32 vcc_lo, s4, v9
	flat_load_u8 v23, v[23:24]
	s_waitcnt vmcnt(0) lgkmcnt(0)
	v_dual_mov_b32 v24, s11 :: v_dual_and_b32 v23, 0xffff, v23
	s_delay_alu instid0(VALU_DEP_1) | instskip(SKIP_3) | instid1(VALU_DEP_1)
	v_lshlrev_b64 v[23:24], s0, v[23:24]
	s_add_u32 s0, s0, 8
	s_addc_u32 s1, s1, 0
	s_or_b32 s13, vcc_lo, s13
	v_or_b32_e32 v22, v24, v22
	s_delay_alu instid0(VALU_DEP_2)
	v_or_b32_e32 v21, v23, v21
	s_and_not1_b32 exec_lo, exec_lo, s13
	s_cbranch_execnz .LBB0_46
; %bb.47:                               ;   in Loop: Header=BB0_3 Depth=1
	s_or_b32 exec_lo, exec_lo, s13
.LBB0_48:                               ;   in Loop: Header=BB0_3 Depth=1
	s_delay_alu instid0(SALU_CYCLE_1)
	s_or_b32 exec_lo, exec_lo, s7
	s_mov_b32 s1, 0
                                        ; implicit-def: $vgpr9
.LBB0_49:                               ;   in Loop: Header=BB0_3 Depth=1
	s_or_saveexec_b32 s0, s6
	v_mov_b32_e32 v27, s1
	s_xor_b32 exec_lo, exec_lo, s0
	s_cbranch_execz .LBB0_51
; %bb.50:                               ;   in Loop: Header=BB0_3 Depth=1
	flat_load_b64 v[21:22], v[25:26]
	v_add_co_u32 v25, vcc_lo, v25, 8
	v_add_nc_u32_e32 v27, -8, v9
	v_add_co_ci_u32_e32 v26, vcc_lo, 0, v26, vcc_lo
	s_waitcnt vmcnt(0) lgkmcnt(0)
	v_and_b32_e32 v23, 0xff, v22
	v_and_b32_e32 v24, 0xff00, v22
	;; [unrolled: 1-line block ×4, first 2 shown]
	v_or3_b32 v21, v21, 0, 0
	s_delay_alu instid0(VALU_DEP_4) | instskip(NEXT) | instid1(VALU_DEP_1)
	v_or_b32_e32 v23, v23, v24
	v_or3_b32 v22, v23, v28, v22
.LBB0_51:                               ;   in Loop: Header=BB0_3 Depth=1
	s_or_b32 exec_lo, exec_lo, s0
	s_delay_alu instid0(SALU_CYCLE_1)
	s_mov_b32 s0, exec_lo
	v_cmpx_gt_u32_e32 8, v27
	s_xor_b32 s4, exec_lo, s0
	s_cbranch_execz .LBB0_57
; %bb.52:                               ;   in Loop: Header=BB0_3 Depth=1
	v_mov_b32_e32 v23, 0
	v_mov_b32_e32 v24, 0
	s_mov_b32 s5, exec_lo
	v_cmpx_ne_u32_e32 0, v27
	s_cbranch_execz .LBB0_56
; %bb.53:                               ;   in Loop: Header=BB0_3 Depth=1
	v_mov_b32_e32 v23, 0
	v_mov_b32_e32 v24, 0
	s_mov_b64 s[0:1], 0
	s_mov_b32 s6, 0
	.p2align	6
.LBB0_54:                               ;   Parent Loop BB0_3 Depth=1
                                        ; =>  This Inner Loop Header: Depth=2
	flat_load_u8 v9, v[25:26]
	v_dual_mov_b32 v32, s11 :: v_dual_add_nc_u32 v27, -1, v27
	v_add_co_u32 v25, vcc_lo, v25, 1
	v_add_co_ci_u32_e32 v26, vcc_lo, 0, v26, vcc_lo
	s_delay_alu instid0(VALU_DEP_3) | instskip(SKIP_2) | instid1(VALU_DEP_1)
	v_cmp_eq_u32_e32 vcc_lo, 0, v27
	s_waitcnt vmcnt(0) lgkmcnt(0)
	v_and_b32_e32 v31, 0xffff, v9
	v_lshlrev_b64 v[31:32], s0, v[31:32]
	s_add_u32 s0, s0, 8
	s_addc_u32 s1, s1, 0
	s_or_b32 s6, vcc_lo, s6
	s_delay_alu instid0(VALU_DEP_1) | instskip(NEXT) | instid1(VALU_DEP_2)
	v_or_b32_e32 v24, v32, v24
	v_or_b32_e32 v23, v31, v23
	s_and_not1_b32 exec_lo, exec_lo, s6
	s_cbranch_execnz .LBB0_54
; %bb.55:                               ;   in Loop: Header=BB0_3 Depth=1
	s_or_b32 exec_lo, exec_lo, s6
.LBB0_56:                               ;   in Loop: Header=BB0_3 Depth=1
	s_delay_alu instid0(SALU_CYCLE_1)
	s_or_b32 exec_lo, exec_lo, s5
                                        ; implicit-def: $vgpr25_vgpr26
.LBB0_57:                               ;   in Loop: Header=BB0_3 Depth=1
	s_and_not1_saveexec_b32 s0, s4
	s_cbranch_execz .LBB0_59
; %bb.58:                               ;   in Loop: Header=BB0_3 Depth=1
	flat_load_b64 v[23:24], v[25:26]
	s_waitcnt vmcnt(0) lgkmcnt(0)
	v_and_b32_e32 v9, 0xff, v24
	v_and_b32_e32 v25, 0xff00, v24
	;; [unrolled: 1-line block ×4, first 2 shown]
	v_or3_b32 v23, v23, 0, 0
	s_delay_alu instid0(VALU_DEP_4) | instskip(NEXT) | instid1(VALU_DEP_1)
	v_or_b32_e32 v9, v9, v25
	v_or3_b32 v24, v9, v26, v24
.LBB0_59:                               ;   in Loop: Header=BB0_3 Depth=1
	s_or_b32 exec_lo, exec_lo, s0
	v_readfirstlane_b32 s0, v33
	v_mov_b32_e32 v31, 0
	v_mov_b32_e32 v32, 0
	s_delay_alu instid0(VALU_DEP_3) | instskip(NEXT) | instid1(VALU_DEP_1)
	v_cmp_eq_u32_e64 s0, s0, v33
	s_and_saveexec_b32 s1, s0
	s_cbranch_execz .LBB0_65
; %bb.60:                               ;   in Loop: Header=BB0_3 Depth=1
	s_waitcnt lgkmcnt(0)
	global_load_b64 v[27:28], v10, s[2:3] offset:24 glc
	s_waitcnt vmcnt(0)
	buffer_gl1_inv
	buffer_gl0_inv
	s_clause 0x1
	global_load_b64 v[25:26], v10, s[2:3] offset:40
	global_load_b64 v[31:32], v10, s[2:3]
	s_mov_b32 s4, exec_lo
	s_waitcnt vmcnt(1)
	v_and_b32_e32 v9, v26, v28
	v_and_b32_e32 v25, v25, v27
	s_delay_alu instid0(VALU_DEP_2) | instskip(NEXT) | instid1(VALU_DEP_2)
	v_mul_lo_u32 v9, v9, 24
	v_mul_hi_u32 v26, v25, 24
	v_mul_lo_u32 v25, v25, 24
	s_delay_alu instid0(VALU_DEP_2) | instskip(SKIP_1) | instid1(VALU_DEP_2)
	v_add_nc_u32_e32 v9, v26, v9
	s_waitcnt vmcnt(0)
	v_add_co_u32 v25, vcc_lo, v31, v25
	s_delay_alu instid0(VALU_DEP_2)
	v_add_co_ci_u32_e32 v26, vcc_lo, v32, v9, vcc_lo
	global_load_b64 v[25:26], v[25:26], off glc
	s_waitcnt vmcnt(0)
	global_atomic_cmpswap_b64 v[31:32], v10, v[25:28], s[2:3] offset:24 glc
	s_waitcnt vmcnt(0)
	buffer_gl1_inv
	buffer_gl0_inv
	v_cmpx_ne_u64_e64 v[31:32], v[27:28]
	s_cbranch_execz .LBB0_64
; %bb.61:                               ;   in Loop: Header=BB0_3 Depth=1
	s_mov_b32 s5, 0
	.p2align	6
.LBB0_62:                               ;   Parent Loop BB0_3 Depth=1
                                        ; =>  This Inner Loop Header: Depth=2
	s_sleep 1
	s_clause 0x1
	global_load_b64 v[25:26], v10, s[2:3] offset:40
	global_load_b64 v[34:35], v10, s[2:3]
	v_dual_mov_b32 v27, v31 :: v_dual_mov_b32 v28, v32
	s_waitcnt vmcnt(1)
	s_delay_alu instid0(VALU_DEP_1) | instskip(SKIP_1) | instid1(VALU_DEP_1)
	v_and_b32_e32 v9, v25, v27
	s_waitcnt vmcnt(0)
	v_mad_u64_u32 v[31:32], null, v9, 24, v[34:35]
	s_delay_alu instid0(VALU_DEP_1) | instskip(NEXT) | instid1(VALU_DEP_1)
	v_dual_mov_b32 v9, v32 :: v_dual_and_b32 v34, v26, v28
	v_mad_u64_u32 v[25:26], null, v34, 24, v[9:10]
	s_delay_alu instid0(VALU_DEP_1)
	v_mov_b32_e32 v32, v25
	global_load_b64 v[25:26], v[31:32], off glc
	s_waitcnt vmcnt(0)
	global_atomic_cmpswap_b64 v[31:32], v10, v[25:28], s[2:3] offset:24 glc
	s_waitcnt vmcnt(0)
	buffer_gl1_inv
	buffer_gl0_inv
	v_cmp_eq_u64_e32 vcc_lo, v[31:32], v[27:28]
	s_or_b32 s5, vcc_lo, s5
	s_delay_alu instid0(SALU_CYCLE_1)
	s_and_not1_b32 exec_lo, exec_lo, s5
	s_cbranch_execnz .LBB0_62
; %bb.63:                               ;   in Loop: Header=BB0_3 Depth=1
	s_or_b32 exec_lo, exec_lo, s5
.LBB0_64:                               ;   in Loop: Header=BB0_3 Depth=1
	s_delay_alu instid0(SALU_CYCLE_1)
	s_or_b32 exec_lo, exec_lo, s4
.LBB0_65:                               ;   in Loop: Header=BB0_3 Depth=1
	s_delay_alu instid0(SALU_CYCLE_1)
	s_or_b32 exec_lo, exec_lo, s1
	s_waitcnt lgkmcnt(0)
	s_clause 0x1
	global_load_b64 v[34:35], v10, s[2:3] offset:40
	global_load_b128 v[25:28], v10, s[2:3]
	v_readfirstlane_b32 s4, v31
	v_readfirstlane_b32 s5, v32
	s_mov_b32 s1, exec_lo
	s_waitcnt vmcnt(1)
	v_readfirstlane_b32 s6, v34
	v_readfirstlane_b32 s7, v35
	s_delay_alu instid0(VALU_DEP_1) | instskip(NEXT) | instid1(SALU_CYCLE_1)
	s_and_b64 s[6:7], s[4:5], s[6:7]
	s_mul_i32 s13, s7, 24
	s_mul_hi_u32 s14, s6, 24
	s_mul_i32 s15, s6, 24
	s_add_i32 s14, s14, s13
	s_waitcnt vmcnt(0)
	v_add_co_u32 v31, vcc_lo, v25, s15
	v_add_co_ci_u32_e32 v32, vcc_lo, s14, v26, vcc_lo
	s_and_saveexec_b32 s13, s0
	s_cbranch_execz .LBB0_67
; %bb.66:                               ;   in Loop: Header=BB0_3 Depth=1
	v_mov_b32_e32 v9, s1
	global_store_b128 v[31:32], v[9:12], off offset:8
.LBB0_67:                               ;   in Loop: Header=BB0_3 Depth=1
	s_or_b32 exec_lo, exec_lo, s13
	v_cmp_lt_u64_e32 vcc_lo, 56, v[4:5]
	v_or_b32_e32 v9, 0, v1
	v_or_b32_e32 v34, v0, v6
	v_lshl_add_u32 v35, v29, 2, 28
	s_lshl_b64 s[6:7], s[6:7], 12
	s_delay_alu instid0(SALU_CYCLE_1) | instskip(NEXT) | instid1(VALU_DEP_1)
	v_add_co_u32 v27, s1, v27, s6
	v_add_co_ci_u32_e64 v28, s1, s7, v28, s1
	v_dual_cndmask_b32 v1, v9, v1 :: v_dual_cndmask_b32 v0, v34, v0
	v_and_b32_e32 v9, 0x1e0, v35
	v_lshlrev_b32_e32 v34, 6, v33
	v_readfirstlane_b32 s6, v27
	v_readfirstlane_b32 s7, v28
	s_delay_alu instid0(VALU_DEP_4)
	v_and_or_b32 v0, 0xffffff1f, v0, v9
	s_clause 0x3
	global_store_b128 v34, v[0:3], s[6:7]
	global_store_b128 v34, v[13:16], s[6:7] offset:16
	global_store_b128 v34, v[17:20], s[6:7] offset:32
	;; [unrolled: 1-line block ×3, first 2 shown]
	s_and_saveexec_b32 s1, s0
	s_cbranch_execz .LBB0_75
; %bb.68:                               ;   in Loop: Header=BB0_3 Depth=1
	s_clause 0x1
	global_load_b64 v[17:18], v10, s[2:3] offset:32 glc
	global_load_b64 v[0:1], v10, s[2:3] offset:40
	v_dual_mov_b32 v15, s4 :: v_dual_mov_b32 v16, s5
	s_waitcnt vmcnt(0)
	v_readfirstlane_b32 s6, v0
	v_readfirstlane_b32 s7, v1
	s_delay_alu instid0(VALU_DEP_1) | instskip(NEXT) | instid1(SALU_CYCLE_1)
	s_and_b64 s[6:7], s[6:7], s[4:5]
	s_mul_i32 s7, s7, 24
	s_mul_hi_u32 s13, s6, 24
	s_mul_i32 s6, s6, 24
	s_add_i32 s13, s13, s7
	v_add_co_u32 v13, vcc_lo, v25, s6
	v_add_co_ci_u32_e32 v14, vcc_lo, s13, v26, vcc_lo
	s_mov_b32 s6, exec_lo
	global_store_b64 v[13:14], v[17:18], off
	s_waitcnt_vscnt null, 0x0
	global_atomic_cmpswap_b64 v[2:3], v10, v[15:18], s[2:3] offset:32 glc
	s_waitcnt vmcnt(0)
	v_cmpx_ne_u64_e64 v[2:3], v[17:18]
	s_cbranch_execz .LBB0_71
; %bb.69:                               ;   in Loop: Header=BB0_3 Depth=1
	s_mov_b32 s7, 0
.LBB0_70:                               ;   Parent Loop BB0_3 Depth=1
                                        ; =>  This Inner Loop Header: Depth=2
	v_dual_mov_b32 v0, s4 :: v_dual_mov_b32 v1, s5
	s_sleep 1
	global_store_b64 v[13:14], v[2:3], off
	s_waitcnt_vscnt null, 0x0
	global_atomic_cmpswap_b64 v[0:1], v10, v[0:3], s[2:3] offset:32 glc
	s_waitcnt vmcnt(0)
	v_cmp_eq_u64_e32 vcc_lo, v[0:1], v[2:3]
	v_dual_mov_b32 v3, v1 :: v_dual_mov_b32 v2, v0
	s_or_b32 s7, vcc_lo, s7
	s_delay_alu instid0(SALU_CYCLE_1)
	s_and_not1_b32 exec_lo, exec_lo, s7
	s_cbranch_execnz .LBB0_70
.LBB0_71:                               ;   in Loop: Header=BB0_3 Depth=1
	s_or_b32 exec_lo, exec_lo, s6
	global_load_b64 v[0:1], v10, s[2:3] offset:16
	s_mov_b32 s7, exec_lo
	s_mov_b32 s6, exec_lo
	v_mbcnt_lo_u32_b32 v2, s7, 0
	s_delay_alu instid0(VALU_DEP_1)
	v_cmpx_eq_u32_e32 0, v2
	s_cbranch_execz .LBB0_73
; %bb.72:                               ;   in Loop: Header=BB0_3 Depth=1
	s_bcnt1_i32_b32 s7, s7
	s_delay_alu instid0(SALU_CYCLE_1)
	v_mov_b32_e32 v9, s7
	s_waitcnt vmcnt(0)
	global_atomic_add_u64 v[0:1], v[9:10], off offset:8
.LBB0_73:                               ;   in Loop: Header=BB0_3 Depth=1
	s_or_b32 exec_lo, exec_lo, s6
	s_waitcnt vmcnt(0)
	global_load_b64 v[2:3], v[0:1], off offset:16
	s_waitcnt vmcnt(0)
	v_cmp_eq_u64_e32 vcc_lo, 0, v[2:3]
	s_cbranch_vccnz .LBB0_75
; %bb.74:                               ;   in Loop: Header=BB0_3 Depth=1
	global_load_b32 v9, v[0:1], off offset:24
	s_waitcnt vmcnt(0)
	v_and_b32_e32 v0, 0xffffff, v9
	s_waitcnt_vscnt null, 0x0
	global_store_b64 v[2:3], v[9:10], off
	v_readfirstlane_b32 m0, v0
	s_sendmsg sendmsg(MSG_INTERRUPT)
.LBB0_75:                               ;   in Loop: Header=BB0_3 Depth=1
	s_or_b32 exec_lo, exec_lo, s1
	v_add_co_u32 v0, vcc_lo, v27, v34
	v_add_co_ci_u32_e32 v1, vcc_lo, 0, v28, vcc_lo
	s_branch .LBB0_79
	.p2align	6
.LBB0_76:                               ;   in Loop: Header=BB0_79 Depth=2
	s_or_b32 exec_lo, exec_lo, s1
	s_delay_alu instid0(VALU_DEP_1) | instskip(NEXT) | instid1(VALU_DEP_1)
	v_readfirstlane_b32 s1, v2
	s_cmp_eq_u32 s1, 0
	s_cbranch_scc1 .LBB0_78
; %bb.77:                               ;   in Loop: Header=BB0_79 Depth=2
	s_sleep 1
	s_cbranch_execnz .LBB0_79
	s_branch .LBB0_81
	.p2align	6
.LBB0_78:                               ;   in Loop: Header=BB0_3 Depth=1
	s_branch .LBB0_81
.LBB0_79:                               ;   Parent Loop BB0_3 Depth=1
                                        ; =>  This Inner Loop Header: Depth=2
	v_mov_b32_e32 v2, 1
	s_and_saveexec_b32 s1, s0
	s_cbranch_execz .LBB0_76
; %bb.80:                               ;   in Loop: Header=BB0_79 Depth=2
	global_load_b32 v2, v[31:32], off offset:20 glc
	s_waitcnt vmcnt(0)
	buffer_gl1_inv
	buffer_gl0_inv
	v_and_b32_e32 v2, 1, v2
	s_branch .LBB0_76
.LBB0_81:                               ;   in Loop: Header=BB0_3 Depth=1
	global_load_b128 v[0:3], v[0:1], off
	s_and_saveexec_b32 s1, s0
	s_cbranch_execz .LBB0_2
; %bb.82:                               ;   in Loop: Header=BB0_3 Depth=1
	s_clause 0x2
	global_load_b64 v[2:3], v10, s[2:3] offset:40
	global_load_b64 v[17:18], v10, s[2:3] offset:24 glc
	global_load_b64 v[15:16], v10, s[2:3]
	s_waitcnt vmcnt(2)
	v_add_co_u32 v9, vcc_lo, v2, 1
	v_add_co_ci_u32_e32 v19, vcc_lo, 0, v3, vcc_lo
	s_delay_alu instid0(VALU_DEP_2) | instskip(NEXT) | instid1(VALU_DEP_2)
	v_add_co_u32 v13, vcc_lo, v9, s4
	v_add_co_ci_u32_e32 v14, vcc_lo, s5, v19, vcc_lo
	s_delay_alu instid0(VALU_DEP_1) | instskip(SKIP_1) | instid1(VALU_DEP_1)
	v_cmp_eq_u64_e32 vcc_lo, 0, v[13:14]
	v_dual_cndmask_b32 v14, v14, v19 :: v_dual_cndmask_b32 v13, v13, v9
	v_and_b32_e32 v3, v14, v3
	s_delay_alu instid0(VALU_DEP_2) | instskip(NEXT) | instid1(VALU_DEP_2)
	v_and_b32_e32 v2, v13, v2
	v_mul_lo_u32 v3, v3, 24
	s_delay_alu instid0(VALU_DEP_2) | instskip(SKIP_1) | instid1(VALU_DEP_2)
	v_mul_hi_u32 v9, v2, 24
	v_mul_lo_u32 v2, v2, 24
	v_add_nc_u32_e32 v3, v9, v3
	s_waitcnt vmcnt(0)
	s_delay_alu instid0(VALU_DEP_2) | instskip(SKIP_1) | instid1(VALU_DEP_3)
	v_add_co_u32 v2, vcc_lo, v15, v2
	v_mov_b32_e32 v15, v17
	v_add_co_ci_u32_e32 v3, vcc_lo, v16, v3, vcc_lo
	v_mov_b32_e32 v16, v18
	global_store_b64 v[2:3], v[17:18], off
	s_waitcnt_vscnt null, 0x0
	global_atomic_cmpswap_b64 v[15:16], v10, v[13:16], s[2:3] offset:24 glc
	s_waitcnt vmcnt(0)
	v_cmp_ne_u64_e32 vcc_lo, v[15:16], v[17:18]
	s_and_b32 exec_lo, exec_lo, vcc_lo
	s_cbranch_execz .LBB0_2
; %bb.83:                               ;   in Loop: Header=BB0_3 Depth=1
	s_mov_b32 s0, 0
.LBB0_84:                               ;   Parent Loop BB0_3 Depth=1
                                        ; =>  This Inner Loop Header: Depth=2
	s_sleep 1
	global_store_b64 v[2:3], v[15:16], off
	s_waitcnt_vscnt null, 0x0
	global_atomic_cmpswap_b64 v[17:18], v10, v[13:16], s[2:3] offset:24 glc
	s_waitcnt vmcnt(0)
	v_cmp_eq_u64_e32 vcc_lo, v[17:18], v[15:16]
	v_dual_mov_b32 v15, v17 :: v_dual_mov_b32 v16, v18
	s_or_b32 s0, vcc_lo, s0
	s_delay_alu instid0(SALU_CYCLE_1)
	s_and_not1_b32 exec_lo, exec_lo, s0
	s_cbranch_execnz .LBB0_84
	s_branch .LBB0_2
.LBB0_85:
	s_or_b32 exec_lo, exec_lo, s12
                                        ; implicit-def: $vgpr0
                                        ; implicit-def: $vgpr33
                                        ; implicit-def: $vgpr1
.LBB0_86:
	s_and_not1_saveexec_b32 s1, s10
	s_cbranch_execz .LBB0_108
; %bb.87:
	s_load_b64 s[2:3], s[8:9], 0x50
	v_readfirstlane_b32 s0, v33
	v_mov_b32_e32 v8, 0
	v_mov_b32_e32 v9, 0
	s_delay_alu instid0(VALU_DEP_3) | instskip(NEXT) | instid1(VALU_DEP_1)
	v_cmp_eq_u32_e64 s0, s0, v33
	s_and_saveexec_b32 s4, s0
	s_cbranch_execz .LBB0_93
; %bb.88:
	s_waitcnt vmcnt(0)
	v_mov_b32_e32 v2, 0
	s_mov_b32 s5, exec_lo
	s_waitcnt lgkmcnt(0)
	global_load_b64 v[5:6], v2, s[2:3] offset:24 glc
	s_waitcnt vmcnt(0)
	buffer_gl1_inv
	buffer_gl0_inv
	s_clause 0x1
	global_load_b64 v[3:4], v2, s[2:3] offset:40
	global_load_b64 v[7:8], v2, s[2:3]
	s_waitcnt vmcnt(1)
	v_and_b32_e32 v3, v3, v5
	v_and_b32_e32 v4, v4, v6
	s_delay_alu instid0(VALU_DEP_2) | instskip(NEXT) | instid1(VALU_DEP_2)
	v_mul_hi_u32 v9, v3, 24
	v_mul_lo_u32 v4, v4, 24
	v_mul_lo_u32 v3, v3, 24
	s_delay_alu instid0(VALU_DEP_2) | instskip(SKIP_1) | instid1(VALU_DEP_2)
	v_add_nc_u32_e32 v4, v9, v4
	s_waitcnt vmcnt(0)
	v_add_co_u32 v3, vcc_lo, v7, v3
	s_delay_alu instid0(VALU_DEP_2)
	v_add_co_ci_u32_e32 v4, vcc_lo, v8, v4, vcc_lo
	global_load_b64 v[3:4], v[3:4], off glc
	s_waitcnt vmcnt(0)
	global_atomic_cmpswap_b64 v[8:9], v2, v[3:6], s[2:3] offset:24 glc
	s_waitcnt vmcnt(0)
	buffer_gl1_inv
	buffer_gl0_inv
	v_cmpx_ne_u64_e64 v[8:9], v[5:6]
	s_cbranch_execz .LBB0_92
; %bb.89:
	s_mov_b32 s6, 0
	.p2align	6
.LBB0_90:                               ; =>This Inner Loop Header: Depth=1
	s_sleep 1
	s_clause 0x1
	global_load_b64 v[3:4], v2, s[2:3] offset:40
	global_load_b64 v[10:11], v2, s[2:3]
	v_dual_mov_b32 v5, v8 :: v_dual_mov_b32 v6, v9
	s_waitcnt vmcnt(1)
	s_delay_alu instid0(VALU_DEP_1) | instskip(NEXT) | instid1(VALU_DEP_2)
	v_and_b32_e32 v3, v3, v5
	v_and_b32_e32 v4, v4, v6
	s_waitcnt vmcnt(0)
	s_delay_alu instid0(VALU_DEP_2) | instskip(NEXT) | instid1(VALU_DEP_1)
	v_mad_u64_u32 v[7:8], null, v3, 24, v[10:11]
	v_mov_b32_e32 v3, v8
	s_delay_alu instid0(VALU_DEP_1)
	v_mad_u64_u32 v[8:9], null, v4, 24, v[3:4]
	global_load_b64 v[3:4], v[7:8], off glc
	s_waitcnt vmcnt(0)
	global_atomic_cmpswap_b64 v[8:9], v2, v[3:6], s[2:3] offset:24 glc
	s_waitcnt vmcnt(0)
	buffer_gl1_inv
	buffer_gl0_inv
	v_cmp_eq_u64_e32 vcc_lo, v[8:9], v[5:6]
	s_or_b32 s6, vcc_lo, s6
	s_delay_alu instid0(SALU_CYCLE_1)
	s_and_not1_b32 exec_lo, exec_lo, s6
	s_cbranch_execnz .LBB0_90
; %bb.91:
	s_or_b32 exec_lo, exec_lo, s6
.LBB0_92:
	s_delay_alu instid0(SALU_CYCLE_1)
	s_or_b32 exec_lo, exec_lo, s5
.LBB0_93:
	s_delay_alu instid0(SALU_CYCLE_1)
	s_or_b32 exec_lo, exec_lo, s4
	s_waitcnt vmcnt(0)
	v_mov_b32_e32 v2, 0
	v_readfirstlane_b32 s4, v8
	v_readfirstlane_b32 s5, v9
	s_mov_b32 s8, exec_lo
	s_waitcnt lgkmcnt(0)
	s_clause 0x1
	global_load_b64 v[10:11], v2, s[2:3] offset:40
	global_load_b128 v[4:7], v2, s[2:3]
	s_waitcnt vmcnt(1)
	v_readfirstlane_b32 s6, v10
	v_readfirstlane_b32 s7, v11
	s_delay_alu instid0(VALU_DEP_1) | instskip(NEXT) | instid1(SALU_CYCLE_1)
	s_and_b64 s[6:7], s[4:5], s[6:7]
	s_mul_i32 s9, s7, 24
	s_mul_hi_u32 s10, s6, 24
	s_mul_i32 s11, s6, 24
	s_add_i32 s10, s10, s9
	s_waitcnt vmcnt(0)
	v_add_co_u32 v8, vcc_lo, v4, s11
	v_add_co_ci_u32_e32 v9, vcc_lo, s10, v5, vcc_lo
	s_and_saveexec_b32 s9, s0
	s_cbranch_execz .LBB0_95
; %bb.94:
	v_dual_mov_b32 v10, s8 :: v_dual_mov_b32 v11, v2
	v_dual_mov_b32 v12, 2 :: v_dual_mov_b32 v13, 1
	global_store_b128 v[8:9], v[10:13], off offset:8
.LBB0_95:
	s_or_b32 exec_lo, exec_lo, s9
	s_lshl_b64 s[6:7], s[6:7], 12
	s_mov_b32 s8, 0
	v_add_co_u32 v6, vcc_lo, v6, s6
	v_add_co_ci_u32_e32 v7, vcc_lo, s7, v7, vcc_lo
	s_mov_b32 s11, s8
	s_mov_b32 s9, s8
	;; [unrolled: 1-line block ×3, first 2 shown]
	v_and_or_b32 v0, 0xffffff1f, v0, 32
	v_dual_mov_b32 v3, v2 :: v_dual_lshlrev_b32 v14, 6, v33
	v_readfirstlane_b32 s6, v6
	v_readfirstlane_b32 s7, v7
	v_dual_mov_b32 v13, s11 :: v_dual_mov_b32 v12, s10
	v_dual_mov_b32 v11, s9 :: v_dual_mov_b32 v10, s8
	s_clause 0x3
	global_store_b128 v14, v[0:3], s[6:7]
	global_store_b128 v14, v[10:13], s[6:7] offset:16
	global_store_b128 v14, v[10:13], s[6:7] offset:32
	;; [unrolled: 1-line block ×3, first 2 shown]
	s_and_saveexec_b32 s6, s0
	s_cbranch_execz .LBB0_102
; %bb.96:
	v_mov_b32_e32 v6, 0
	s_mov_b32 s7, exec_lo
	s_clause 0x1
	global_load_b64 v[12:13], v6, s[2:3] offset:32 glc
	global_load_b64 v[0:1], v6, s[2:3] offset:40
	v_dual_mov_b32 v11, s5 :: v_dual_mov_b32 v10, s4
	s_waitcnt vmcnt(0)
	v_and_b32_e32 v1, s5, v1
	v_and_b32_e32 v0, s4, v0
	s_delay_alu instid0(VALU_DEP_2) | instskip(NEXT) | instid1(VALU_DEP_2)
	v_mul_lo_u32 v1, v1, 24
	v_mul_hi_u32 v2, v0, 24
	v_mul_lo_u32 v0, v0, 24
	s_delay_alu instid0(VALU_DEP_2) | instskip(NEXT) | instid1(VALU_DEP_2)
	v_add_nc_u32_e32 v1, v2, v1
	v_add_co_u32 v4, vcc_lo, v4, v0
	s_delay_alu instid0(VALU_DEP_2)
	v_add_co_ci_u32_e32 v5, vcc_lo, v5, v1, vcc_lo
	global_store_b64 v[4:5], v[12:13], off
	s_waitcnt_vscnt null, 0x0
	global_atomic_cmpswap_b64 v[2:3], v6, v[10:13], s[2:3] offset:32 glc
	s_waitcnt vmcnt(0)
	v_cmpx_ne_u64_e64 v[2:3], v[12:13]
	s_cbranch_execz .LBB0_98
.LBB0_97:                               ; =>This Inner Loop Header: Depth=1
	v_dual_mov_b32 v0, s4 :: v_dual_mov_b32 v1, s5
	s_sleep 1
	global_store_b64 v[4:5], v[2:3], off
	s_waitcnt_vscnt null, 0x0
	global_atomic_cmpswap_b64 v[0:1], v6, v[0:3], s[2:3] offset:32 glc
	s_waitcnt vmcnt(0)
	v_cmp_eq_u64_e32 vcc_lo, v[0:1], v[2:3]
	v_dual_mov_b32 v3, v1 :: v_dual_mov_b32 v2, v0
	s_or_b32 s8, vcc_lo, s8
	s_delay_alu instid0(SALU_CYCLE_1)
	s_and_not1_b32 exec_lo, exec_lo, s8
	s_cbranch_execnz .LBB0_97
.LBB0_98:
	s_or_b32 exec_lo, exec_lo, s7
	v_mov_b32_e32 v3, 0
	s_mov_b32 s8, exec_lo
	s_mov_b32 s7, exec_lo
	v_mbcnt_lo_u32_b32 v2, s8, 0
	global_load_b64 v[0:1], v3, s[2:3] offset:16
	v_cmpx_eq_u32_e32 0, v2
	s_cbranch_execz .LBB0_100
; %bb.99:
	s_bcnt1_i32_b32 s8, s8
	s_delay_alu instid0(SALU_CYCLE_1)
	v_mov_b32_e32 v2, s8
	s_waitcnt vmcnt(0)
	global_atomic_add_u64 v[0:1], v[2:3], off offset:8
.LBB0_100:
	s_or_b32 exec_lo, exec_lo, s7
	s_waitcnt vmcnt(0)
	global_load_b64 v[2:3], v[0:1], off offset:16
	s_waitcnt vmcnt(0)
	v_cmp_eq_u64_e32 vcc_lo, 0, v[2:3]
	s_cbranch_vccnz .LBB0_102
; %bb.101:
	global_load_b32 v0, v[0:1], off offset:24
	s_waitcnt vmcnt(0)
	v_dual_mov_b32 v1, 0 :: v_dual_and_b32 v4, 0xffffff, v0
	s_waitcnt_vscnt null, 0x0
	global_store_b64 v[2:3], v[0:1], off
	v_readfirstlane_b32 m0, v4
	s_sendmsg sendmsg(MSG_INTERRUPT)
.LBB0_102:
	s_or_b32 exec_lo, exec_lo, s6
	s_branch .LBB0_106
	.p2align	6
.LBB0_103:                              ;   in Loop: Header=BB0_106 Depth=1
	s_or_b32 exec_lo, exec_lo, s6
	s_delay_alu instid0(VALU_DEP_1) | instskip(NEXT) | instid1(VALU_DEP_1)
	v_readfirstlane_b32 s6, v0
	s_cmp_eq_u32 s6, 0
	s_cbranch_scc1 .LBB0_105
; %bb.104:                              ;   in Loop: Header=BB0_106 Depth=1
	s_sleep 1
	s_cbranch_execnz .LBB0_106
	s_branch .LBB0_109
	.p2align	6
.LBB0_105:
	s_branch .LBB0_109
.LBB0_106:                              ; =>This Inner Loop Header: Depth=1
	v_mov_b32_e32 v0, 1
	s_and_saveexec_b32 s6, s0
	s_cbranch_execz .LBB0_103
; %bb.107:                              ;   in Loop: Header=BB0_106 Depth=1
	global_load_b32 v0, v[8:9], off offset:20 glc
	s_waitcnt vmcnt(0)
	buffer_gl1_inv
	buffer_gl0_inv
	v_and_b32_e32 v0, 1, v0
	s_branch .LBB0_103
.LBB0_108:
	s_or_b32 exec_lo, exec_lo, s1
	s_waitcnt vmcnt(0) lgkmcnt(0)
	s_setpc_b64 s[30:31]
.LBB0_109:
	s_and_saveexec_b32 s6, s0
	s_cbranch_execz .LBB0_113
; %bb.110:
	v_mov_b32_e32 v6, 0
	s_clause 0x2
	global_load_b64 v[2:3], v6, s[2:3] offset:40
	global_load_b64 v[7:8], v6, s[2:3] offset:24 glc
	global_load_b64 v[4:5], v6, s[2:3]
	s_waitcnt vmcnt(2)
	v_add_co_u32 v9, vcc_lo, v2, 1
	v_add_co_ci_u32_e32 v10, vcc_lo, 0, v3, vcc_lo
	s_delay_alu instid0(VALU_DEP_2) | instskip(NEXT) | instid1(VALU_DEP_2)
	v_add_co_u32 v0, vcc_lo, v9, s4
	v_add_co_ci_u32_e32 v1, vcc_lo, s5, v10, vcc_lo
	s_delay_alu instid0(VALU_DEP_1) | instskip(SKIP_1) | instid1(VALU_DEP_1)
	v_cmp_eq_u64_e32 vcc_lo, 0, v[0:1]
	v_dual_cndmask_b32 v1, v1, v10 :: v_dual_cndmask_b32 v0, v0, v9
	v_and_b32_e32 v3, v1, v3
	s_delay_alu instid0(VALU_DEP_2) | instskip(NEXT) | instid1(VALU_DEP_2)
	v_and_b32_e32 v2, v0, v2
	v_mul_lo_u32 v3, v3, 24
	s_delay_alu instid0(VALU_DEP_2) | instskip(SKIP_1) | instid1(VALU_DEP_2)
	v_mul_hi_u32 v9, v2, 24
	v_mul_lo_u32 v2, v2, 24
	v_add_nc_u32_e32 v3, v9, v3
	s_waitcnt vmcnt(0)
	s_delay_alu instid0(VALU_DEP_2) | instskip(SKIP_1) | instid1(VALU_DEP_3)
	v_add_co_u32 v4, vcc_lo, v4, v2
	v_mov_b32_e32 v2, v7
	v_add_co_ci_u32_e32 v5, vcc_lo, v5, v3, vcc_lo
	v_mov_b32_e32 v3, v8
	global_store_b64 v[4:5], v[7:8], off
	s_waitcnt_vscnt null, 0x0
	global_atomic_cmpswap_b64 v[2:3], v6, v[0:3], s[2:3] offset:24 glc
	s_waitcnt vmcnt(0)
	v_cmp_ne_u64_e32 vcc_lo, v[2:3], v[7:8]
	s_and_b32 exec_lo, exec_lo, vcc_lo
	s_cbranch_execz .LBB0_113
; %bb.111:
	s_mov_b32 s0, 0
.LBB0_112:                              ; =>This Inner Loop Header: Depth=1
	s_sleep 1
	global_store_b64 v[4:5], v[2:3], off
	s_waitcnt_vscnt null, 0x0
	global_atomic_cmpswap_b64 v[7:8], v6, v[0:3], s[2:3] offset:24 glc
	s_waitcnt vmcnt(0)
	v_cmp_eq_u64_e32 vcc_lo, v[7:8], v[2:3]
	v_dual_mov_b32 v2, v7 :: v_dual_mov_b32 v3, v8
	s_or_b32 s0, vcc_lo, s0
	s_delay_alu instid0(SALU_CYCLE_1)
	s_and_not1_b32 exec_lo, exec_lo, s0
	s_cbranch_execnz .LBB0_112
.LBB0_113:
	s_or_b32 exec_lo, exec_lo, s6
	s_delay_alu instid0(SALU_CYCLE_1)
	s_or_b32 exec_lo, exec_lo, s1
	s_waitcnt lgkmcnt(0)
	s_setpc_b64 s[30:31]
.Lfunc_end0:
	.size	__ockl_fprintf_append_string_n, .Lfunc_end0-__ockl_fprintf_append_string_n
                                        ; -- End function
	.section	.AMDGPU.csdata,"",@progbits
; Function info:
; codeLenInByte = 4740
; NumSgprs: 34
; NumVgprs: 36
; ScratchSize: 0
; MemoryBound: 0
	.text
	.p2align	2                               ; -- Begin function __assert_fail
	.type	__assert_fail,@function
__assert_fail:                          ; @__assert_fail
; %bb.0:
	s_waitcnt vmcnt(0) expcnt(0) lgkmcnt(0)
	s_mov_b32 s20, s33
	s_mov_b32 s33, s32
	s_or_saveexec_b32 s0, -1
	scratch_store_b32 off, v40, s33 offset:48 ; 4-byte Folded Spill
	s_mov_b32 exec_lo, s0
	v_writelane_b32 v40, s30, 0
	s_add_i32 s32, s32, 64
	v_writelane_b32 v40, s31, 1
	s_getpc_b64 s[0:1]
	s_add_u32 s0, s0, __const.__assert_fail.fmt@rel32@lo+4
	s_addc_u32 s1, s1, __const.__assert_fail.fmt@rel32@hi+12
	s_getpc_b64 s[2:3]
	s_add_u32 s2, s2, __const.__assert_fail.fmt@rel32@lo+20
	s_addc_u32 s3, s3, __const.__assert_fail.fmt@rel32@hi+28
	v_mbcnt_lo_u32_b32 v35, -1, 0
	s_clause 0x1
	s_load_b128 s[4:7], s[0:1], 0x0
	s_load_b128 s[12:15], s[2:3], 0x0
	s_load_b64 s[2:3], s[8:9], 0x50
	v_dual_mov_b32 v5, v1 :: v_dual_mov_b32 v4, v0
	v_mov_b32_e32 v14, 0x73256020
	v_readfirstlane_b32 s0, v35
	v_mov_b32_e32 v0, 0
	v_dual_mov_b32 v2, 0 :: v_dual_mov_b32 v3, 0xa2e
	v_mov_b32_e32 v15, 0x61662027
	v_dual_mov_b32 v16, 0x64656c69 :: v_dual_mov_b32 v1, 0
	v_cmp_eq_u32_e64 s0, s0, v35
	s_waitcnt lgkmcnt(0)
	v_dual_mov_b32 v9, s7 :: v_dual_mov_b32 v8, s6
	v_dual_mov_b32 v7, s5 :: v_dual_mov_b32 v6, s4
	;; [unrolled: 1-line block ×4, first 2 shown]
	s_clause 0x4
	scratch_store_b128 off, v[6:9], s33
	scratch_store_b128 off, v[10:13], s33 offset:16
	scratch_store_b8 off, v2, s33 offset:46
	scratch_store_b16 off, v3, s33 offset:44
	scratch_store_b96 off, v[14:16], s33 offset:32
	s_and_saveexec_b32 s1, s0
	s_cbranch_execz .LBB1_6
; %bb.1:
	global_load_b64 v[8:9], v2, s[2:3] offset:24 glc
	s_waitcnt vmcnt(0)
	buffer_gl1_inv
	buffer_gl0_inv
	s_clause 0x1
	global_load_b64 v[0:1], v2, s[2:3] offset:40
	global_load_b64 v[6:7], v2, s[2:3]
	s_mov_b32 s4, exec_lo
	s_waitcnt vmcnt(1)
	v_and_b32_e32 v1, v1, v9
	v_and_b32_e32 v0, v0, v8
	s_delay_alu instid0(VALU_DEP_2) | instskip(NEXT) | instid1(VALU_DEP_2)
	v_mul_lo_u32 v1, v1, 24
	v_mul_hi_u32 v3, v0, 24
	v_mul_lo_u32 v0, v0, 24
	s_delay_alu instid0(VALU_DEP_2) | instskip(SKIP_1) | instid1(VALU_DEP_2)
	v_add_nc_u32_e32 v1, v3, v1
	s_waitcnt vmcnt(0)
	v_add_co_u32 v0, vcc_lo, v6, v0
	s_delay_alu instid0(VALU_DEP_2)
	v_add_co_ci_u32_e32 v1, vcc_lo, v7, v1, vcc_lo
	global_load_b64 v[6:7], v[0:1], off glc
	s_waitcnt vmcnt(0)
	global_atomic_cmpswap_b64 v[0:1], v2, v[6:9], s[2:3] offset:24 glc
	s_waitcnt vmcnt(0)
	buffer_gl1_inv
	buffer_gl0_inv
	v_cmpx_ne_u64_e64 v[0:1], v[8:9]
	s_cbranch_execz .LBB1_5
; %bb.2:
	s_mov_b32 s5, 0
	.p2align	6
.LBB1_3:                                ; =>This Inner Loop Header: Depth=1
	s_sleep 1
	s_clause 0x1
	global_load_b64 v[6:7], v2, s[2:3] offset:40
	global_load_b64 v[10:11], v2, s[2:3]
	v_dual_mov_b32 v9, v1 :: v_dual_mov_b32 v8, v0
	s_waitcnt vmcnt(1)
	s_delay_alu instid0(VALU_DEP_1) | instskip(SKIP_1) | instid1(VALU_DEP_1)
	v_and_b32_e32 v3, v6, v8
	s_waitcnt vmcnt(0)
	v_mad_u64_u32 v[0:1], null, v3, 24, v[10:11]
	v_and_b32_e32 v3, v7, v9
	s_delay_alu instid0(VALU_DEP_1) | instskip(NEXT) | instid1(VALU_DEP_1)
	v_mad_u64_u32 v[6:7], null, v3, 24, v[1:2]
	v_mov_b32_e32 v1, v6
	global_load_b64 v[6:7], v[0:1], off glc
	s_waitcnt vmcnt(0)
	global_atomic_cmpswap_b64 v[0:1], v2, v[6:9], s[2:3] offset:24 glc
	s_waitcnt vmcnt(0)
	buffer_gl1_inv
	buffer_gl0_inv
	v_cmp_eq_u64_e32 vcc_lo, v[0:1], v[8:9]
	s_or_b32 s5, vcc_lo, s5
	s_delay_alu instid0(SALU_CYCLE_1)
	s_and_not1_b32 exec_lo, exec_lo, s5
	s_cbranch_execnz .LBB1_3
; %bb.4:
	s_or_b32 exec_lo, exec_lo, s5
.LBB1_5:
	s_delay_alu instid0(SALU_CYCLE_1)
	s_or_b32 exec_lo, exec_lo, s4
.LBB1_6:
	s_delay_alu instid0(SALU_CYCLE_1)
	s_or_b32 exec_lo, exec_lo, s1
	s_clause 0x1
	global_load_b64 v[10:11], v2, s[2:3] offset:40
	global_load_b128 v[6:9], v2, s[2:3]
	v_readfirstlane_b32 s4, v0
	v_readfirstlane_b32 s5, v1
	s_mov_b32 s1, exec_lo
	s_waitcnt vmcnt(1)
	v_readfirstlane_b32 s6, v10
	v_readfirstlane_b32 s7, v11
	s_delay_alu instid0(VALU_DEP_1) | instskip(NEXT) | instid1(SALU_CYCLE_1)
	s_and_b64 s[6:7], s[4:5], s[6:7]
	s_mul_i32 s10, s7, 24
	s_mul_hi_u32 s11, s6, 24
	s_mul_i32 s12, s6, 24
	s_add_i32 s11, s11, s10
	s_waitcnt vmcnt(0)
	v_add_co_u32 v10, vcc_lo, v6, s12
	v_add_co_ci_u32_e32 v11, vcc_lo, s11, v7, vcc_lo
	s_and_saveexec_b32 s10, s0
	s_cbranch_execz .LBB1_8
; %bb.7:
	v_dual_mov_b32 v0, s1 :: v_dual_mov_b32 v1, 0
	v_dual_mov_b32 v2, 2 :: v_dual_mov_b32 v3, 1
	global_store_b128 v[10:11], v[0:3], off offset:8
.LBB1_8:
	s_or_b32 exec_lo, exec_lo, s10
	s_lshl_b64 s[6:7], s[6:7], 12
	v_dual_mov_b32 v1, 0 :: v_dual_lshlrev_b32 v34, 6, v35
	v_add_co_u32 v8, vcc_lo, v8, s6
	v_add_co_ci_u32_e32 v9, vcc_lo, s7, v9, vcc_lo
	s_mov_b32 s12, 0
	s_delay_alu instid0(VALU_DEP_2)
	v_add_co_u32 v12, vcc_lo, v8, v34
	s_mov_b32 s15, s12
	s_mov_b32 s13, s12
	;; [unrolled: 1-line block ×3, first 2 shown]
	v_dual_mov_b32 v0, 33 :: v_dual_mov_b32 v3, v1
	v_dual_mov_b32 v2, 1 :: v_dual_mov_b32 v17, s15
	v_readfirstlane_b32 s6, v8
	v_readfirstlane_b32 s7, v9
	v_add_co_ci_u32_e32 v13, vcc_lo, 0, v9, vcc_lo
	v_dual_mov_b32 v16, s14 :: v_dual_mov_b32 v15, s13
	v_mov_b32_e32 v14, s12
	s_clause 0x3
	global_store_b128 v34, v[0:3], s[6:7]
	global_store_b128 v34, v[14:17], s[6:7] offset:16
	global_store_b128 v34, v[14:17], s[6:7] offset:32
	;; [unrolled: 1-line block ×3, first 2 shown]
	s_and_saveexec_b32 s1, s0
	s_cbranch_execz .LBB1_16
; %bb.9:
	s_clause 0x1
	global_load_b64 v[16:17], v1, s[2:3] offset:32 glc
	global_load_b64 v[2:3], v1, s[2:3] offset:40
	v_mov_b32_e32 v14, s4
	s_mov_b32 s6, exec_lo
	s_waitcnt vmcnt(0)
	v_dual_mov_b32 v15, s5 :: v_dual_and_b32 v0, s5, v3
	v_and_b32_e32 v2, s4, v2
	s_delay_alu instid0(VALU_DEP_2) | instskip(NEXT) | instid1(VALU_DEP_2)
	v_mul_lo_u32 v0, v0, 24
	v_mul_hi_u32 v3, v2, 24
	v_mul_lo_u32 v2, v2, 24
	s_delay_alu instid0(VALU_DEP_2) | instskip(NEXT) | instid1(VALU_DEP_2)
	v_add_nc_u32_e32 v0, v3, v0
	v_add_co_u32 v2, vcc_lo, v6, v2
	s_delay_alu instid0(VALU_DEP_2)
	v_add_co_ci_u32_e32 v3, vcc_lo, v7, v0, vcc_lo
	global_store_b64 v[2:3], v[16:17], off
	s_waitcnt_vscnt null, 0x0
	global_atomic_cmpswap_b64 v[8:9], v1, v[14:17], s[2:3] offset:32 glc
	s_waitcnt vmcnt(0)
	v_cmpx_ne_u64_e64 v[8:9], v[16:17]
	s_cbranch_execz .LBB1_12
; %bb.10:
	s_mov_b32 s7, 0
.LBB1_11:                               ; =>This Inner Loop Header: Depth=1
	v_dual_mov_b32 v6, s4 :: v_dual_mov_b32 v7, s5
	s_sleep 1
	global_store_b64 v[2:3], v[8:9], off
	s_waitcnt_vscnt null, 0x0
	global_atomic_cmpswap_b64 v[6:7], v1, v[6:9], s[2:3] offset:32 glc
	s_waitcnt vmcnt(0)
	v_cmp_eq_u64_e32 vcc_lo, v[6:7], v[8:9]
	v_dual_mov_b32 v9, v7 :: v_dual_mov_b32 v8, v6
	s_or_b32 s7, vcc_lo, s7
	s_delay_alu instid0(SALU_CYCLE_1)
	s_and_not1_b32 exec_lo, exec_lo, s7
	s_cbranch_execnz .LBB1_11
.LBB1_12:
	s_or_b32 exec_lo, exec_lo, s6
	v_mov_b32_e32 v3, 0
	s_mov_b32 s7, exec_lo
	s_mov_b32 s6, exec_lo
	v_mbcnt_lo_u32_b32 v2, s7, 0
	global_load_b64 v[0:1], v3, s[2:3] offset:16
	v_cmpx_eq_u32_e32 0, v2
	s_cbranch_execz .LBB1_14
; %bb.13:
	s_bcnt1_i32_b32 s7, s7
	s_delay_alu instid0(SALU_CYCLE_1)
	v_mov_b32_e32 v2, s7
	s_waitcnt vmcnt(0)
	global_atomic_add_u64 v[0:1], v[2:3], off offset:8
.LBB1_14:
	s_or_b32 exec_lo, exec_lo, s6
	s_waitcnt vmcnt(0)
	global_load_b64 v[2:3], v[0:1], off offset:16
	s_waitcnt vmcnt(0)
	v_cmp_eq_u64_e32 vcc_lo, 0, v[2:3]
	s_cbranch_vccnz .LBB1_16
; %bb.15:
	global_load_b32 v0, v[0:1], off offset:24
	s_waitcnt vmcnt(0)
	v_dual_mov_b32 v1, 0 :: v_dual_and_b32 v6, 0xffffff, v0
	s_waitcnt_vscnt null, 0x0
	global_store_b64 v[2:3], v[0:1], off
	v_readfirstlane_b32 m0, v6
	s_sendmsg sendmsg(MSG_INTERRUPT)
.LBB1_16:
	s_or_b32 exec_lo, exec_lo, s1
	s_branch .LBB1_20
	.p2align	6
.LBB1_17:                               ;   in Loop: Header=BB1_20 Depth=1
	s_or_b32 exec_lo, exec_lo, s1
	s_delay_alu instid0(VALU_DEP_1) | instskip(NEXT) | instid1(VALU_DEP_1)
	v_readfirstlane_b32 s1, v0
	s_cmp_eq_u32 s1, 0
	s_cbranch_scc1 .LBB1_19
; %bb.18:                               ;   in Loop: Header=BB1_20 Depth=1
	s_sleep 1
	s_cbranch_execnz .LBB1_20
	s_branch .LBB1_22
	.p2align	6
.LBB1_19:
	s_branch .LBB1_22
.LBB1_20:                               ; =>This Inner Loop Header: Depth=1
	v_mov_b32_e32 v0, 1
	s_and_saveexec_b32 s1, s0
	s_cbranch_execz .LBB1_17
; %bb.21:                               ;   in Loop: Header=BB1_20 Depth=1
	global_load_b32 v0, v[10:11], off offset:20 glc
	s_waitcnt vmcnt(0)
	buffer_gl1_inv
	buffer_gl0_inv
	v_and_b32_e32 v0, 1, v0
	s_branch .LBB1_17
.LBB1_22:
	global_load_b64 v[6:7], v[12:13], off
	s_and_saveexec_b32 s1, s0
	s_cbranch_execz .LBB1_26
; %bb.23:
	v_mov_b32_e32 v10, 0
	s_clause 0x2
	global_load_b64 v[2:3], v10, s[2:3] offset:40
	global_load_b64 v[11:12], v10, s[2:3] offset:24 glc
	global_load_b64 v[8:9], v10, s[2:3]
	s_waitcnt vmcnt(2)
	v_add_co_u32 v13, vcc_lo, v2, 1
	v_add_co_ci_u32_e32 v14, vcc_lo, 0, v3, vcc_lo
	s_delay_alu instid0(VALU_DEP_2) | instskip(NEXT) | instid1(VALU_DEP_2)
	v_add_co_u32 v0, vcc_lo, v13, s4
	v_add_co_ci_u32_e32 v1, vcc_lo, s5, v14, vcc_lo
	s_delay_alu instid0(VALU_DEP_1) | instskip(SKIP_1) | instid1(VALU_DEP_1)
	v_cmp_eq_u64_e32 vcc_lo, 0, v[0:1]
	v_dual_cndmask_b32 v1, v1, v14 :: v_dual_cndmask_b32 v0, v0, v13
	v_and_b32_e32 v3, v1, v3
	s_delay_alu instid0(VALU_DEP_2) | instskip(NEXT) | instid1(VALU_DEP_2)
	v_and_b32_e32 v2, v0, v2
	v_mul_lo_u32 v3, v3, 24
	s_delay_alu instid0(VALU_DEP_2) | instskip(SKIP_1) | instid1(VALU_DEP_2)
	v_mul_hi_u32 v13, v2, 24
	v_mul_lo_u32 v2, v2, 24
	v_add_nc_u32_e32 v3, v13, v3
	s_waitcnt vmcnt(0)
	s_delay_alu instid0(VALU_DEP_2) | instskip(SKIP_1) | instid1(VALU_DEP_3)
	v_add_co_u32 v8, vcc_lo, v8, v2
	v_mov_b32_e32 v2, v11
	v_add_co_ci_u32_e32 v9, vcc_lo, v9, v3, vcc_lo
	v_mov_b32_e32 v3, v12
	global_store_b64 v[8:9], v[11:12], off
	s_waitcnt_vscnt null, 0x0
	global_atomic_cmpswap_b64 v[2:3], v10, v[0:3], s[2:3] offset:24 glc
	s_waitcnt vmcnt(0)
	v_cmp_ne_u64_e32 vcc_lo, v[2:3], v[11:12]
	s_and_b32 exec_lo, exec_lo, vcc_lo
	s_cbranch_execz .LBB1_26
; %bb.24:
	s_mov_b32 s0, 0
.LBB1_25:                               ; =>This Inner Loop Header: Depth=1
	s_sleep 1
	global_store_b64 v[8:9], v[2:3], off
	s_waitcnt_vscnt null, 0x0
	global_atomic_cmpswap_b64 v[11:12], v10, v[0:3], s[2:3] offset:24 glc
	s_waitcnt vmcnt(0)
	v_cmp_eq_u64_e32 vcc_lo, v[11:12], v[2:3]
	v_dual_mov_b32 v2, v11 :: v_dual_mov_b32 v3, v12
	s_or_b32 s0, vcc_lo, s0
	s_delay_alu instid0(SALU_CYCLE_1)
	s_and_not1_b32 exec_lo, exec_lo, s0
	s_cbranch_execnz .LBB1_25
.LBB1_26:
	s_or_b32 exec_lo, exec_lo, s1
	v_mov_b32_e32 v1, s33
	s_mov_b32 s0, 0
.LBB1_27:                               ; =>This Inner Loop Header: Depth=1
	scratch_load_u8 v2, v1, off
	v_add_nc_u32_e32 v0, 1, v1
	s_delay_alu instid0(VALU_DEP_1) | instskip(SKIP_3) | instid1(SALU_CYCLE_1)
	v_mov_b32_e32 v1, v0
	s_waitcnt vmcnt(0)
	v_cmp_eq_u16_e32 vcc_lo, 0, v2
	s_or_b32 s0, vcc_lo, s0
	s_and_not1_b32 exec_lo, exec_lo, s0
	s_cbranch_execnz .LBB1_27
; %bb.28:
	s_or_b32 exec_lo, exec_lo, s0
	v_cmp_ne_u32_e64 s0, -1, s33
	s_delay_alu instid0(VALU_DEP_1)
	s_and_b32 vcc_lo, exec_lo, s0
	s_cbranch_vccz .LBB1_113
; %bb.29:
	v_subrev_nc_u32_e32 v28, s33, v0
	v_dual_mov_b32 v9, 0 :: v_dual_and_b32 v36, 2, v6
	v_dual_mov_b32 v1, v7 :: v_dual_and_b32 v0, -3, v6
	s_delay_alu instid0(VALU_DEP_3)
	v_ashrrev_i32_e32 v29, 31, v28
	v_dual_mov_b32 v37, s33 :: v_dual_mov_b32 v10, 2
	v_mov_b32_e32 v11, 1
	s_mov_b32 s11, 0
	s_mov_b32 s10, 0
	s_branch .LBB1_31
.LBB1_30:                               ;   in Loop: Header=BB1_31 Depth=1
	s_or_b32 exec_lo, exec_lo, s1
	v_sub_co_u32 v28, vcc_lo, v28, v30
	v_sub_co_ci_u32_e32 v29, vcc_lo, v29, v31, vcc_lo
	v_add_nc_u32_e32 v37, v37, v30
	s_delay_alu instid0(VALU_DEP_2) | instskip(SKIP_1) | instid1(SALU_CYCLE_1)
	v_cmp_eq_u64_e32 vcc_lo, 0, v[28:29]
	s_or_b32 s10, vcc_lo, s10
	s_and_not1_b32 exec_lo, exec_lo, s10
	s_cbranch_execz .LBB1_114
.LBB1_31:                               ; =>This Loop Header: Depth=1
                                        ;     Child Loop BB1_34 Depth 2
                                        ;     Child Loop BB1_42 Depth 2
	;; [unrolled: 1-line block ×11, first 2 shown]
	v_cmp_gt_u64_e32 vcc_lo, 56, v[28:29]
	s_mov_b32 s4, exec_lo
                                        ; implicit-def: $vgpr2_vgpr3
                                        ; implicit-def: $sgpr1
	v_dual_cndmask_b32 v31, 0, v29 :: v_dual_cndmask_b32 v30, 56, v28
	v_cmpx_gt_u64_e32 8, v[28:29]
	s_xor_b32 s4, exec_lo, s4
	s_cbranch_execz .LBB1_37
; %bb.32:                               ;   in Loop: Header=BB1_31 Depth=1
	s_waitcnt vmcnt(0)
	v_mov_b32_e32 v2, 0
	v_mov_b32_e32 v3, 0
	s_mov_b64 s[0:1], 0
	s_mov_b32 s5, exec_lo
	v_cmpx_ne_u64_e32 0, v[28:29]
	s_cbranch_execz .LBB1_36
; %bb.33:                               ;   in Loop: Header=BB1_31 Depth=1
	v_lshlrev_b64 v[12:13], 3, v[30:31]
	v_mov_b32_e32 v2, 0
	v_dual_mov_b32 v3, 0 :: v_dual_mov_b32 v8, v37
	s_mov_b32 s6, 0
.LBB1_34:                               ;   Parent Loop BB1_31 Depth=1
                                        ; =>  This Inner Loop Header: Depth=2
	scratch_load_u8 v13, v8, off
	v_mov_b32_e32 v14, s11
	v_add_nc_u32_e32 v8, 1, v8
	s_waitcnt vmcnt(0)
	v_and_b32_e32 v13, 0xffff, v13
	s_delay_alu instid0(VALU_DEP_1) | instskip(SKIP_3) | instid1(VALU_DEP_2)
	v_lshlrev_b64 v[13:14], s0, v[13:14]
	s_add_u32 s0, s0, 8
	s_addc_u32 s1, s1, 0
	v_cmp_eq_u32_e32 vcc_lo, s0, v12
	v_or_b32_e32 v3, v14, v3
	s_delay_alu instid0(VALU_DEP_3) | instskip(SKIP_1) | instid1(SALU_CYCLE_1)
	v_or_b32_e32 v2, v13, v2
	s_or_b32 s6, vcc_lo, s6
	s_and_not1_b32 exec_lo, exec_lo, s6
	s_cbranch_execnz .LBB1_34
; %bb.35:                               ;   in Loop: Header=BB1_31 Depth=1
	s_or_b32 exec_lo, exec_lo, s6
.LBB1_36:                               ;   in Loop: Header=BB1_31 Depth=1
	s_delay_alu instid0(SALU_CYCLE_1)
	s_or_b32 exec_lo, exec_lo, s5
	s_mov_b32 s1, 0
.LBB1_37:                               ;   in Loop: Header=BB1_31 Depth=1
	s_or_saveexec_b32 s0, s4
	v_mov_b32_e32 v14, s1
	v_mov_b32_e32 v8, v37
	s_xor_b32 exec_lo, exec_lo, s0
	s_cbranch_execz .LBB1_39
; %bb.38:                               ;   in Loop: Header=BB1_31 Depth=1
	scratch_load_b64 v[2:3], v37, off
	v_add_nc_u32_e32 v14, -8, v30
	s_waitcnt vmcnt(0)
	v_and_b32_e32 v8, 0xff, v3
	v_and_b32_e32 v12, 0xff00, v3
	;; [unrolled: 1-line block ×4, first 2 shown]
	v_or3_b32 v2, v2, 0, 0
	s_delay_alu instid0(VALU_DEP_4) | instskip(NEXT) | instid1(VALU_DEP_1)
	v_or_b32_e32 v8, v8, v12
	v_or3_b32 v3, v8, v13, v3
	v_add_nc_u32_e32 v8, 8, v37
.LBB1_39:                               ;   in Loop: Header=BB1_31 Depth=1
	s_or_b32 exec_lo, exec_lo, s0
                                        ; implicit-def: $vgpr12_vgpr13
                                        ; implicit-def: $sgpr1
	s_delay_alu instid0(SALU_CYCLE_1)
	s_mov_b32 s0, exec_lo
	v_cmpx_gt_u32_e32 8, v14
	s_xor_b32 s4, exec_lo, s0
	s_cbranch_execz .LBB1_45
; %bb.40:                               ;   in Loop: Header=BB1_31 Depth=1
	v_mov_b32_e32 v12, 0
	v_mov_b32_e32 v13, 0
	s_mov_b32 s5, exec_lo
	v_cmpx_ne_u32_e32 0, v14
	s_cbranch_execz .LBB1_44
; %bb.41:                               ;   in Loop: Header=BB1_31 Depth=1
	v_mov_b32_e32 v12, 0
	v_mov_b32_e32 v13, 0
	s_mov_b64 s[0:1], 0
	s_mov_b32 s6, 0
	s_mov_b32 s7, 0
	.p2align	6
.LBB1_42:                               ;   Parent Loop BB1_31 Depth=1
                                        ; =>  This Inner Loop Header: Depth=2
	s_delay_alu instid0(SALU_CYCLE_1) | instskip(SKIP_1) | instid1(SALU_CYCLE_1)
	v_dual_mov_b32 v16, s11 :: v_dual_add_nc_u32 v15, s7, v8
	s_add_i32 s7, s7, 1
	v_cmp_eq_u32_e32 vcc_lo, s7, v14
	scratch_load_u8 v15, v15, off
	s_waitcnt vmcnt(0)
	v_and_b32_e32 v15, 0xffff, v15
	s_delay_alu instid0(VALU_DEP_1) | instskip(SKIP_3) | instid1(VALU_DEP_1)
	v_lshlrev_b64 v[15:16], s0, v[15:16]
	s_add_u32 s0, s0, 8
	s_addc_u32 s1, s1, 0
	s_or_b32 s6, vcc_lo, s6
	v_or_b32_e32 v13, v16, v13
	s_delay_alu instid0(VALU_DEP_2)
	v_or_b32_e32 v12, v15, v12
	s_and_not1_b32 exec_lo, exec_lo, s6
	s_cbranch_execnz .LBB1_42
; %bb.43:                               ;   in Loop: Header=BB1_31 Depth=1
	s_or_b32 exec_lo, exec_lo, s6
.LBB1_44:                               ;   in Loop: Header=BB1_31 Depth=1
	s_delay_alu instid0(SALU_CYCLE_1)
	s_or_b32 exec_lo, exec_lo, s5
	s_mov_b32 s1, 0
                                        ; implicit-def: $vgpr14
.LBB1_45:                               ;   in Loop: Header=BB1_31 Depth=1
	s_or_saveexec_b32 s0, s4
	v_mov_b32_e32 v16, s1
	s_xor_b32 exec_lo, exec_lo, s0
	s_cbranch_execz .LBB1_47
; %bb.46:                               ;   in Loop: Header=BB1_31 Depth=1
	scratch_load_b64 v[12:13], v8, off
	v_add_nc_u32_e32 v8, 8, v8
	s_waitcnt vmcnt(0)
	v_and_b32_e32 v15, 0xff, v13
	v_and_b32_e32 v16, 0xff00, v13
	;; [unrolled: 1-line block ×4, first 2 shown]
	v_or3_b32 v12, v12, 0, 0
	s_delay_alu instid0(VALU_DEP_4) | instskip(SKIP_1) | instid1(VALU_DEP_2)
	v_or_b32_e32 v15, v15, v16
	v_add_nc_u32_e32 v16, -8, v14
	v_or3_b32 v13, v15, v17, v13
.LBB1_47:                               ;   in Loop: Header=BB1_31 Depth=1
	s_or_b32 exec_lo, exec_lo, s0
                                        ; implicit-def: $sgpr1
	s_delay_alu instid0(SALU_CYCLE_1) | instskip(NEXT) | instid1(VALU_DEP_1)
	s_mov_b32 s0, exec_lo
	v_cmpx_gt_u32_e32 8, v16
	s_xor_b32 s4, exec_lo, s0
	s_cbranch_execz .LBB1_53
; %bb.48:                               ;   in Loop: Header=BB1_31 Depth=1
	v_mov_b32_e32 v14, 0
	v_mov_b32_e32 v15, 0
	s_mov_b32 s5, exec_lo
	v_cmpx_ne_u32_e32 0, v16
	s_cbranch_execz .LBB1_52
; %bb.49:                               ;   in Loop: Header=BB1_31 Depth=1
	v_mov_b32_e32 v14, 0
	v_mov_b32_e32 v15, 0
	s_mov_b64 s[0:1], 0
	s_mov_b32 s6, 0
	s_mov_b32 s7, 0
	.p2align	6
.LBB1_50:                               ;   Parent Loop BB1_31 Depth=1
                                        ; =>  This Inner Loop Header: Depth=2
	s_delay_alu instid0(SALU_CYCLE_1) | instskip(SKIP_1) | instid1(SALU_CYCLE_1)
	v_dual_mov_b32 v18, s11 :: v_dual_add_nc_u32 v17, s7, v8
	s_add_i32 s7, s7, 1
	v_cmp_eq_u32_e32 vcc_lo, s7, v16
	scratch_load_u8 v17, v17, off
	s_waitcnt vmcnt(0)
	v_and_b32_e32 v17, 0xffff, v17
	s_delay_alu instid0(VALU_DEP_1) | instskip(SKIP_3) | instid1(VALU_DEP_1)
	v_lshlrev_b64 v[17:18], s0, v[17:18]
	s_add_u32 s0, s0, 8
	s_addc_u32 s1, s1, 0
	s_or_b32 s6, vcc_lo, s6
	v_or_b32_e32 v15, v18, v15
	s_delay_alu instid0(VALU_DEP_2)
	v_or_b32_e32 v14, v17, v14
	s_and_not1_b32 exec_lo, exec_lo, s6
	s_cbranch_execnz .LBB1_50
; %bb.51:                               ;   in Loop: Header=BB1_31 Depth=1
	s_or_b32 exec_lo, exec_lo, s6
.LBB1_52:                               ;   in Loop: Header=BB1_31 Depth=1
	s_delay_alu instid0(SALU_CYCLE_1)
	s_or_b32 exec_lo, exec_lo, s5
	s_mov_b32 s1, 0
                                        ; implicit-def: $vgpr16
.LBB1_53:                               ;   in Loop: Header=BB1_31 Depth=1
	s_or_saveexec_b32 s0, s4
	v_mov_b32_e32 v18, s1
	s_xor_b32 exec_lo, exec_lo, s0
	s_cbranch_execz .LBB1_55
; %bb.54:                               ;   in Loop: Header=BB1_31 Depth=1
	scratch_load_b64 v[14:15], v8, off
	v_add_nc_u32_e32 v8, 8, v8
	s_waitcnt vmcnt(0)
	v_and_b32_e32 v17, 0xff, v15
	v_and_b32_e32 v18, 0xff00, v15
	;; [unrolled: 1-line block ×4, first 2 shown]
	v_or3_b32 v14, v14, 0, 0
	s_delay_alu instid0(VALU_DEP_4) | instskip(SKIP_1) | instid1(VALU_DEP_2)
	v_or_b32_e32 v17, v17, v18
	v_add_nc_u32_e32 v18, -8, v16
	v_or3_b32 v15, v17, v19, v15
.LBB1_55:                               ;   in Loop: Header=BB1_31 Depth=1
	s_or_b32 exec_lo, exec_lo, s0
                                        ; implicit-def: $vgpr16_vgpr17
                                        ; implicit-def: $sgpr1
	s_delay_alu instid0(SALU_CYCLE_1) | instskip(NEXT) | instid1(VALU_DEP_1)
	s_mov_b32 s0, exec_lo
	v_cmpx_gt_u32_e32 8, v18
	s_xor_b32 s4, exec_lo, s0
	s_cbranch_execz .LBB1_61
; %bb.56:                               ;   in Loop: Header=BB1_31 Depth=1
	v_mov_b32_e32 v16, 0
	v_mov_b32_e32 v17, 0
	s_mov_b32 s5, exec_lo
	v_cmpx_ne_u32_e32 0, v18
	s_cbranch_execz .LBB1_60
; %bb.57:                               ;   in Loop: Header=BB1_31 Depth=1
	v_mov_b32_e32 v16, 0
	v_mov_b32_e32 v17, 0
	s_mov_b64 s[0:1], 0
	s_mov_b32 s6, 0
	s_mov_b32 s7, 0
	.p2align	6
.LBB1_58:                               ;   Parent Loop BB1_31 Depth=1
                                        ; =>  This Inner Loop Header: Depth=2
	s_delay_alu instid0(SALU_CYCLE_1) | instskip(SKIP_1) | instid1(SALU_CYCLE_1)
	v_dual_mov_b32 v20, s11 :: v_dual_add_nc_u32 v19, s7, v8
	s_add_i32 s7, s7, 1
	v_cmp_eq_u32_e32 vcc_lo, s7, v18
	scratch_load_u8 v19, v19, off
	s_waitcnt vmcnt(0)
	v_and_b32_e32 v19, 0xffff, v19
	s_delay_alu instid0(VALU_DEP_1) | instskip(SKIP_3) | instid1(VALU_DEP_1)
	v_lshlrev_b64 v[19:20], s0, v[19:20]
	s_add_u32 s0, s0, 8
	s_addc_u32 s1, s1, 0
	s_or_b32 s6, vcc_lo, s6
	v_or_b32_e32 v17, v20, v17
	s_delay_alu instid0(VALU_DEP_2)
	v_or_b32_e32 v16, v19, v16
	s_and_not1_b32 exec_lo, exec_lo, s6
	s_cbranch_execnz .LBB1_58
; %bb.59:                               ;   in Loop: Header=BB1_31 Depth=1
	s_or_b32 exec_lo, exec_lo, s6
.LBB1_60:                               ;   in Loop: Header=BB1_31 Depth=1
	s_delay_alu instid0(SALU_CYCLE_1)
	s_or_b32 exec_lo, exec_lo, s5
	s_mov_b32 s1, 0
                                        ; implicit-def: $vgpr18
.LBB1_61:                               ;   in Loop: Header=BB1_31 Depth=1
	s_or_saveexec_b32 s0, s4
	v_mov_b32_e32 v20, s1
	s_xor_b32 exec_lo, exec_lo, s0
	s_cbranch_execz .LBB1_63
; %bb.62:                               ;   in Loop: Header=BB1_31 Depth=1
	scratch_load_b64 v[16:17], v8, off
	v_add_nc_u32_e32 v8, 8, v8
	s_waitcnt vmcnt(0)
	v_and_b32_e32 v19, 0xff, v17
	v_and_b32_e32 v20, 0xff00, v17
	v_and_b32_e32 v21, 0xff0000, v17
	v_and_b32_e32 v17, 0xff000000, v17
	v_or3_b32 v16, v16, 0, 0
	s_delay_alu instid0(VALU_DEP_4) | instskip(SKIP_1) | instid1(VALU_DEP_2)
	v_or_b32_e32 v19, v19, v20
	v_add_nc_u32_e32 v20, -8, v18
	v_or3_b32 v17, v19, v21, v17
.LBB1_63:                               ;   in Loop: Header=BB1_31 Depth=1
	s_or_b32 exec_lo, exec_lo, s0
                                        ; implicit-def: $sgpr1
	s_delay_alu instid0(SALU_CYCLE_1) | instskip(NEXT) | instid1(VALU_DEP_1)
	s_mov_b32 s0, exec_lo
	v_cmpx_gt_u32_e32 8, v20
	s_xor_b32 s4, exec_lo, s0
	s_cbranch_execz .LBB1_69
; %bb.64:                               ;   in Loop: Header=BB1_31 Depth=1
	v_mov_b32_e32 v18, 0
	v_mov_b32_e32 v19, 0
	s_mov_b32 s5, exec_lo
	v_cmpx_ne_u32_e32 0, v20
	s_cbranch_execz .LBB1_68
; %bb.65:                               ;   in Loop: Header=BB1_31 Depth=1
	v_mov_b32_e32 v18, 0
	v_mov_b32_e32 v19, 0
	s_mov_b64 s[0:1], 0
	s_mov_b32 s6, 0
	s_mov_b32 s7, 0
	.p2align	6
.LBB1_66:                               ;   Parent Loop BB1_31 Depth=1
                                        ; =>  This Inner Loop Header: Depth=2
	s_delay_alu instid0(SALU_CYCLE_1) | instskip(SKIP_1) | instid1(SALU_CYCLE_1)
	v_dual_mov_b32 v22, s11 :: v_dual_add_nc_u32 v21, s7, v8
	s_add_i32 s7, s7, 1
	v_cmp_eq_u32_e32 vcc_lo, s7, v20
	scratch_load_u8 v21, v21, off
	s_waitcnt vmcnt(0)
	v_and_b32_e32 v21, 0xffff, v21
	s_delay_alu instid0(VALU_DEP_1) | instskip(SKIP_3) | instid1(VALU_DEP_1)
	v_lshlrev_b64 v[21:22], s0, v[21:22]
	s_add_u32 s0, s0, 8
	s_addc_u32 s1, s1, 0
	s_or_b32 s6, vcc_lo, s6
	v_or_b32_e32 v19, v22, v19
	s_delay_alu instid0(VALU_DEP_2)
	v_or_b32_e32 v18, v21, v18
	s_and_not1_b32 exec_lo, exec_lo, s6
	s_cbranch_execnz .LBB1_66
; %bb.67:                               ;   in Loop: Header=BB1_31 Depth=1
	s_or_b32 exec_lo, exec_lo, s6
.LBB1_68:                               ;   in Loop: Header=BB1_31 Depth=1
	s_delay_alu instid0(SALU_CYCLE_1)
	s_or_b32 exec_lo, exec_lo, s5
	s_mov_b32 s1, 0
                                        ; implicit-def: $vgpr20
.LBB1_69:                               ;   in Loop: Header=BB1_31 Depth=1
	s_or_saveexec_b32 s0, s4
	v_mov_b32_e32 v22, s1
	s_xor_b32 exec_lo, exec_lo, s0
	s_cbranch_execz .LBB1_71
; %bb.70:                               ;   in Loop: Header=BB1_31 Depth=1
	scratch_load_b64 v[18:19], v8, off
	v_add_nc_u32_e32 v8, 8, v8
	s_waitcnt vmcnt(0)
	v_and_b32_e32 v21, 0xff, v19
	v_and_b32_e32 v22, 0xff00, v19
	v_and_b32_e32 v23, 0xff0000, v19
	v_and_b32_e32 v19, 0xff000000, v19
	v_or3_b32 v18, v18, 0, 0
	s_delay_alu instid0(VALU_DEP_4) | instskip(SKIP_1) | instid1(VALU_DEP_2)
	v_or_b32_e32 v21, v21, v22
	v_add_nc_u32_e32 v22, -8, v20
	v_or3_b32 v19, v21, v23, v19
.LBB1_71:                               ;   in Loop: Header=BB1_31 Depth=1
	s_or_b32 exec_lo, exec_lo, s0
                                        ; implicit-def: $vgpr20_vgpr21
                                        ; implicit-def: $sgpr1
	s_delay_alu instid0(SALU_CYCLE_1) | instskip(NEXT) | instid1(VALU_DEP_1)
	s_mov_b32 s0, exec_lo
	v_cmpx_gt_u32_e32 8, v22
	s_xor_b32 s4, exec_lo, s0
	s_cbranch_execz .LBB1_77
; %bb.72:                               ;   in Loop: Header=BB1_31 Depth=1
	v_mov_b32_e32 v20, 0
	v_mov_b32_e32 v21, 0
	s_mov_b32 s5, exec_lo
	v_cmpx_ne_u32_e32 0, v22
	s_cbranch_execz .LBB1_76
; %bb.73:                               ;   in Loop: Header=BB1_31 Depth=1
	v_mov_b32_e32 v20, 0
	v_mov_b32_e32 v21, 0
	s_mov_b64 s[0:1], 0
	s_mov_b32 s6, 0
	s_mov_b32 s7, 0
	.p2align	6
.LBB1_74:                               ;   Parent Loop BB1_31 Depth=1
                                        ; =>  This Inner Loop Header: Depth=2
	s_delay_alu instid0(SALU_CYCLE_1) | instskip(SKIP_1) | instid1(SALU_CYCLE_1)
	v_dual_mov_b32 v24, s11 :: v_dual_add_nc_u32 v23, s7, v8
	s_add_i32 s7, s7, 1
	v_cmp_eq_u32_e32 vcc_lo, s7, v22
	scratch_load_u8 v23, v23, off
	s_waitcnt vmcnt(0)
	v_and_b32_e32 v23, 0xffff, v23
	s_delay_alu instid0(VALU_DEP_1) | instskip(SKIP_3) | instid1(VALU_DEP_1)
	v_lshlrev_b64 v[23:24], s0, v[23:24]
	s_add_u32 s0, s0, 8
	s_addc_u32 s1, s1, 0
	s_or_b32 s6, vcc_lo, s6
	v_or_b32_e32 v21, v24, v21
	s_delay_alu instid0(VALU_DEP_2)
	v_or_b32_e32 v20, v23, v20
	s_and_not1_b32 exec_lo, exec_lo, s6
	s_cbranch_execnz .LBB1_74
; %bb.75:                               ;   in Loop: Header=BB1_31 Depth=1
	s_or_b32 exec_lo, exec_lo, s6
.LBB1_76:                               ;   in Loop: Header=BB1_31 Depth=1
	s_delay_alu instid0(SALU_CYCLE_1)
	s_or_b32 exec_lo, exec_lo, s5
	s_mov_b32 s1, 0
                                        ; implicit-def: $vgpr22
.LBB1_77:                               ;   in Loop: Header=BB1_31 Depth=1
	s_or_saveexec_b32 s0, s4
	v_mov_b32_e32 v24, s1
	s_xor_b32 exec_lo, exec_lo, s0
	s_cbranch_execz .LBB1_79
; %bb.78:                               ;   in Loop: Header=BB1_31 Depth=1
	scratch_load_b64 v[20:21], v8, off
	v_add_nc_u32_e32 v8, 8, v8
	s_waitcnt vmcnt(0)
	v_and_b32_e32 v23, 0xff, v21
	v_and_b32_e32 v24, 0xff00, v21
	;; [unrolled: 1-line block ×4, first 2 shown]
	v_or3_b32 v20, v20, 0, 0
	s_delay_alu instid0(VALU_DEP_4) | instskip(SKIP_1) | instid1(VALU_DEP_2)
	v_or_b32_e32 v23, v23, v24
	v_add_nc_u32_e32 v24, -8, v22
	v_or3_b32 v21, v23, v25, v21
.LBB1_79:                               ;   in Loop: Header=BB1_31 Depth=1
	s_or_b32 exec_lo, exec_lo, s0
	s_delay_alu instid0(SALU_CYCLE_1) | instskip(NEXT) | instid1(VALU_DEP_1)
	s_mov_b32 s0, exec_lo
	v_cmpx_gt_u32_e32 8, v24
	s_xor_b32 s4, exec_lo, s0
	s_cbranch_execz .LBB1_85
; %bb.80:                               ;   in Loop: Header=BB1_31 Depth=1
	v_mov_b32_e32 v22, 0
	v_mov_b32_e32 v23, 0
	s_mov_b32 s5, exec_lo
	v_cmpx_ne_u32_e32 0, v24
	s_cbranch_execz .LBB1_84
; %bb.81:                               ;   in Loop: Header=BB1_31 Depth=1
	v_mov_b32_e32 v22, 0
	v_mov_b32_e32 v23, 0
	s_mov_b64 s[0:1], 0
	s_mov_b32 s6, 0
	.p2align	6
.LBB1_82:                               ;   Parent Loop BB1_31 Depth=1
                                        ; =>  This Inner Loop Header: Depth=2
	scratch_load_u8 v25, v8, off
	v_mov_b32_e32 v26, s11
	v_add_nc_u32_e32 v24, -1, v24
	v_add_nc_u32_e32 v8, 1, v8
	s_delay_alu instid0(VALU_DEP_2) | instskip(SKIP_2) | instid1(VALU_DEP_1)
	v_cmp_eq_u32_e32 vcc_lo, 0, v24
	s_waitcnt vmcnt(0)
	v_and_b32_e32 v25, 0xffff, v25
	v_lshlrev_b64 v[25:26], s0, v[25:26]
	s_add_u32 s0, s0, 8
	s_addc_u32 s1, s1, 0
	s_or_b32 s6, vcc_lo, s6
	s_delay_alu instid0(VALU_DEP_1) | instskip(NEXT) | instid1(VALU_DEP_2)
	v_or_b32_e32 v23, v26, v23
	v_or_b32_e32 v22, v25, v22
	s_and_not1_b32 exec_lo, exec_lo, s6
	s_cbranch_execnz .LBB1_82
; %bb.83:                               ;   in Loop: Header=BB1_31 Depth=1
	s_or_b32 exec_lo, exec_lo, s6
.LBB1_84:                               ;   in Loop: Header=BB1_31 Depth=1
	s_delay_alu instid0(SALU_CYCLE_1)
	s_or_b32 exec_lo, exec_lo, s5
                                        ; implicit-def: $vgpr8
.LBB1_85:                               ;   in Loop: Header=BB1_31 Depth=1
	s_and_not1_saveexec_b32 s0, s4
	s_cbranch_execz .LBB1_87
; %bb.86:                               ;   in Loop: Header=BB1_31 Depth=1
	scratch_load_b64 v[22:23], v8, off
	s_waitcnt vmcnt(0)
	v_and_b32_e32 v8, 0xff, v23
	v_and_b32_e32 v24, 0xff00, v23
	v_and_b32_e32 v25, 0xff0000, v23
	v_and_b32_e32 v23, 0xff000000, v23
	v_or3_b32 v22, v22, 0, 0
	s_delay_alu instid0(VALU_DEP_4) | instskip(NEXT) | instid1(VALU_DEP_1)
	v_or_b32_e32 v8, v8, v24
	v_or3_b32 v23, v8, v25, v23
.LBB1_87:                               ;   in Loop: Header=BB1_31 Depth=1
	s_or_b32 exec_lo, exec_lo, s0
	v_readfirstlane_b32 s0, v35
	v_mov_b32_e32 v32, 0
	v_mov_b32_e32 v33, 0
	s_delay_alu instid0(VALU_DEP_3) | instskip(NEXT) | instid1(VALU_DEP_1)
	v_cmp_eq_u32_e64 s0, s0, v35
	s_and_saveexec_b32 s1, s0
	s_cbranch_execz .LBB1_93
; %bb.88:                               ;   in Loop: Header=BB1_31 Depth=1
	global_load_b64 v[26:27], v9, s[2:3] offset:24 glc
	s_waitcnt vmcnt(0)
	buffer_gl1_inv
	buffer_gl0_inv
	s_clause 0x1
	global_load_b64 v[24:25], v9, s[2:3] offset:40
	global_load_b64 v[32:33], v9, s[2:3]
	s_mov_b32 s4, exec_lo
	s_waitcnt vmcnt(1)
	v_and_b32_e32 v8, v25, v27
	v_and_b32_e32 v24, v24, v26
	s_delay_alu instid0(VALU_DEP_2) | instskip(NEXT) | instid1(VALU_DEP_2)
	v_mul_lo_u32 v8, v8, 24
	v_mul_hi_u32 v25, v24, 24
	v_mul_lo_u32 v24, v24, 24
	s_delay_alu instid0(VALU_DEP_2) | instskip(SKIP_1) | instid1(VALU_DEP_2)
	v_add_nc_u32_e32 v8, v25, v8
	s_waitcnt vmcnt(0)
	v_add_co_u32 v24, vcc_lo, v32, v24
	s_delay_alu instid0(VALU_DEP_2)
	v_add_co_ci_u32_e32 v25, vcc_lo, v33, v8, vcc_lo
	global_load_b64 v[24:25], v[24:25], off glc
	s_waitcnt vmcnt(0)
	global_atomic_cmpswap_b64 v[32:33], v9, v[24:27], s[2:3] offset:24 glc
	s_waitcnt vmcnt(0)
	buffer_gl1_inv
	buffer_gl0_inv
	v_cmpx_ne_u64_e64 v[32:33], v[26:27]
	s_cbranch_execz .LBB1_92
; %bb.89:                               ;   in Loop: Header=BB1_31 Depth=1
	s_mov_b32 s5, 0
	.p2align	6
.LBB1_90:                               ;   Parent Loop BB1_31 Depth=1
                                        ; =>  This Inner Loop Header: Depth=2
	s_sleep 1
	s_clause 0x1
	global_load_b64 v[24:25], v9, s[2:3] offset:40
	global_load_b64 v[38:39], v9, s[2:3]
	v_dual_mov_b32 v26, v32 :: v_dual_mov_b32 v27, v33
	s_waitcnt vmcnt(1)
	s_delay_alu instid0(VALU_DEP_1) | instskip(SKIP_1) | instid1(VALU_DEP_1)
	v_and_b32_e32 v8, v24, v26
	s_waitcnt vmcnt(0)
	v_mad_u64_u32 v[32:33], null, v8, 24, v[38:39]
	v_and_b32_e32 v38, v25, v27
	s_delay_alu instid0(VALU_DEP_2) | instskip(NEXT) | instid1(VALU_DEP_1)
	v_mov_b32_e32 v8, v33
	v_mad_u64_u32 v[24:25], null, v38, 24, v[8:9]
	s_delay_alu instid0(VALU_DEP_1)
	v_mov_b32_e32 v33, v24
	global_load_b64 v[24:25], v[32:33], off glc
	s_waitcnt vmcnt(0)
	global_atomic_cmpswap_b64 v[32:33], v9, v[24:27], s[2:3] offset:24 glc
	s_waitcnt vmcnt(0)
	buffer_gl1_inv
	buffer_gl0_inv
	v_cmp_eq_u64_e32 vcc_lo, v[32:33], v[26:27]
	s_or_b32 s5, vcc_lo, s5
	s_delay_alu instid0(SALU_CYCLE_1)
	s_and_not1_b32 exec_lo, exec_lo, s5
	s_cbranch_execnz .LBB1_90
; %bb.91:                               ;   in Loop: Header=BB1_31 Depth=1
	s_or_b32 exec_lo, exec_lo, s5
.LBB1_92:                               ;   in Loop: Header=BB1_31 Depth=1
	s_delay_alu instid0(SALU_CYCLE_1)
	s_or_b32 exec_lo, exec_lo, s4
.LBB1_93:                               ;   in Loop: Header=BB1_31 Depth=1
	s_delay_alu instid0(SALU_CYCLE_1)
	s_or_b32 exec_lo, exec_lo, s1
	s_clause 0x1
	global_load_b64 v[38:39], v9, s[2:3] offset:40
	global_load_b128 v[24:27], v9, s[2:3]
	v_readfirstlane_b32 s4, v32
	v_readfirstlane_b32 s5, v33
	s_mov_b32 s1, exec_lo
	s_waitcnt vmcnt(1)
	v_readfirstlane_b32 s6, v38
	v_readfirstlane_b32 s7, v39
	s_delay_alu instid0(VALU_DEP_1) | instskip(NEXT) | instid1(SALU_CYCLE_1)
	s_and_b64 s[6:7], s[4:5], s[6:7]
	s_mul_i32 s12, s7, 24
	s_mul_hi_u32 s13, s6, 24
	s_mul_i32 s14, s6, 24
	s_add_i32 s13, s13, s12
	s_waitcnt vmcnt(0)
	v_add_co_u32 v32, vcc_lo, v24, s14
	v_add_co_ci_u32_e32 v33, vcc_lo, s13, v25, vcc_lo
	s_and_saveexec_b32 s12, s0
	s_cbranch_execz .LBB1_95
; %bb.94:                               ;   in Loop: Header=BB1_31 Depth=1
	v_mov_b32_e32 v8, s1
	global_store_b128 v[32:33], v[8:11], off offset:8
.LBB1_95:                               ;   in Loop: Header=BB1_31 Depth=1
	s_or_b32 exec_lo, exec_lo, s12
	v_cmp_lt_u64_e32 vcc_lo, 56, v[28:29]
	v_or_b32_e32 v8, 0, v1
	v_or_b32_e32 v38, v0, v36
	v_lshl_add_u32 v39, v30, 2, 28
	s_lshl_b64 s[6:7], s[6:7], 12
	s_delay_alu instid0(SALU_CYCLE_1) | instskip(NEXT) | instid1(VALU_DEP_1)
	v_add_co_u32 v26, s1, v26, s6
	v_add_co_ci_u32_e64 v27, s1, s7, v27, s1
	v_dual_cndmask_b32 v1, v8, v1 :: v_dual_cndmask_b32 v0, v38, v0
	v_and_b32_e32 v8, 0x1e0, v39
	s_delay_alu instid0(VALU_DEP_4) | instskip(NEXT) | instid1(VALU_DEP_4)
	v_readfirstlane_b32 s6, v26
	v_readfirstlane_b32 s7, v27
	s_delay_alu instid0(VALU_DEP_3)
	v_and_or_b32 v0, 0xffffff1f, v0, v8
	s_clause 0x3
	global_store_b128 v34, v[0:3], s[6:7]
	global_store_b128 v34, v[12:15], s[6:7] offset:16
	global_store_b128 v34, v[16:19], s[6:7] offset:32
	;; [unrolled: 1-line block ×3, first 2 shown]
	s_and_saveexec_b32 s1, s0
	s_cbranch_execz .LBB1_103
; %bb.96:                               ;   in Loop: Header=BB1_31 Depth=1
	s_clause 0x1
	global_load_b64 v[16:17], v9, s[2:3] offset:32 glc
	global_load_b64 v[0:1], v9, s[2:3] offset:40
	v_dual_mov_b32 v14, s4 :: v_dual_mov_b32 v15, s5
	s_waitcnt vmcnt(0)
	v_readfirstlane_b32 s6, v0
	v_readfirstlane_b32 s7, v1
	s_delay_alu instid0(VALU_DEP_1) | instskip(NEXT) | instid1(SALU_CYCLE_1)
	s_and_b64 s[6:7], s[6:7], s[4:5]
	s_mul_i32 s7, s7, 24
	s_mul_hi_u32 s12, s6, 24
	s_mul_i32 s6, s6, 24
	s_add_i32 s12, s12, s7
	v_add_co_u32 v12, vcc_lo, v24, s6
	v_add_co_ci_u32_e32 v13, vcc_lo, s12, v25, vcc_lo
	s_mov_b32 s6, exec_lo
	global_store_b64 v[12:13], v[16:17], off
	s_waitcnt_vscnt null, 0x0
	global_atomic_cmpswap_b64 v[2:3], v9, v[14:17], s[2:3] offset:32 glc
	s_waitcnt vmcnt(0)
	v_cmpx_ne_u64_e64 v[2:3], v[16:17]
	s_cbranch_execz .LBB1_99
; %bb.97:                               ;   in Loop: Header=BB1_31 Depth=1
	s_mov_b32 s7, 0
.LBB1_98:                               ;   Parent Loop BB1_31 Depth=1
                                        ; =>  This Inner Loop Header: Depth=2
	v_dual_mov_b32 v0, s4 :: v_dual_mov_b32 v1, s5
	s_sleep 1
	global_store_b64 v[12:13], v[2:3], off
	s_waitcnt_vscnt null, 0x0
	global_atomic_cmpswap_b64 v[0:1], v9, v[0:3], s[2:3] offset:32 glc
	s_waitcnt vmcnt(0)
	v_cmp_eq_u64_e32 vcc_lo, v[0:1], v[2:3]
	v_dual_mov_b32 v3, v1 :: v_dual_mov_b32 v2, v0
	s_or_b32 s7, vcc_lo, s7
	s_delay_alu instid0(SALU_CYCLE_1)
	s_and_not1_b32 exec_lo, exec_lo, s7
	s_cbranch_execnz .LBB1_98
.LBB1_99:                               ;   in Loop: Header=BB1_31 Depth=1
	s_or_b32 exec_lo, exec_lo, s6
	global_load_b64 v[0:1], v9, s[2:3] offset:16
	s_mov_b32 s7, exec_lo
	s_mov_b32 s6, exec_lo
	v_mbcnt_lo_u32_b32 v2, s7, 0
	s_delay_alu instid0(VALU_DEP_1)
	v_cmpx_eq_u32_e32 0, v2
	s_cbranch_execz .LBB1_101
; %bb.100:                              ;   in Loop: Header=BB1_31 Depth=1
	s_bcnt1_i32_b32 s7, s7
	s_delay_alu instid0(SALU_CYCLE_1)
	v_mov_b32_e32 v8, s7
	s_waitcnt vmcnt(0)
	global_atomic_add_u64 v[0:1], v[8:9], off offset:8
.LBB1_101:                              ;   in Loop: Header=BB1_31 Depth=1
	s_or_b32 exec_lo, exec_lo, s6
	s_waitcnt vmcnt(0)
	global_load_b64 v[2:3], v[0:1], off offset:16
	s_waitcnt vmcnt(0)
	v_cmp_eq_u64_e32 vcc_lo, 0, v[2:3]
	s_cbranch_vccnz .LBB1_103
; %bb.102:                              ;   in Loop: Header=BB1_31 Depth=1
	global_load_b32 v8, v[0:1], off offset:24
	s_waitcnt vmcnt(0)
	v_and_b32_e32 v0, 0xffffff, v8
	s_waitcnt_vscnt null, 0x0
	global_store_b64 v[2:3], v[8:9], off
	v_readfirstlane_b32 m0, v0
	s_sendmsg sendmsg(MSG_INTERRUPT)
.LBB1_103:                              ;   in Loop: Header=BB1_31 Depth=1
	s_or_b32 exec_lo, exec_lo, s1
	v_add_co_u32 v0, vcc_lo, v26, v34
	v_add_co_ci_u32_e32 v1, vcc_lo, 0, v27, vcc_lo
	s_branch .LBB1_107
	.p2align	6
.LBB1_104:                              ;   in Loop: Header=BB1_107 Depth=2
	s_or_b32 exec_lo, exec_lo, s1
	s_delay_alu instid0(VALU_DEP_1) | instskip(NEXT) | instid1(VALU_DEP_1)
	v_readfirstlane_b32 s1, v2
	s_cmp_eq_u32 s1, 0
	s_cbranch_scc1 .LBB1_106
; %bb.105:                              ;   in Loop: Header=BB1_107 Depth=2
	s_sleep 1
	s_cbranch_execnz .LBB1_107
	s_branch .LBB1_109
	.p2align	6
.LBB1_106:                              ;   in Loop: Header=BB1_31 Depth=1
	s_branch .LBB1_109
.LBB1_107:                              ;   Parent Loop BB1_31 Depth=1
                                        ; =>  This Inner Loop Header: Depth=2
	v_mov_b32_e32 v2, 1
	s_and_saveexec_b32 s1, s0
	s_cbranch_execz .LBB1_104
; %bb.108:                              ;   in Loop: Header=BB1_107 Depth=2
	global_load_b32 v2, v[32:33], off offset:20 glc
	s_waitcnt vmcnt(0)
	buffer_gl1_inv
	buffer_gl0_inv
	v_and_b32_e32 v2, 1, v2
	s_branch .LBB1_104
.LBB1_109:                              ;   in Loop: Header=BB1_31 Depth=1
	global_load_b128 v[0:3], v[0:1], off
	s_and_saveexec_b32 s1, s0
	s_cbranch_execz .LBB1_30
; %bb.110:                              ;   in Loop: Header=BB1_31 Depth=1
	s_clause 0x2
	global_load_b64 v[2:3], v9, s[2:3] offset:40
	global_load_b64 v[16:17], v9, s[2:3] offset:24 glc
	global_load_b64 v[14:15], v9, s[2:3]
	s_waitcnt vmcnt(2)
	v_add_co_u32 v8, vcc_lo, v2, 1
	v_add_co_ci_u32_e32 v18, vcc_lo, 0, v3, vcc_lo
	s_delay_alu instid0(VALU_DEP_2) | instskip(NEXT) | instid1(VALU_DEP_2)
	v_add_co_u32 v12, vcc_lo, v8, s4
	v_add_co_ci_u32_e32 v13, vcc_lo, s5, v18, vcc_lo
	s_delay_alu instid0(VALU_DEP_1) | instskip(SKIP_1) | instid1(VALU_DEP_1)
	v_cmp_eq_u64_e32 vcc_lo, 0, v[12:13]
	v_dual_cndmask_b32 v13, v13, v18 :: v_dual_cndmask_b32 v12, v12, v8
	v_and_b32_e32 v3, v13, v3
	s_delay_alu instid0(VALU_DEP_2) | instskip(NEXT) | instid1(VALU_DEP_1)
	v_and_b32_e32 v2, v12, v2
	v_mul_hi_u32 v8, v2, 24
	v_mul_lo_u32 v2, v2, 24
	s_waitcnt vmcnt(0)
	s_delay_alu instid0(VALU_DEP_1) | instskip(SKIP_2) | instid1(VALU_DEP_1)
	v_add_co_u32 v2, vcc_lo, v14, v2
	v_mov_b32_e32 v14, v16
	v_mul_lo_u32 v3, v3, 24
	v_add_nc_u32_e32 v3, v8, v3
	s_delay_alu instid0(VALU_DEP_1)
	v_add_co_ci_u32_e32 v3, vcc_lo, v15, v3, vcc_lo
	v_mov_b32_e32 v15, v17
	global_store_b64 v[2:3], v[16:17], off
	s_waitcnt_vscnt null, 0x0
	global_atomic_cmpswap_b64 v[14:15], v9, v[12:15], s[2:3] offset:24 glc
	s_waitcnt vmcnt(0)
	v_cmp_ne_u64_e32 vcc_lo, v[14:15], v[16:17]
	s_and_b32 exec_lo, exec_lo, vcc_lo
	s_cbranch_execz .LBB1_30
; %bb.111:                              ;   in Loop: Header=BB1_31 Depth=1
	s_mov_b32 s0, 0
.LBB1_112:                              ;   Parent Loop BB1_31 Depth=1
                                        ; =>  This Inner Loop Header: Depth=2
	s_sleep 1
	global_store_b64 v[2:3], v[14:15], off
	s_waitcnt_vscnt null, 0x0
	global_atomic_cmpswap_b64 v[16:17], v9, v[12:15], s[2:3] offset:24 glc
	s_waitcnt vmcnt(0)
	v_cmp_eq_u64_e32 vcc_lo, v[16:17], v[14:15]
	v_dual_mov_b32 v14, v16 :: v_dual_mov_b32 v15, v17
	s_or_b32 s0, vcc_lo, s0
	s_delay_alu instid0(SALU_CYCLE_1)
	s_and_not1_b32 exec_lo, exec_lo, s0
	s_cbranch_execnz .LBB1_112
	s_branch .LBB1_30
.LBB1_113:
                                        ; implicit-def: $vgpr0_vgpr1
	s_cbranch_execnz .LBB1_115
	s_branch .LBB1_142
.LBB1_114:
	s_or_b32 exec_lo, exec_lo, s10
	s_branch .LBB1_142
.LBB1_115:
	v_readfirstlane_b32 s0, v35
	v_mov_b32_e32 v9, 0
	v_mov_b32_e32 v10, 0
	s_delay_alu instid0(VALU_DEP_3) | instskip(NEXT) | instid1(VALU_DEP_1)
	v_cmp_eq_u32_e64 s0, s0, v35
	s_and_saveexec_b32 s1, s0
	s_cbranch_execz .LBB1_121
; %bb.116:
	s_waitcnt vmcnt(0)
	v_mov_b32_e32 v0, 0
	s_mov_b32 s4, exec_lo
	global_load_b64 v[11:12], v0, s[2:3] offset:24 glc
	s_waitcnt vmcnt(0)
	buffer_gl1_inv
	buffer_gl0_inv
	s_clause 0x1
	global_load_b64 v[1:2], v0, s[2:3] offset:40
	global_load_b64 v[8:9], v0, s[2:3]
	s_waitcnt vmcnt(1)
	v_and_b32_e32 v1, v1, v11
	v_and_b32_e32 v2, v2, v12
	s_delay_alu instid0(VALU_DEP_2) | instskip(NEXT) | instid1(VALU_DEP_2)
	v_mul_hi_u32 v3, v1, 24
	v_mul_lo_u32 v2, v2, 24
	v_mul_lo_u32 v1, v1, 24
	s_delay_alu instid0(VALU_DEP_2) | instskip(SKIP_1) | instid1(VALU_DEP_2)
	v_add_nc_u32_e32 v2, v3, v2
	s_waitcnt vmcnt(0)
	v_add_co_u32 v1, vcc_lo, v8, v1
	s_delay_alu instid0(VALU_DEP_2)
	v_add_co_ci_u32_e32 v2, vcc_lo, v9, v2, vcc_lo
	global_load_b64 v[9:10], v[1:2], off glc
	s_waitcnt vmcnt(0)
	global_atomic_cmpswap_b64 v[9:10], v0, v[9:12], s[2:3] offset:24 glc
	s_waitcnt vmcnt(0)
	buffer_gl1_inv
	buffer_gl0_inv
	v_cmpx_ne_u64_e64 v[9:10], v[11:12]
	s_cbranch_execz .LBB1_120
; %bb.117:
	s_mov_b32 s5, 0
	.p2align	6
.LBB1_118:                              ; =>This Inner Loop Header: Depth=1
	s_sleep 1
	s_clause 0x1
	global_load_b64 v[1:2], v0, s[2:3] offset:40
	global_load_b64 v[13:14], v0, s[2:3]
	v_dual_mov_b32 v12, v10 :: v_dual_mov_b32 v11, v9
	s_waitcnt vmcnt(1)
	s_delay_alu instid0(VALU_DEP_1) | instskip(SKIP_1) | instid1(VALU_DEP_1)
	v_and_b32_e32 v1, v1, v11
	s_waitcnt vmcnt(0)
	v_mad_u64_u32 v[8:9], null, v1, 24, v[13:14]
	s_delay_alu instid0(VALU_DEP_1) | instskip(NEXT) | instid1(VALU_DEP_1)
	v_dual_mov_b32 v1, v9 :: v_dual_and_b32 v10, v2, v12
	v_mad_u64_u32 v[2:3], null, v10, 24, v[1:2]
	s_delay_alu instid0(VALU_DEP_1)
	v_mov_b32_e32 v9, v2
	global_load_b64 v[9:10], v[8:9], off glc
	s_waitcnt vmcnt(0)
	global_atomic_cmpswap_b64 v[9:10], v0, v[9:12], s[2:3] offset:24 glc
	s_waitcnt vmcnt(0)
	buffer_gl1_inv
	buffer_gl0_inv
	v_cmp_eq_u64_e32 vcc_lo, v[9:10], v[11:12]
	s_or_b32 s5, vcc_lo, s5
	s_delay_alu instid0(SALU_CYCLE_1)
	s_and_not1_b32 exec_lo, exec_lo, s5
	s_cbranch_execnz .LBB1_118
; %bb.119:
	s_or_b32 exec_lo, exec_lo, s5
.LBB1_120:
	s_delay_alu instid0(SALU_CYCLE_1)
	s_or_b32 exec_lo, exec_lo, s4
.LBB1_121:
	s_delay_alu instid0(SALU_CYCLE_1)
	s_or_b32 exec_lo, exec_lo, s1
	v_mov_b32_e32 v8, 0
	v_readfirstlane_b32 s4, v9
	v_readfirstlane_b32 s5, v10
	s_mov_b32 s1, exec_lo
	s_clause 0x1
	global_load_b64 v[11:12], v8, s[2:3] offset:40
	global_load_b128 v[0:3], v8, s[2:3]
	s_waitcnt vmcnt(1)
	v_readfirstlane_b32 s6, v11
	v_readfirstlane_b32 s7, v12
	s_delay_alu instid0(VALU_DEP_1) | instskip(NEXT) | instid1(SALU_CYCLE_1)
	s_and_b64 s[6:7], s[4:5], s[6:7]
	s_mul_i32 s10, s7, 24
	s_mul_hi_u32 s11, s6, 24
	s_mul_i32 s12, s6, 24
	s_add_i32 s11, s11, s10
	s_waitcnt vmcnt(0)
	v_add_co_u32 v10, vcc_lo, v0, s12
	v_add_co_ci_u32_e32 v11, vcc_lo, s11, v1, vcc_lo
	s_and_saveexec_b32 s10, s0
	s_cbranch_execz .LBB1_123
; %bb.122:
	v_dual_mov_b32 v12, s1 :: v_dual_mov_b32 v13, v8
	v_dual_mov_b32 v14, 2 :: v_dual_mov_b32 v15, 1
	global_store_b128 v[10:11], v[12:15], off offset:8
.LBB1_123:
	s_or_b32 exec_lo, exec_lo, s10
	s_lshl_b64 s[6:7], s[6:7], 12
	s_mov_b32 s12, 0
	v_add_co_u32 v2, vcc_lo, v2, s6
	v_add_co_ci_u32_e32 v3, vcc_lo, s7, v3, vcc_lo
	s_mov_b32 s15, s12
	s_delay_alu instid0(VALU_DEP_2)
	v_add_co_u32 v12, vcc_lo, v2, v34
	s_mov_b32 s13, s12
	s_mov_b32 s14, s12
	v_and_or_b32 v6, 0xffffff1f, v6, 32
	v_mov_b32_e32 v9, v8
	v_readfirstlane_b32 s6, v2
	v_readfirstlane_b32 s7, v3
	v_dual_mov_b32 v17, s15 :: v_dual_mov_b32 v14, s12
	v_add_co_ci_u32_e32 v13, vcc_lo, 0, v3, vcc_lo
	v_dual_mov_b32 v16, s14 :: v_dual_mov_b32 v15, s13
	s_clause 0x3
	global_store_b128 v34, v[6:9], s[6:7]
	global_store_b128 v34, v[14:17], s[6:7] offset:16
	global_store_b128 v34, v[14:17], s[6:7] offset:32
	;; [unrolled: 1-line block ×3, first 2 shown]
	s_and_saveexec_b32 s1, s0
	s_cbranch_execz .LBB1_131
; %bb.124:
	v_dual_mov_b32 v8, 0 :: v_dual_mov_b32 v15, s5
	v_mov_b32_e32 v14, s4
	s_clause 0x1
	global_load_b64 v[16:17], v8, s[2:3] offset:32 glc
	global_load_b64 v[2:3], v8, s[2:3] offset:40
	s_waitcnt vmcnt(0)
	v_readfirstlane_b32 s6, v2
	v_readfirstlane_b32 s7, v3
	s_delay_alu instid0(VALU_DEP_1) | instskip(NEXT) | instid1(SALU_CYCLE_1)
	s_and_b64 s[6:7], s[6:7], s[4:5]
	s_mul_i32 s7, s7, 24
	s_mul_hi_u32 s10, s6, 24
	s_mul_i32 s6, s6, 24
	s_add_i32 s10, s10, s7
	v_add_co_u32 v6, vcc_lo, v0, s6
	v_add_co_ci_u32_e32 v7, vcc_lo, s10, v1, vcc_lo
	s_mov_b32 s6, exec_lo
	global_store_b64 v[6:7], v[16:17], off
	s_waitcnt_vscnt null, 0x0
	global_atomic_cmpswap_b64 v[2:3], v8, v[14:17], s[2:3] offset:32 glc
	s_waitcnt vmcnt(0)
	v_cmpx_ne_u64_e64 v[2:3], v[16:17]
	s_cbranch_execz .LBB1_127
; %bb.125:
	s_mov_b32 s7, 0
.LBB1_126:                              ; =>This Inner Loop Header: Depth=1
	v_dual_mov_b32 v0, s4 :: v_dual_mov_b32 v1, s5
	s_sleep 1
	global_store_b64 v[6:7], v[2:3], off
	s_waitcnt_vscnt null, 0x0
	global_atomic_cmpswap_b64 v[0:1], v8, v[0:3], s[2:3] offset:32 glc
	s_waitcnt vmcnt(0)
	v_cmp_eq_u64_e32 vcc_lo, v[0:1], v[2:3]
	v_dual_mov_b32 v3, v1 :: v_dual_mov_b32 v2, v0
	s_or_b32 s7, vcc_lo, s7
	s_delay_alu instid0(SALU_CYCLE_1)
	s_and_not1_b32 exec_lo, exec_lo, s7
	s_cbranch_execnz .LBB1_126
.LBB1_127:
	s_or_b32 exec_lo, exec_lo, s6
	v_mov_b32_e32 v3, 0
	s_mov_b32 s7, exec_lo
	s_mov_b32 s6, exec_lo
	v_mbcnt_lo_u32_b32 v2, s7, 0
	global_load_b64 v[0:1], v3, s[2:3] offset:16
	v_cmpx_eq_u32_e32 0, v2
	s_cbranch_execz .LBB1_129
; %bb.128:
	s_bcnt1_i32_b32 s7, s7
	s_delay_alu instid0(SALU_CYCLE_1)
	v_mov_b32_e32 v2, s7
	s_waitcnt vmcnt(0)
	global_atomic_add_u64 v[0:1], v[2:3], off offset:8
.LBB1_129:
	s_or_b32 exec_lo, exec_lo, s6
	s_waitcnt vmcnt(0)
	global_load_b64 v[2:3], v[0:1], off offset:16
	s_waitcnt vmcnt(0)
	v_cmp_eq_u64_e32 vcc_lo, 0, v[2:3]
	s_cbranch_vccnz .LBB1_131
; %bb.130:
	global_load_b32 v0, v[0:1], off offset:24
	s_waitcnt vmcnt(0)
	v_dual_mov_b32 v1, 0 :: v_dual_and_b32 v6, 0xffffff, v0
	s_waitcnt_vscnt null, 0x0
	global_store_b64 v[2:3], v[0:1], off
	v_readfirstlane_b32 m0, v6
	s_sendmsg sendmsg(MSG_INTERRUPT)
.LBB1_131:
	s_or_b32 exec_lo, exec_lo, s1
	s_branch .LBB1_135
	.p2align	6
.LBB1_132:                              ;   in Loop: Header=BB1_135 Depth=1
	s_or_b32 exec_lo, exec_lo, s1
	s_delay_alu instid0(VALU_DEP_1) | instskip(NEXT) | instid1(VALU_DEP_1)
	v_readfirstlane_b32 s1, v0
	s_cmp_eq_u32 s1, 0
	s_cbranch_scc1 .LBB1_134
; %bb.133:                              ;   in Loop: Header=BB1_135 Depth=1
	s_sleep 1
	s_cbranch_execnz .LBB1_135
	s_branch .LBB1_137
	.p2align	6
.LBB1_134:
	s_branch .LBB1_137
.LBB1_135:                              ; =>This Inner Loop Header: Depth=1
	v_mov_b32_e32 v0, 1
	s_and_saveexec_b32 s1, s0
	s_cbranch_execz .LBB1_132
; %bb.136:                              ;   in Loop: Header=BB1_135 Depth=1
	global_load_b32 v0, v[10:11], off offset:20 glc
	s_waitcnt vmcnt(0)
	buffer_gl1_inv
	buffer_gl0_inv
	v_and_b32_e32 v0, 1, v0
	s_branch .LBB1_132
.LBB1_137:
	global_load_b64 v[0:1], v[12:13], off
	s_and_saveexec_b32 s1, s0
	s_cbranch_execz .LBB1_141
; %bb.138:
	v_mov_b32_e32 v10, 0
	s_clause 0x2
	global_load_b64 v[2:3], v10, s[2:3] offset:40
	global_load_b64 v[11:12], v10, s[2:3] offset:24 glc
	global_load_b64 v[8:9], v10, s[2:3]
	s_waitcnt vmcnt(2)
	v_add_co_u32 v13, vcc_lo, v2, 1
	v_add_co_ci_u32_e32 v14, vcc_lo, 0, v3, vcc_lo
	s_delay_alu instid0(VALU_DEP_2) | instskip(NEXT) | instid1(VALU_DEP_2)
	v_add_co_u32 v6, vcc_lo, v13, s4
	v_add_co_ci_u32_e32 v7, vcc_lo, s5, v14, vcc_lo
	s_delay_alu instid0(VALU_DEP_1) | instskip(SKIP_1) | instid1(VALU_DEP_1)
	v_cmp_eq_u64_e32 vcc_lo, 0, v[6:7]
	v_dual_cndmask_b32 v7, v7, v14 :: v_dual_cndmask_b32 v6, v6, v13
	v_and_b32_e32 v3, v7, v3
	s_delay_alu instid0(VALU_DEP_2) | instskip(NEXT) | instid1(VALU_DEP_2)
	v_and_b32_e32 v2, v6, v2
	v_mul_lo_u32 v3, v3, 24
	s_delay_alu instid0(VALU_DEP_2) | instskip(SKIP_1) | instid1(VALU_DEP_2)
	v_mul_hi_u32 v13, v2, 24
	v_mul_lo_u32 v2, v2, 24
	v_add_nc_u32_e32 v3, v13, v3
	s_waitcnt vmcnt(0)
	s_delay_alu instid0(VALU_DEP_2) | instskip(SKIP_1) | instid1(VALU_DEP_3)
	v_add_co_u32 v2, vcc_lo, v8, v2
	v_mov_b32_e32 v8, v11
	v_add_co_ci_u32_e32 v3, vcc_lo, v9, v3, vcc_lo
	v_mov_b32_e32 v9, v12
	global_store_b64 v[2:3], v[11:12], off
	s_waitcnt_vscnt null, 0x0
	global_atomic_cmpswap_b64 v[8:9], v10, v[6:9], s[2:3] offset:24 glc
	s_waitcnt vmcnt(0)
	v_cmp_ne_u64_e32 vcc_lo, v[8:9], v[11:12]
	s_and_b32 exec_lo, exec_lo, vcc_lo
	s_cbranch_execz .LBB1_141
; %bb.139:
	s_mov_b32 s0, 0
.LBB1_140:                              ; =>This Inner Loop Header: Depth=1
	s_sleep 1
	global_store_b64 v[2:3], v[8:9], off
	s_waitcnt_vscnt null, 0x0
	global_atomic_cmpswap_b64 v[11:12], v10, v[6:9], s[2:3] offset:24 glc
	s_waitcnt vmcnt(0)
	v_cmp_eq_u64_e32 vcc_lo, v[11:12], v[8:9]
	v_dual_mov_b32 v8, v11 :: v_dual_mov_b32 v9, v12
	s_or_b32 s0, vcc_lo, s0
	s_delay_alu instid0(SALU_CYCLE_1)
	s_and_not1_b32 exec_lo, exec_lo, s0
	s_cbranch_execnz .LBB1_140
.LBB1_141:
	s_or_b32 exec_lo, exec_lo, s1
.LBB1_142:
	s_getpc_b64 s[4:5]
	s_add_u32 s4, s4, .str.2@rel32@lo+4
	s_addc_u32 s5, s5, .str.2@rel32@hi+12
	s_delay_alu instid0(SALU_CYCLE_1)
	s_cmp_lg_u64 s[4:5], 0
	s_cbranch_scc0 .LBB1_220
; %bb.143:
	s_getpc_b64 s[0:1]
	s_add_u32 s0, s0, .str.2@rel32@lo+80
	s_addc_u32 s1, s1, .str.2@rel32@hi+88
	s_waitcnt vmcnt(0)
	v_dual_mov_b32 v10, 0 :: v_dual_and_b32 v33, 2, v0
	v_dual_mov_b32 v7, v1 :: v_dual_and_b32 v6, -3, v0
	v_dual_mov_b32 v11, 2 :: v_dual_mov_b32 v12, 1
	s_sub_i32 s6, s0, s4
	s_delay_alu instid0(SALU_CYCLE_1)
	s_ashr_i32 s7, s6, 31
	s_branch .LBB1_145
.LBB1_144:                              ;   in Loop: Header=BB1_145 Depth=1
	s_or_b32 exec_lo, exec_lo, s1
	s_sub_u32 s6, s6, s10
	s_subb_u32 s7, s7, s11
	s_add_u32 s4, s4, s10
	s_addc_u32 s5, s5, s11
	s_cmp_lg_u64 s[6:7], 0
	s_cbranch_scc0 .LBB1_221
.LBB1_145:                              ; =>This Loop Header: Depth=1
                                        ;     Child Loop BB1_154 Depth 2
                                        ;     Child Loop BB1_150 Depth 2
                                        ;     Child Loop BB1_162 Depth 2
                                        ;     Child Loop BB1_169 Depth 2
                                        ;     Child Loop BB1_176 Depth 2
                                        ;     Child Loop BB1_183 Depth 2
                                        ;     Child Loop BB1_190 Depth 2
                                        ;     Child Loop BB1_197 Depth 2
                                        ;     Child Loop BB1_205 Depth 2
                                        ;     Child Loop BB1_214 Depth 2
                                        ;     Child Loop BB1_219 Depth 2
	v_cmp_lt_u64_e64 s0, s[6:7], 56
	v_cmp_gt_u64_e64 s1, s[6:7], 7
                                        ; implicit-def: $vgpr15_vgpr16
                                        ; implicit-def: $sgpr16
	s_delay_alu instid0(VALU_DEP_2) | instskip(SKIP_2) | instid1(VALU_DEP_1)
	s_and_b32 s0, s0, exec_lo
	s_cselect_b32 s11, s7, 0
	s_cselect_b32 s10, s6, 56
	s_and_b32 vcc_lo, exec_lo, s1
	s_mov_b32 s0, -1
	s_cbranch_vccz .LBB1_152
; %bb.146:                              ;   in Loop: Header=BB1_145 Depth=1
	s_and_not1_b32 vcc_lo, exec_lo, s0
	s_mov_b64 s[0:1], s[4:5]
	s_cbranch_vccz .LBB1_156
.LBB1_147:                              ;   in Loop: Header=BB1_145 Depth=1
	s_cmp_gt_u32 s16, 7
	s_cbranch_scc1 .LBB1_157
.LBB1_148:                              ;   in Loop: Header=BB1_145 Depth=1
	v_mov_b32_e32 v17, 0
	v_mov_b32_e32 v18, 0
	s_cmp_eq_u32 s16, 0
	s_cbranch_scc1 .LBB1_151
; %bb.149:                              ;   in Loop: Header=BB1_145 Depth=1
	s_mov_b64 s[12:13], 0
	s_mov_b64 s[14:15], 0
.LBB1_150:                              ;   Parent Loop BB1_145 Depth=1
                                        ; =>  This Inner Loop Header: Depth=2
	s_delay_alu instid0(SALU_CYCLE_1)
	s_add_u32 s18, s0, s14
	s_addc_u32 s19, s1, s15
	s_add_u32 s14, s14, 1
	global_load_u8 v2, v10, s[18:19]
	s_addc_u32 s15, s15, 0
	s_waitcnt vmcnt(0)
	v_and_b32_e32 v9, 0xffff, v2
	s_delay_alu instid0(VALU_DEP_1) | instskip(SKIP_3) | instid1(VALU_DEP_1)
	v_lshlrev_b64 v[2:3], s12, v[9:10]
	s_add_u32 s12, s12, 8
	s_addc_u32 s13, s13, 0
	s_cmp_lg_u32 s16, s14
	v_or_b32_e32 v17, v2, v17
	s_delay_alu instid0(VALU_DEP_2)
	v_or_b32_e32 v18, v3, v18
	s_cbranch_scc1 .LBB1_150
.LBB1_151:                              ;   in Loop: Header=BB1_145 Depth=1
	s_mov_b32 s17, 0
	s_cbranch_execz .LBB1_158
	s_branch .LBB1_159
.LBB1_152:                              ;   in Loop: Header=BB1_145 Depth=1
	v_mov_b32_e32 v15, 0
	v_mov_b32_e32 v16, 0
	s_cmp_eq_u64 s[6:7], 0
	s_mov_b64 s[0:1], 0
	s_cbranch_scc1 .LBB1_155
; %bb.153:                              ;   in Loop: Header=BB1_145 Depth=1
	v_mov_b32_e32 v15, 0
	v_mov_b32_e32 v16, 0
	s_lshl_b64 s[12:13], s[10:11], 3
	s_mov_b64 s[14:15], s[4:5]
.LBB1_154:                              ;   Parent Loop BB1_145 Depth=1
                                        ; =>  This Inner Loop Header: Depth=2
	global_load_u8 v2, v10, s[14:15]
	s_waitcnt vmcnt(0)
	v_and_b32_e32 v9, 0xffff, v2
	s_delay_alu instid0(VALU_DEP_1)
	v_lshlrev_b64 v[2:3], s0, v[9:10]
	s_add_u32 s0, s0, 8
	s_addc_u32 s1, s1, 0
	s_add_u32 s14, s14, 1
	s_addc_u32 s15, s15, 0
	s_cmp_lg_u32 s12, s0
	v_or_b32_e32 v15, v2, v15
	v_or_b32_e32 v16, v3, v16
	s_cbranch_scc1 .LBB1_154
.LBB1_155:                              ;   in Loop: Header=BB1_145 Depth=1
	s_mov_b32 s16, 0
	s_mov_b64 s[0:1], s[4:5]
	s_cbranch_execnz .LBB1_147
.LBB1_156:                              ;   in Loop: Header=BB1_145 Depth=1
	global_load_b64 v[15:16], v10, s[4:5]
	s_add_i32 s16, s10, -8
	s_add_u32 s0, s4, 8
	s_addc_u32 s1, s5, 0
	s_cmp_gt_u32 s16, 7
	s_cbranch_scc0 .LBB1_148
.LBB1_157:                              ;   in Loop: Header=BB1_145 Depth=1
                                        ; implicit-def: $vgpr17_vgpr18
                                        ; implicit-def: $sgpr17
.LBB1_158:                              ;   in Loop: Header=BB1_145 Depth=1
	global_load_b64 v[17:18], v10, s[0:1]
	s_add_i32 s17, s16, -8
	s_add_u32 s0, s0, 8
	s_addc_u32 s1, s1, 0
.LBB1_159:                              ;   in Loop: Header=BB1_145 Depth=1
	s_cmp_gt_u32 s17, 7
	s_cbranch_scc1 .LBB1_164
; %bb.160:                              ;   in Loop: Header=BB1_145 Depth=1
	v_mov_b32_e32 v19, 0
	v_mov_b32_e32 v20, 0
	s_cmp_eq_u32 s17, 0
	s_cbranch_scc1 .LBB1_163
; %bb.161:                              ;   in Loop: Header=BB1_145 Depth=1
	s_mov_b64 s[12:13], 0
	s_mov_b64 s[14:15], 0
.LBB1_162:                              ;   Parent Loop BB1_145 Depth=1
                                        ; =>  This Inner Loop Header: Depth=2
	s_delay_alu instid0(SALU_CYCLE_1)
	s_add_u32 s18, s0, s14
	s_addc_u32 s19, s1, s15
	s_add_u32 s14, s14, 1
	global_load_u8 v2, v10, s[18:19]
	s_addc_u32 s15, s15, 0
	s_waitcnt vmcnt(0)
	v_and_b32_e32 v9, 0xffff, v2
	s_delay_alu instid0(VALU_DEP_1) | instskip(SKIP_3) | instid1(VALU_DEP_1)
	v_lshlrev_b64 v[2:3], s12, v[9:10]
	s_add_u32 s12, s12, 8
	s_addc_u32 s13, s13, 0
	s_cmp_lg_u32 s17, s14
	v_or_b32_e32 v19, v2, v19
	s_delay_alu instid0(VALU_DEP_2)
	v_or_b32_e32 v20, v3, v20
	s_cbranch_scc1 .LBB1_162
.LBB1_163:                              ;   in Loop: Header=BB1_145 Depth=1
	s_mov_b32 s16, 0
	s_cbranch_execz .LBB1_165
	s_branch .LBB1_166
.LBB1_164:                              ;   in Loop: Header=BB1_145 Depth=1
                                        ; implicit-def: $sgpr16
.LBB1_165:                              ;   in Loop: Header=BB1_145 Depth=1
	global_load_b64 v[19:20], v10, s[0:1]
	s_add_i32 s16, s17, -8
	s_add_u32 s0, s0, 8
	s_addc_u32 s1, s1, 0
.LBB1_166:                              ;   in Loop: Header=BB1_145 Depth=1
	s_cmp_gt_u32 s16, 7
	s_cbranch_scc1 .LBB1_171
; %bb.167:                              ;   in Loop: Header=BB1_145 Depth=1
	v_mov_b32_e32 v21, 0
	v_mov_b32_e32 v22, 0
	s_cmp_eq_u32 s16, 0
	s_cbranch_scc1 .LBB1_170
; %bb.168:                              ;   in Loop: Header=BB1_145 Depth=1
	s_mov_b64 s[12:13], 0
	s_mov_b64 s[14:15], 0
.LBB1_169:                              ;   Parent Loop BB1_145 Depth=1
                                        ; =>  This Inner Loop Header: Depth=2
	s_delay_alu instid0(SALU_CYCLE_1)
	s_add_u32 s18, s0, s14
	s_addc_u32 s19, s1, s15
	s_add_u32 s14, s14, 1
	global_load_u8 v2, v10, s[18:19]
	s_addc_u32 s15, s15, 0
	s_waitcnt vmcnt(0)
	v_and_b32_e32 v9, 0xffff, v2
	s_delay_alu instid0(VALU_DEP_1) | instskip(SKIP_3) | instid1(VALU_DEP_1)
	v_lshlrev_b64 v[2:3], s12, v[9:10]
	s_add_u32 s12, s12, 8
	s_addc_u32 s13, s13, 0
	s_cmp_lg_u32 s16, s14
	v_or_b32_e32 v21, v2, v21
	s_delay_alu instid0(VALU_DEP_2)
	v_or_b32_e32 v22, v3, v22
	s_cbranch_scc1 .LBB1_169
.LBB1_170:                              ;   in Loop: Header=BB1_145 Depth=1
	s_mov_b32 s17, 0
	s_cbranch_execz .LBB1_172
	s_branch .LBB1_173
.LBB1_171:                              ;   in Loop: Header=BB1_145 Depth=1
                                        ; implicit-def: $vgpr21_vgpr22
                                        ; implicit-def: $sgpr17
.LBB1_172:                              ;   in Loop: Header=BB1_145 Depth=1
	global_load_b64 v[21:22], v10, s[0:1]
	s_add_i32 s17, s16, -8
	s_add_u32 s0, s0, 8
	s_addc_u32 s1, s1, 0
.LBB1_173:                              ;   in Loop: Header=BB1_145 Depth=1
	s_cmp_gt_u32 s17, 7
	s_cbranch_scc1 .LBB1_178
; %bb.174:                              ;   in Loop: Header=BB1_145 Depth=1
	v_mov_b32_e32 v23, 0
	v_mov_b32_e32 v24, 0
	s_cmp_eq_u32 s17, 0
	s_cbranch_scc1 .LBB1_177
; %bb.175:                              ;   in Loop: Header=BB1_145 Depth=1
	s_mov_b64 s[12:13], 0
	s_mov_b64 s[14:15], 0
.LBB1_176:                              ;   Parent Loop BB1_145 Depth=1
                                        ; =>  This Inner Loop Header: Depth=2
	s_delay_alu instid0(SALU_CYCLE_1)
	s_add_u32 s18, s0, s14
	s_addc_u32 s19, s1, s15
	s_add_u32 s14, s14, 1
	global_load_u8 v2, v10, s[18:19]
	s_addc_u32 s15, s15, 0
	s_waitcnt vmcnt(0)
	v_and_b32_e32 v9, 0xffff, v2
	s_delay_alu instid0(VALU_DEP_1) | instskip(SKIP_3) | instid1(VALU_DEP_1)
	v_lshlrev_b64 v[2:3], s12, v[9:10]
	s_add_u32 s12, s12, 8
	s_addc_u32 s13, s13, 0
	s_cmp_lg_u32 s17, s14
	v_or_b32_e32 v23, v2, v23
	s_delay_alu instid0(VALU_DEP_2)
	v_or_b32_e32 v24, v3, v24
	s_cbranch_scc1 .LBB1_176
.LBB1_177:                              ;   in Loop: Header=BB1_145 Depth=1
	s_mov_b32 s16, 0
	s_cbranch_execz .LBB1_179
	s_branch .LBB1_180
.LBB1_178:                              ;   in Loop: Header=BB1_145 Depth=1
                                        ; implicit-def: $sgpr16
.LBB1_179:                              ;   in Loop: Header=BB1_145 Depth=1
	global_load_b64 v[23:24], v10, s[0:1]
	s_add_i32 s16, s17, -8
	s_add_u32 s0, s0, 8
	s_addc_u32 s1, s1, 0
.LBB1_180:                              ;   in Loop: Header=BB1_145 Depth=1
	s_cmp_gt_u32 s16, 7
	s_cbranch_scc1 .LBB1_185
; %bb.181:                              ;   in Loop: Header=BB1_145 Depth=1
	v_mov_b32_e32 v25, 0
	v_mov_b32_e32 v26, 0
	s_cmp_eq_u32 s16, 0
	s_cbranch_scc1 .LBB1_184
; %bb.182:                              ;   in Loop: Header=BB1_145 Depth=1
	s_mov_b64 s[12:13], 0
	s_mov_b64 s[14:15], 0
.LBB1_183:                              ;   Parent Loop BB1_145 Depth=1
                                        ; =>  This Inner Loop Header: Depth=2
	s_delay_alu instid0(SALU_CYCLE_1)
	s_add_u32 s18, s0, s14
	s_addc_u32 s19, s1, s15
	s_add_u32 s14, s14, 1
	global_load_u8 v2, v10, s[18:19]
	s_addc_u32 s15, s15, 0
	s_waitcnt vmcnt(0)
	v_and_b32_e32 v9, 0xffff, v2
	s_delay_alu instid0(VALU_DEP_1) | instskip(SKIP_3) | instid1(VALU_DEP_1)
	v_lshlrev_b64 v[2:3], s12, v[9:10]
	s_add_u32 s12, s12, 8
	s_addc_u32 s13, s13, 0
	s_cmp_lg_u32 s16, s14
	v_or_b32_e32 v25, v2, v25
	s_delay_alu instid0(VALU_DEP_2)
	v_or_b32_e32 v26, v3, v26
	s_cbranch_scc1 .LBB1_183
.LBB1_184:                              ;   in Loop: Header=BB1_145 Depth=1
	s_mov_b32 s17, 0
	s_cbranch_execz .LBB1_186
	s_branch .LBB1_187
.LBB1_185:                              ;   in Loop: Header=BB1_145 Depth=1
                                        ; implicit-def: $vgpr25_vgpr26
                                        ; implicit-def: $sgpr17
.LBB1_186:                              ;   in Loop: Header=BB1_145 Depth=1
	global_load_b64 v[25:26], v10, s[0:1]
	s_add_i32 s17, s16, -8
	s_add_u32 s0, s0, 8
	s_addc_u32 s1, s1, 0
.LBB1_187:                              ;   in Loop: Header=BB1_145 Depth=1
	s_cmp_gt_u32 s17, 7
	s_cbranch_scc1 .LBB1_192
; %bb.188:                              ;   in Loop: Header=BB1_145 Depth=1
	v_mov_b32_e32 v27, 0
	v_mov_b32_e32 v28, 0
	s_cmp_eq_u32 s17, 0
	s_cbranch_scc1 .LBB1_191
; %bb.189:                              ;   in Loop: Header=BB1_145 Depth=1
	s_mov_b64 s[12:13], 0
	s_mov_b64 s[14:15], s[0:1]
.LBB1_190:                              ;   Parent Loop BB1_145 Depth=1
                                        ; =>  This Inner Loop Header: Depth=2
	global_load_u8 v2, v10, s[14:15]
	s_add_i32 s17, s17, -1
	s_waitcnt vmcnt(0)
	v_and_b32_e32 v9, 0xffff, v2
	s_delay_alu instid0(VALU_DEP_1)
	v_lshlrev_b64 v[2:3], s12, v[9:10]
	s_add_u32 s12, s12, 8
	s_addc_u32 s13, s13, 0
	s_add_u32 s14, s14, 1
	s_addc_u32 s15, s15, 0
	s_cmp_lg_u32 s17, 0
	v_or_b32_e32 v27, v2, v27
	v_or_b32_e32 v28, v3, v28
	s_cbranch_scc1 .LBB1_190
.LBB1_191:                              ;   in Loop: Header=BB1_145 Depth=1
	s_cbranch_execz .LBB1_193
	s_branch .LBB1_194
.LBB1_192:                              ;   in Loop: Header=BB1_145 Depth=1
.LBB1_193:                              ;   in Loop: Header=BB1_145 Depth=1
	global_load_b64 v[27:28], v10, s[0:1]
.LBB1_194:                              ;   in Loop: Header=BB1_145 Depth=1
	v_readfirstlane_b32 s0, v35
	v_mov_b32_e32 v2, 0
	v_mov_b32_e32 v3, 0
	s_delay_alu instid0(VALU_DEP_3) | instskip(NEXT) | instid1(VALU_DEP_1)
	v_cmp_eq_u32_e64 s0, s0, v35
	s_and_saveexec_b32 s1, s0
	s_cbranch_execz .LBB1_200
; %bb.195:                              ;   in Loop: Header=BB1_145 Depth=1
	global_load_b64 v[31:32], v10, s[2:3] offset:24 glc
	s_waitcnt vmcnt(0)
	buffer_gl1_inv
	buffer_gl0_inv
	s_clause 0x1
	global_load_b64 v[2:3], v10, s[2:3] offset:40
	global_load_b64 v[8:9], v10, s[2:3]
	s_mov_b32 s12, exec_lo
	s_waitcnt vmcnt(1)
	v_and_b32_e32 v3, v3, v32
	v_and_b32_e32 v2, v2, v31
	s_delay_alu instid0(VALU_DEP_2) | instskip(NEXT) | instid1(VALU_DEP_2)
	v_mul_lo_u32 v3, v3, 24
	v_mul_hi_u32 v13, v2, 24
	v_mul_lo_u32 v2, v2, 24
	s_delay_alu instid0(VALU_DEP_2) | instskip(SKIP_1) | instid1(VALU_DEP_2)
	v_add_nc_u32_e32 v3, v13, v3
	s_waitcnt vmcnt(0)
	v_add_co_u32 v2, vcc_lo, v8, v2
	s_delay_alu instid0(VALU_DEP_2)
	v_add_co_ci_u32_e32 v3, vcc_lo, v9, v3, vcc_lo
	global_load_b64 v[29:30], v[2:3], off glc
	s_waitcnt vmcnt(0)
	global_atomic_cmpswap_b64 v[2:3], v10, v[29:32], s[2:3] offset:24 glc
	s_waitcnt vmcnt(0)
	buffer_gl1_inv
	buffer_gl0_inv
	v_cmpx_ne_u64_e64 v[2:3], v[31:32]
	s_cbranch_execz .LBB1_199
; %bb.196:                              ;   in Loop: Header=BB1_145 Depth=1
	s_mov_b32 s13, 0
	.p2align	6
.LBB1_197:                              ;   Parent Loop BB1_145 Depth=1
                                        ; =>  This Inner Loop Header: Depth=2
	s_sleep 1
	s_clause 0x1
	global_load_b64 v[8:9], v10, s[2:3] offset:40
	global_load_b64 v[13:14], v10, s[2:3]
	v_dual_mov_b32 v32, v3 :: v_dual_mov_b32 v31, v2
	s_waitcnt vmcnt(1)
	s_delay_alu instid0(VALU_DEP_1) | instskip(SKIP_1) | instid1(VALU_DEP_1)
	v_and_b32_e32 v8, v8, v31
	s_waitcnt vmcnt(0)
	v_mad_u64_u32 v[2:3], null, v8, 24, v[13:14]
	v_and_b32_e32 v13, v9, v32
	s_delay_alu instid0(VALU_DEP_1) | instskip(NEXT) | instid1(VALU_DEP_1)
	v_mad_u64_u32 v[8:9], null, v13, 24, v[3:4]
	v_mov_b32_e32 v3, v8
	global_load_b64 v[29:30], v[2:3], off glc
	s_waitcnt vmcnt(0)
	global_atomic_cmpswap_b64 v[2:3], v10, v[29:32], s[2:3] offset:24 glc
	s_waitcnt vmcnt(0)
	buffer_gl1_inv
	buffer_gl0_inv
	v_cmp_eq_u64_e32 vcc_lo, v[2:3], v[31:32]
	s_or_b32 s13, vcc_lo, s13
	s_delay_alu instid0(SALU_CYCLE_1)
	s_and_not1_b32 exec_lo, exec_lo, s13
	s_cbranch_execnz .LBB1_197
; %bb.198:                              ;   in Loop: Header=BB1_145 Depth=1
	s_or_b32 exec_lo, exec_lo, s13
.LBB1_199:                              ;   in Loop: Header=BB1_145 Depth=1
	s_delay_alu instid0(SALU_CYCLE_1)
	s_or_b32 exec_lo, exec_lo, s12
.LBB1_200:                              ;   in Loop: Header=BB1_145 Depth=1
	s_delay_alu instid0(SALU_CYCLE_1)
	s_or_b32 exec_lo, exec_lo, s1
	s_clause 0x1
	global_load_b64 v[8:9], v10, s[2:3] offset:40
	global_load_b128 v[29:32], v10, s[2:3]
	v_readfirstlane_b32 s12, v2
	v_readfirstlane_b32 s13, v3
	s_mov_b32 s1, exec_lo
	s_waitcnt vmcnt(1)
	v_readfirstlane_b32 s14, v8
	v_readfirstlane_b32 s15, v9
	s_delay_alu instid0(VALU_DEP_1) | instskip(NEXT) | instid1(SALU_CYCLE_1)
	s_and_b64 s[14:15], s[12:13], s[14:15]
	s_mul_i32 s16, s15, 24
	s_mul_hi_u32 s17, s14, 24
	s_mul_i32 s18, s14, 24
	s_add_i32 s17, s17, s16
	s_waitcnt vmcnt(0)
	v_add_co_u32 v2, vcc_lo, v29, s18
	v_add_co_ci_u32_e32 v3, vcc_lo, s17, v30, vcc_lo
	s_and_saveexec_b32 s16, s0
	s_cbranch_execz .LBB1_202
; %bb.201:                              ;   in Loop: Header=BB1_145 Depth=1
	v_mov_b32_e32 v9, s1
	global_store_b128 v[2:3], v[9:12], off offset:8
.LBB1_202:                              ;   in Loop: Header=BB1_145 Depth=1
	s_or_b32 exec_lo, exec_lo, s16
	s_lshl_b64 s[14:15], s[14:15], 12
	v_cmp_gt_u64_e64 vcc_lo, s[6:7], 56
	v_or_b32_e32 v9, v6, v33
	v_add_co_u32 v31, s1, v31, s14
	s_delay_alu instid0(VALU_DEP_1)
	v_add_co_ci_u32_e64 v32, s1, s15, v32, s1
	s_lshl_b32 s1, s10, 2
	v_or_b32_e32 v8, 0, v7
	v_cndmask_b32_e32 v6, v9, v6, vcc_lo
	s_add_i32 s1, s1, 28
	v_readfirstlane_b32 s14, v31
	s_and_b32 s1, s1, 0x1e0
	v_cndmask_b32_e32 v14, v8, v7, vcc_lo
	v_readfirstlane_b32 s15, v32
	v_and_or_b32 v13, 0xffffff1f, v6, s1
	s_clause 0x3
	global_store_b128 v34, v[13:16], s[14:15]
	global_store_b128 v34, v[17:20], s[14:15] offset:16
	global_store_b128 v34, v[21:24], s[14:15] offset:32
	;; [unrolled: 1-line block ×3, first 2 shown]
	s_and_saveexec_b32 s1, s0
	s_cbranch_execz .LBB1_210
; %bb.203:                              ;   in Loop: Header=BB1_145 Depth=1
	s_clause 0x1
	global_load_b64 v[17:18], v10, s[2:3] offset:32 glc
	global_load_b64 v[6:7], v10, s[2:3] offset:40
	v_dual_mov_b32 v15, s12 :: v_dual_mov_b32 v16, s13
	s_waitcnt vmcnt(0)
	v_readfirstlane_b32 s14, v6
	v_readfirstlane_b32 s15, v7
	s_delay_alu instid0(VALU_DEP_1) | instskip(NEXT) | instid1(SALU_CYCLE_1)
	s_and_b64 s[14:15], s[14:15], s[12:13]
	s_mul_i32 s15, s15, 24
	s_mul_hi_u32 s16, s14, 24
	s_mul_i32 s14, s14, 24
	s_add_i32 s16, s16, s15
	v_add_co_u32 v13, vcc_lo, v29, s14
	v_add_co_ci_u32_e32 v14, vcc_lo, s16, v30, vcc_lo
	s_mov_b32 s14, exec_lo
	global_store_b64 v[13:14], v[17:18], off
	s_waitcnt_vscnt null, 0x0
	global_atomic_cmpswap_b64 v[8:9], v10, v[15:18], s[2:3] offset:32 glc
	s_waitcnt vmcnt(0)
	v_cmpx_ne_u64_e64 v[8:9], v[17:18]
	s_cbranch_execz .LBB1_206
; %bb.204:                              ;   in Loop: Header=BB1_145 Depth=1
	s_mov_b32 s15, 0
.LBB1_205:                              ;   Parent Loop BB1_145 Depth=1
                                        ; =>  This Inner Loop Header: Depth=2
	v_dual_mov_b32 v6, s12 :: v_dual_mov_b32 v7, s13
	s_sleep 1
	global_store_b64 v[13:14], v[8:9], off
	s_waitcnt_vscnt null, 0x0
	global_atomic_cmpswap_b64 v[6:7], v10, v[6:9], s[2:3] offset:32 glc
	s_waitcnt vmcnt(0)
	v_cmp_eq_u64_e32 vcc_lo, v[6:7], v[8:9]
	v_dual_mov_b32 v9, v7 :: v_dual_mov_b32 v8, v6
	s_or_b32 s15, vcc_lo, s15
	s_delay_alu instid0(SALU_CYCLE_1)
	s_and_not1_b32 exec_lo, exec_lo, s15
	s_cbranch_execnz .LBB1_205
.LBB1_206:                              ;   in Loop: Header=BB1_145 Depth=1
	s_or_b32 exec_lo, exec_lo, s14
	global_load_b64 v[6:7], v10, s[2:3] offset:16
	s_mov_b32 s15, exec_lo
	s_mov_b32 s14, exec_lo
	v_mbcnt_lo_u32_b32 v8, s15, 0
	s_delay_alu instid0(VALU_DEP_1)
	v_cmpx_eq_u32_e32 0, v8
	s_cbranch_execz .LBB1_208
; %bb.207:                              ;   in Loop: Header=BB1_145 Depth=1
	s_bcnt1_i32_b32 s15, s15
	s_delay_alu instid0(SALU_CYCLE_1)
	v_mov_b32_e32 v9, s15
	s_waitcnt vmcnt(0)
	global_atomic_add_u64 v[6:7], v[9:10], off offset:8
.LBB1_208:                              ;   in Loop: Header=BB1_145 Depth=1
	s_or_b32 exec_lo, exec_lo, s14
	s_waitcnt vmcnt(0)
	global_load_b64 v[13:14], v[6:7], off offset:16
	s_waitcnt vmcnt(0)
	v_cmp_eq_u64_e32 vcc_lo, 0, v[13:14]
	s_cbranch_vccnz .LBB1_210
; %bb.209:                              ;   in Loop: Header=BB1_145 Depth=1
	global_load_b32 v9, v[6:7], off offset:24
	s_waitcnt vmcnt(0)
	v_and_b32_e32 v6, 0xffffff, v9
	s_waitcnt_vscnt null, 0x0
	global_store_b64 v[13:14], v[9:10], off
	v_readfirstlane_b32 m0, v6
	s_sendmsg sendmsg(MSG_INTERRUPT)
.LBB1_210:                              ;   in Loop: Header=BB1_145 Depth=1
	s_or_b32 exec_lo, exec_lo, s1
	v_add_co_u32 v6, vcc_lo, v31, v34
	v_add_co_ci_u32_e32 v7, vcc_lo, 0, v32, vcc_lo
	s_branch .LBB1_214
	.p2align	6
.LBB1_211:                              ;   in Loop: Header=BB1_214 Depth=2
	s_or_b32 exec_lo, exec_lo, s1
	s_delay_alu instid0(VALU_DEP_1) | instskip(NEXT) | instid1(VALU_DEP_1)
	v_readfirstlane_b32 s1, v8
	s_cmp_eq_u32 s1, 0
	s_cbranch_scc1 .LBB1_213
; %bb.212:                              ;   in Loop: Header=BB1_214 Depth=2
	s_sleep 1
	s_cbranch_execnz .LBB1_214
	s_branch .LBB1_216
	.p2align	6
.LBB1_213:                              ;   in Loop: Header=BB1_145 Depth=1
	s_branch .LBB1_216
.LBB1_214:                              ;   Parent Loop BB1_145 Depth=1
                                        ; =>  This Inner Loop Header: Depth=2
	v_mov_b32_e32 v8, 1
	s_and_saveexec_b32 s1, s0
	s_cbranch_execz .LBB1_211
; %bb.215:                              ;   in Loop: Header=BB1_214 Depth=2
	global_load_b32 v8, v[2:3], off offset:20 glc
	s_waitcnt vmcnt(0)
	buffer_gl1_inv
	buffer_gl0_inv
	v_and_b32_e32 v8, 1, v8
	s_branch .LBB1_211
.LBB1_216:                              ;   in Loop: Header=BB1_145 Depth=1
	global_load_b128 v[6:9], v[6:7], off
	s_and_saveexec_b32 s1, s0
	s_cbranch_execz .LBB1_144
; %bb.217:                              ;   in Loop: Header=BB1_145 Depth=1
	s_clause 0x2
	global_load_b64 v[2:3], v10, s[2:3] offset:40
	global_load_b64 v[8:9], v10, s[2:3] offset:24 glc
	global_load_b64 v[15:16], v10, s[2:3]
	s_waitcnt vmcnt(2)
	v_add_co_u32 v17, vcc_lo, v2, 1
	v_add_co_ci_u32_e32 v18, vcc_lo, 0, v3, vcc_lo
	s_delay_alu instid0(VALU_DEP_2) | instskip(NEXT) | instid1(VALU_DEP_2)
	v_add_co_u32 v13, vcc_lo, v17, s12
	v_add_co_ci_u32_e32 v14, vcc_lo, s13, v18, vcc_lo
	s_delay_alu instid0(VALU_DEP_1) | instskip(SKIP_1) | instid1(VALU_DEP_1)
	v_cmp_eq_u64_e32 vcc_lo, 0, v[13:14]
	v_dual_cndmask_b32 v14, v14, v18 :: v_dual_cndmask_b32 v13, v13, v17
	v_and_b32_e32 v3, v14, v3
	s_delay_alu instid0(VALU_DEP_2) | instskip(NEXT) | instid1(VALU_DEP_2)
	v_and_b32_e32 v2, v13, v2
	v_mul_lo_u32 v3, v3, 24
	s_delay_alu instid0(VALU_DEP_2) | instskip(SKIP_1) | instid1(VALU_DEP_2)
	v_mul_hi_u32 v17, v2, 24
	v_mul_lo_u32 v2, v2, 24
	v_add_nc_u32_e32 v3, v17, v3
	s_waitcnt vmcnt(0)
	s_delay_alu instid0(VALU_DEP_2) | instskip(SKIP_1) | instid1(VALU_DEP_3)
	v_add_co_u32 v2, vcc_lo, v15, v2
	v_mov_b32_e32 v15, v8
	v_add_co_ci_u32_e32 v3, vcc_lo, v16, v3, vcc_lo
	v_mov_b32_e32 v16, v9
	global_store_b64 v[2:3], v[8:9], off
	s_waitcnt_vscnt null, 0x0
	global_atomic_cmpswap_b64 v[15:16], v10, v[13:16], s[2:3] offset:24 glc
	s_waitcnt vmcnt(0)
	v_cmp_ne_u64_e32 vcc_lo, v[15:16], v[8:9]
	s_and_b32 exec_lo, exec_lo, vcc_lo
	s_cbranch_execz .LBB1_144
; %bb.218:                              ;   in Loop: Header=BB1_145 Depth=1
	s_mov_b32 s0, 0
.LBB1_219:                              ;   Parent Loop BB1_145 Depth=1
                                        ; =>  This Inner Loop Header: Depth=2
	s_sleep 1
	global_store_b64 v[2:3], v[15:16], off
	s_waitcnt_vscnt null, 0x0
	global_atomic_cmpswap_b64 v[8:9], v10, v[13:16], s[2:3] offset:24 glc
	s_waitcnt vmcnt(0)
	v_cmp_eq_u64_e32 vcc_lo, v[8:9], v[15:16]
	v_dual_mov_b32 v16, v9 :: v_dual_mov_b32 v15, v8
	s_or_b32 s0, vcc_lo, s0
	s_delay_alu instid0(SALU_CYCLE_1)
	s_and_not1_b32 exec_lo, exec_lo, s0
	s_cbranch_execnz .LBB1_219
	s_branch .LBB1_144
.LBB1_220:
                                        ; implicit-def: $vgpr6_vgpr7
	s_cbranch_execnz .LBB1_222
	s_branch .LBB1_249
.LBB1_221:
	s_branch .LBB1_249
.LBB1_222:
	v_readfirstlane_b32 s0, v35
	v_mov_b32_e32 v10, 0
	v_mov_b32_e32 v11, 0
	s_delay_alu instid0(VALU_DEP_3) | instskip(NEXT) | instid1(VALU_DEP_1)
	v_cmp_eq_u32_e64 s0, s0, v35
	s_and_saveexec_b32 s1, s0
	s_cbranch_execz .LBB1_228
; %bb.223:
	s_waitcnt vmcnt(0)
	v_mov_b32_e32 v2, 0
	s_mov_b32 s4, exec_lo
	global_load_b64 v[8:9], v2, s[2:3] offset:24 glc
	s_waitcnt vmcnt(0)
	buffer_gl1_inv
	buffer_gl0_inv
	s_clause 0x1
	global_load_b64 v[6:7], v2, s[2:3] offset:40
	global_load_b64 v[10:11], v2, s[2:3]
	s_waitcnt vmcnt(1)
	v_and_b32_e32 v3, v7, v9
	v_and_b32_e32 v6, v6, v8
	s_delay_alu instid0(VALU_DEP_2) | instskip(NEXT) | instid1(VALU_DEP_2)
	v_mul_lo_u32 v3, v3, 24
	v_mul_hi_u32 v7, v6, 24
	v_mul_lo_u32 v6, v6, 24
	s_delay_alu instid0(VALU_DEP_2) | instskip(SKIP_1) | instid1(VALU_DEP_2)
	v_add_nc_u32_e32 v3, v7, v3
	s_waitcnt vmcnt(0)
	v_add_co_u32 v6, vcc_lo, v10, v6
	s_delay_alu instid0(VALU_DEP_2)
	v_add_co_ci_u32_e32 v7, vcc_lo, v11, v3, vcc_lo
	global_load_b64 v[6:7], v[6:7], off glc
	s_waitcnt vmcnt(0)
	global_atomic_cmpswap_b64 v[10:11], v2, v[6:9], s[2:3] offset:24 glc
	s_waitcnt vmcnt(0)
	buffer_gl1_inv
	buffer_gl0_inv
	v_cmpx_ne_u64_e64 v[10:11], v[8:9]
	s_cbranch_execz .LBB1_227
; %bb.224:
	s_mov_b32 s5, 0
	.p2align	6
.LBB1_225:                              ; =>This Inner Loop Header: Depth=1
	s_sleep 1
	s_clause 0x1
	global_load_b64 v[6:7], v2, s[2:3] offset:40
	global_load_b64 v[12:13], v2, s[2:3]
	v_dual_mov_b32 v8, v10 :: v_dual_mov_b32 v9, v11
	s_waitcnt vmcnt(1)
	s_delay_alu instid0(VALU_DEP_1) | instskip(SKIP_1) | instid1(VALU_DEP_1)
	v_and_b32_e32 v3, v6, v8
	s_waitcnt vmcnt(0)
	v_mad_u64_u32 v[10:11], null, v3, 24, v[12:13]
	v_and_b32_e32 v12, v7, v9
	s_delay_alu instid0(VALU_DEP_2) | instskip(NEXT) | instid1(VALU_DEP_1)
	v_mov_b32_e32 v3, v11
	v_mad_u64_u32 v[6:7], null, v12, 24, v[3:4]
	s_delay_alu instid0(VALU_DEP_1)
	v_mov_b32_e32 v11, v6
	global_load_b64 v[6:7], v[10:11], off glc
	s_waitcnt vmcnt(0)
	global_atomic_cmpswap_b64 v[10:11], v2, v[6:9], s[2:3] offset:24 glc
	s_waitcnt vmcnt(0)
	buffer_gl1_inv
	buffer_gl0_inv
	v_cmp_eq_u64_e32 vcc_lo, v[10:11], v[8:9]
	s_or_b32 s5, vcc_lo, s5
	s_delay_alu instid0(SALU_CYCLE_1)
	s_and_not1_b32 exec_lo, exec_lo, s5
	s_cbranch_execnz .LBB1_225
; %bb.226:
	s_or_b32 exec_lo, exec_lo, s5
.LBB1_227:
	s_delay_alu instid0(SALU_CYCLE_1)
	s_or_b32 exec_lo, exec_lo, s4
.LBB1_228:
	s_delay_alu instid0(SALU_CYCLE_1)
	s_or_b32 exec_lo, exec_lo, s1
	s_waitcnt vmcnt(0)
	v_mov_b32_e32 v2, 0
	v_readfirstlane_b32 s4, v10
	v_readfirstlane_b32 s5, v11
	s_mov_b32 s1, exec_lo
	s_clause 0x1
	global_load_b64 v[12:13], v2, s[2:3] offset:40
	global_load_b128 v[6:9], v2, s[2:3]
	s_waitcnt vmcnt(1)
	v_readfirstlane_b32 s6, v12
	v_readfirstlane_b32 s7, v13
	s_delay_alu instid0(VALU_DEP_1) | instskip(NEXT) | instid1(SALU_CYCLE_1)
	s_and_b64 s[6:7], s[4:5], s[6:7]
	s_mul_i32 s10, s7, 24
	s_mul_hi_u32 s11, s6, 24
	s_mul_i32 s12, s6, 24
	s_add_i32 s11, s11, s10
	s_waitcnt vmcnt(0)
	v_add_co_u32 v10, vcc_lo, v6, s12
	v_add_co_ci_u32_e32 v11, vcc_lo, s11, v7, vcc_lo
	s_and_saveexec_b32 s10, s0
	s_cbranch_execz .LBB1_230
; %bb.229:
	v_dual_mov_b32 v12, s1 :: v_dual_mov_b32 v13, v2
	v_dual_mov_b32 v14, 2 :: v_dual_mov_b32 v15, 1
	global_store_b128 v[10:11], v[12:15], off offset:8
.LBB1_230:
	s_or_b32 exec_lo, exec_lo, s10
	s_lshl_b64 s[6:7], s[6:7], 12
	s_mov_b32 s12, 0
	v_add_co_u32 v8, vcc_lo, v8, s6
	v_add_co_ci_u32_e32 v9, vcc_lo, s7, v9, vcc_lo
	s_mov_b32 s13, s12
	s_delay_alu instid0(VALU_DEP_2)
	v_readfirstlane_b32 s6, v8
	v_add_co_u32 v8, vcc_lo, v8, v34
	s_mov_b32 s14, s12
	s_mov_b32 s15, s12
	v_and_or_b32 v0, 0xffffff1f, v0, 32
	v_dual_mov_b32 v3, v2 :: v_dual_mov_b32 v12, s12
	v_readfirstlane_b32 s7, v9
	v_add_co_ci_u32_e32 v9, vcc_lo, 0, v9, vcc_lo
	v_dual_mov_b32 v13, s13 :: v_dual_mov_b32 v14, s14
	v_mov_b32_e32 v15, s15
	s_clause 0x3
	global_store_b128 v34, v[0:3], s[6:7]
	global_store_b128 v34, v[12:15], s[6:7] offset:16
	global_store_b128 v34, v[12:15], s[6:7] offset:32
	;; [unrolled: 1-line block ×3, first 2 shown]
	s_and_saveexec_b32 s1, s0
	s_cbranch_execz .LBB1_238
; %bb.231:
	v_dual_mov_b32 v12, 0 :: v_dual_mov_b32 v13, s4
	v_mov_b32_e32 v14, s5
	s_clause 0x1
	global_load_b64 v[15:16], v12, s[2:3] offset:32 glc
	global_load_b64 v[0:1], v12, s[2:3] offset:40
	s_waitcnt vmcnt(0)
	v_readfirstlane_b32 s6, v0
	v_readfirstlane_b32 s7, v1
	s_delay_alu instid0(VALU_DEP_1) | instskip(NEXT) | instid1(SALU_CYCLE_1)
	s_and_b64 s[6:7], s[6:7], s[4:5]
	s_mul_i32 s7, s7, 24
	s_mul_hi_u32 s10, s6, 24
	s_mul_i32 s6, s6, 24
	s_add_i32 s10, s10, s7
	v_add_co_u32 v6, vcc_lo, v6, s6
	v_add_co_ci_u32_e32 v7, vcc_lo, s10, v7, vcc_lo
	s_mov_b32 s6, exec_lo
	global_store_b64 v[6:7], v[15:16], off
	s_waitcnt_vscnt null, 0x0
	global_atomic_cmpswap_b64 v[2:3], v12, v[13:16], s[2:3] offset:32 glc
	s_waitcnt vmcnt(0)
	v_cmpx_ne_u64_e64 v[2:3], v[15:16]
	s_cbranch_execz .LBB1_234
; %bb.232:
	s_mov_b32 s7, 0
.LBB1_233:                              ; =>This Inner Loop Header: Depth=1
	v_dual_mov_b32 v0, s4 :: v_dual_mov_b32 v1, s5
	s_sleep 1
	global_store_b64 v[6:7], v[2:3], off
	s_waitcnt_vscnt null, 0x0
	global_atomic_cmpswap_b64 v[0:1], v12, v[0:3], s[2:3] offset:32 glc
	s_waitcnt vmcnt(0)
	v_cmp_eq_u64_e32 vcc_lo, v[0:1], v[2:3]
	v_dual_mov_b32 v3, v1 :: v_dual_mov_b32 v2, v0
	s_or_b32 s7, vcc_lo, s7
	s_delay_alu instid0(SALU_CYCLE_1)
	s_and_not1_b32 exec_lo, exec_lo, s7
	s_cbranch_execnz .LBB1_233
.LBB1_234:
	s_or_b32 exec_lo, exec_lo, s6
	v_mov_b32_e32 v3, 0
	s_mov_b32 s7, exec_lo
	s_mov_b32 s6, exec_lo
	v_mbcnt_lo_u32_b32 v2, s7, 0
	global_load_b64 v[0:1], v3, s[2:3] offset:16
	v_cmpx_eq_u32_e32 0, v2
	s_cbranch_execz .LBB1_236
; %bb.235:
	s_bcnt1_i32_b32 s7, s7
	s_delay_alu instid0(SALU_CYCLE_1)
	v_mov_b32_e32 v2, s7
	s_waitcnt vmcnt(0)
	global_atomic_add_u64 v[0:1], v[2:3], off offset:8
.LBB1_236:
	s_or_b32 exec_lo, exec_lo, s6
	s_waitcnt vmcnt(0)
	global_load_b64 v[2:3], v[0:1], off offset:16
	s_waitcnt vmcnt(0)
	v_cmp_eq_u64_e32 vcc_lo, 0, v[2:3]
	s_cbranch_vccnz .LBB1_238
; %bb.237:
	global_load_b32 v0, v[0:1], off offset:24
	s_waitcnt vmcnt(0)
	v_dual_mov_b32 v1, 0 :: v_dual_and_b32 v6, 0xffffff, v0
	s_waitcnt_vscnt null, 0x0
	global_store_b64 v[2:3], v[0:1], off
	v_readfirstlane_b32 m0, v6
	s_sendmsg sendmsg(MSG_INTERRUPT)
.LBB1_238:
	s_or_b32 exec_lo, exec_lo, s1
	s_branch .LBB1_242
	.p2align	6
.LBB1_239:                              ;   in Loop: Header=BB1_242 Depth=1
	s_or_b32 exec_lo, exec_lo, s1
	s_delay_alu instid0(VALU_DEP_1) | instskip(NEXT) | instid1(VALU_DEP_1)
	v_readfirstlane_b32 s1, v0
	s_cmp_eq_u32 s1, 0
	s_cbranch_scc1 .LBB1_241
; %bb.240:                              ;   in Loop: Header=BB1_242 Depth=1
	s_sleep 1
	s_cbranch_execnz .LBB1_242
	s_branch .LBB1_244
	.p2align	6
.LBB1_241:
	s_branch .LBB1_244
.LBB1_242:                              ; =>This Inner Loop Header: Depth=1
	v_mov_b32_e32 v0, 1
	s_and_saveexec_b32 s1, s0
	s_cbranch_execz .LBB1_239
; %bb.243:                              ;   in Loop: Header=BB1_242 Depth=1
	global_load_b32 v0, v[10:11], off offset:20 glc
	s_waitcnt vmcnt(0)
	buffer_gl1_inv
	buffer_gl0_inv
	v_and_b32_e32 v0, 1, v0
	s_branch .LBB1_239
.LBB1_244:
	global_load_b64 v[6:7], v[8:9], off
	s_and_saveexec_b32 s1, s0
	s_cbranch_execz .LBB1_248
; %bb.245:
	v_mov_b32_e32 v10, 0
	s_clause 0x2
	global_load_b64 v[2:3], v10, s[2:3] offset:40
	global_load_b64 v[11:12], v10, s[2:3] offset:24 glc
	global_load_b64 v[8:9], v10, s[2:3]
	s_waitcnt vmcnt(2)
	v_add_co_u32 v13, vcc_lo, v2, 1
	v_add_co_ci_u32_e32 v14, vcc_lo, 0, v3, vcc_lo
	s_delay_alu instid0(VALU_DEP_2) | instskip(NEXT) | instid1(VALU_DEP_2)
	v_add_co_u32 v0, vcc_lo, v13, s4
	v_add_co_ci_u32_e32 v1, vcc_lo, s5, v14, vcc_lo
	s_delay_alu instid0(VALU_DEP_1) | instskip(SKIP_1) | instid1(VALU_DEP_1)
	v_cmp_eq_u64_e32 vcc_lo, 0, v[0:1]
	v_dual_cndmask_b32 v1, v1, v14 :: v_dual_cndmask_b32 v0, v0, v13
	v_and_b32_e32 v3, v1, v3
	s_delay_alu instid0(VALU_DEP_2) | instskip(NEXT) | instid1(VALU_DEP_2)
	v_and_b32_e32 v2, v0, v2
	v_mul_lo_u32 v3, v3, 24
	s_delay_alu instid0(VALU_DEP_2) | instskip(SKIP_1) | instid1(VALU_DEP_2)
	v_mul_hi_u32 v13, v2, 24
	v_mul_lo_u32 v2, v2, 24
	v_add_nc_u32_e32 v3, v13, v3
	s_waitcnt vmcnt(0)
	s_delay_alu instid0(VALU_DEP_2) | instskip(SKIP_1) | instid1(VALU_DEP_3)
	v_add_co_u32 v8, vcc_lo, v8, v2
	v_mov_b32_e32 v2, v11
	v_add_co_ci_u32_e32 v9, vcc_lo, v9, v3, vcc_lo
	v_mov_b32_e32 v3, v12
	global_store_b64 v[8:9], v[11:12], off
	s_waitcnt_vscnt null, 0x0
	global_atomic_cmpswap_b64 v[2:3], v10, v[0:3], s[2:3] offset:24 glc
	s_waitcnt vmcnt(0)
	v_cmp_ne_u64_e32 vcc_lo, v[2:3], v[11:12]
	s_and_b32 exec_lo, exec_lo, vcc_lo
	s_cbranch_execz .LBB1_248
; %bb.246:
	s_mov_b32 s0, 0
.LBB1_247:                              ; =>This Inner Loop Header: Depth=1
	s_sleep 1
	global_store_b64 v[8:9], v[2:3], off
	s_waitcnt_vscnt null, 0x0
	global_atomic_cmpswap_b64 v[11:12], v10, v[0:3], s[2:3] offset:24 glc
	s_waitcnt vmcnt(0)
	v_cmp_eq_u64_e32 vcc_lo, v[11:12], v[2:3]
	v_dual_mov_b32 v2, v11 :: v_dual_mov_b32 v3, v12
	s_or_b32 s0, vcc_lo, s0
	s_delay_alu instid0(SALU_CYCLE_1)
	s_and_not1_b32 exec_lo, exec_lo, s0
	s_cbranch_execnz .LBB1_247
.LBB1_248:
	s_or_b32 exec_lo, exec_lo, s1
.LBB1_249:
	v_readfirstlane_b32 s0, v35
	v_mov_b32_e32 v10, 0
	v_mov_b32_e32 v11, 0
	s_delay_alu instid0(VALU_DEP_3) | instskip(NEXT) | instid1(VALU_DEP_1)
	v_cmp_eq_u32_e64 s0, s0, v35
	s_and_saveexec_b32 s1, s0
	s_cbranch_execz .LBB1_255
; %bb.250:
	s_waitcnt vmcnt(0)
	v_mov_b32_e32 v0, 0
	s_mov_b32 s4, exec_lo
	global_load_b64 v[12:13], v0, s[2:3] offset:24 glc
	s_waitcnt vmcnt(0)
	buffer_gl1_inv
	buffer_gl0_inv
	s_clause 0x1
	global_load_b64 v[1:2], v0, s[2:3] offset:40
	global_load_b64 v[8:9], v0, s[2:3]
	s_waitcnt vmcnt(1)
	v_and_b32_e32 v1, v1, v12
	v_and_b32_e32 v2, v2, v13
	s_delay_alu instid0(VALU_DEP_2) | instskip(NEXT) | instid1(VALU_DEP_2)
	v_mul_hi_u32 v3, v1, 24
	v_mul_lo_u32 v2, v2, 24
	v_mul_lo_u32 v1, v1, 24
	s_delay_alu instid0(VALU_DEP_2) | instskip(SKIP_1) | instid1(VALU_DEP_2)
	v_add_nc_u32_e32 v2, v3, v2
	s_waitcnt vmcnt(0)
	v_add_co_u32 v1, vcc_lo, v8, v1
	s_delay_alu instid0(VALU_DEP_2)
	v_add_co_ci_u32_e32 v2, vcc_lo, v9, v2, vcc_lo
	global_load_b64 v[10:11], v[1:2], off glc
	s_waitcnt vmcnt(0)
	global_atomic_cmpswap_b64 v[10:11], v0, v[10:13], s[2:3] offset:24 glc
	s_waitcnt vmcnt(0)
	buffer_gl1_inv
	buffer_gl0_inv
	v_cmpx_ne_u64_e64 v[10:11], v[12:13]
	s_cbranch_execz .LBB1_254
; %bb.251:
	s_mov_b32 s5, 0
	.p2align	6
.LBB1_252:                              ; =>This Inner Loop Header: Depth=1
	s_sleep 1
	s_clause 0x1
	global_load_b64 v[1:2], v0, s[2:3] offset:40
	global_load_b64 v[8:9], v0, s[2:3]
	v_dual_mov_b32 v13, v11 :: v_dual_mov_b32 v12, v10
	s_waitcnt vmcnt(1)
	s_delay_alu instid0(VALU_DEP_1) | instskip(SKIP_1) | instid1(VALU_DEP_1)
	v_and_b32_e32 v1, v1, v12
	s_waitcnt vmcnt(0)
	v_mad_u64_u32 v[10:11], null, v1, 24, v[8:9]
	s_delay_alu instid0(VALU_DEP_1) | instskip(NEXT) | instid1(VALU_DEP_1)
	v_dual_mov_b32 v1, v11 :: v_dual_and_b32 v8, v2, v13
	v_mad_u64_u32 v[2:3], null, v8, 24, v[1:2]
	s_delay_alu instid0(VALU_DEP_1)
	v_mov_b32_e32 v11, v2
	global_load_b64 v[10:11], v[10:11], off glc
	s_waitcnt vmcnt(0)
	global_atomic_cmpswap_b64 v[10:11], v0, v[10:13], s[2:3] offset:24 glc
	s_waitcnt vmcnt(0)
	buffer_gl1_inv
	buffer_gl0_inv
	v_cmp_eq_u64_e32 vcc_lo, v[10:11], v[12:13]
	s_or_b32 s5, vcc_lo, s5
	s_delay_alu instid0(SALU_CYCLE_1)
	s_and_not1_b32 exec_lo, exec_lo, s5
	s_cbranch_execnz .LBB1_252
; %bb.253:
	s_or_b32 exec_lo, exec_lo, s5
.LBB1_254:
	s_delay_alu instid0(SALU_CYCLE_1)
	s_or_b32 exec_lo, exec_lo, s4
.LBB1_255:
	s_delay_alu instid0(SALU_CYCLE_1)
	s_or_b32 exec_lo, exec_lo, s1
	s_waitcnt vmcnt(0)
	v_mov_b32_e32 v9, 0
	v_readfirstlane_b32 s4, v10
	v_readfirstlane_b32 s5, v11
	s_mov_b32 s1, exec_lo
	s_clause 0x1
	global_load_b64 v[12:13], v9, s[2:3] offset:40
	global_load_b128 v[0:3], v9, s[2:3]
	s_waitcnt vmcnt(1)
	v_readfirstlane_b32 s6, v12
	v_readfirstlane_b32 s7, v13
	s_delay_alu instid0(VALU_DEP_1) | instskip(NEXT) | instid1(SALU_CYCLE_1)
	s_and_b64 s[6:7], s[4:5], s[6:7]
	s_mul_i32 s10, s7, 24
	s_mul_hi_u32 s11, s6, 24
	s_mul_i32 s12, s6, 24
	s_add_i32 s11, s11, s10
	s_waitcnt vmcnt(0)
	v_add_co_u32 v10, vcc_lo, v0, s12
	v_add_co_ci_u32_e32 v11, vcc_lo, s11, v1, vcc_lo
	s_and_saveexec_b32 s10, s0
	s_cbranch_execz .LBB1_257
; %bb.256:
	v_dual_mov_b32 v8, s1 :: v_dual_mov_b32 v15, 1
	v_dual_mov_b32 v14, 2 :: v_dual_mov_b32 v13, v9
	s_delay_alu instid0(VALU_DEP_2)
	v_mov_b32_e32 v12, v8
	global_store_b128 v[10:11], v[12:15], off offset:8
.LBB1_257:
	s_or_b32 exec_lo, exec_lo, s10
	s_lshl_b64 s[6:7], s[6:7], 12
	s_mov_b32 s12, 0
	v_add_co_u32 v2, vcc_lo, v2, s6
	v_add_co_ci_u32_e32 v3, vcc_lo, s7, v3, vcc_lo
	s_mov_b32 s15, s12
	s_delay_alu instid0(VALU_DEP_2)
	v_add_co_u32 v12, vcc_lo, v2, v34
	s_mov_b32 s13, s12
	s_mov_b32 s14, s12
	v_and_or_b32 v6, 0xffffff1f, v6, 32
	v_dual_mov_b32 v8, 0x331 :: v_dual_mov_b32 v17, s15
	v_readfirstlane_b32 s6, v2
	v_readfirstlane_b32 s7, v3
	v_add_co_ci_u32_e32 v13, vcc_lo, 0, v3, vcc_lo
	v_dual_mov_b32 v16, s14 :: v_dual_mov_b32 v15, s13
	v_mov_b32_e32 v14, s12
	s_clause 0x3
	global_store_b128 v34, v[6:9], s[6:7]
	global_store_b128 v34, v[14:17], s[6:7] offset:16
	global_store_b128 v34, v[14:17], s[6:7] offset:32
	;; [unrolled: 1-line block ×3, first 2 shown]
	s_and_saveexec_b32 s1, s0
	s_cbranch_execz .LBB1_265
; %bb.258:
	v_dual_mov_b32 v8, 0 :: v_dual_mov_b32 v15, s5
	v_mov_b32_e32 v14, s4
	s_clause 0x1
	global_load_b64 v[16:17], v8, s[2:3] offset:32 glc
	global_load_b64 v[2:3], v8, s[2:3] offset:40
	s_waitcnt vmcnt(0)
	v_readfirstlane_b32 s6, v2
	v_readfirstlane_b32 s7, v3
	s_delay_alu instid0(VALU_DEP_1) | instskip(NEXT) | instid1(SALU_CYCLE_1)
	s_and_b64 s[6:7], s[6:7], s[4:5]
	s_mul_i32 s7, s7, 24
	s_mul_hi_u32 s10, s6, 24
	s_mul_i32 s6, s6, 24
	s_add_i32 s10, s10, s7
	v_add_co_u32 v6, vcc_lo, v0, s6
	v_add_co_ci_u32_e32 v7, vcc_lo, s10, v1, vcc_lo
	s_mov_b32 s6, exec_lo
	global_store_b64 v[6:7], v[16:17], off
	s_waitcnt_vscnt null, 0x0
	global_atomic_cmpswap_b64 v[2:3], v8, v[14:17], s[2:3] offset:32 glc
	s_waitcnt vmcnt(0)
	v_cmpx_ne_u64_e64 v[2:3], v[16:17]
	s_cbranch_execz .LBB1_261
; %bb.259:
	s_mov_b32 s7, 0
.LBB1_260:                              ; =>This Inner Loop Header: Depth=1
	v_dual_mov_b32 v0, s4 :: v_dual_mov_b32 v1, s5
	s_sleep 1
	global_store_b64 v[6:7], v[2:3], off
	s_waitcnt_vscnt null, 0x0
	global_atomic_cmpswap_b64 v[0:1], v8, v[0:3], s[2:3] offset:32 glc
	s_waitcnt vmcnt(0)
	v_cmp_eq_u64_e32 vcc_lo, v[0:1], v[2:3]
	v_dual_mov_b32 v3, v1 :: v_dual_mov_b32 v2, v0
	s_or_b32 s7, vcc_lo, s7
	s_delay_alu instid0(SALU_CYCLE_1)
	s_and_not1_b32 exec_lo, exec_lo, s7
	s_cbranch_execnz .LBB1_260
.LBB1_261:
	s_or_b32 exec_lo, exec_lo, s6
	v_mov_b32_e32 v3, 0
	s_mov_b32 s7, exec_lo
	s_mov_b32 s6, exec_lo
	v_mbcnt_lo_u32_b32 v2, s7, 0
	global_load_b64 v[0:1], v3, s[2:3] offset:16
	v_cmpx_eq_u32_e32 0, v2
	s_cbranch_execz .LBB1_263
; %bb.262:
	s_bcnt1_i32_b32 s7, s7
	s_delay_alu instid0(SALU_CYCLE_1)
	v_mov_b32_e32 v2, s7
	s_waitcnt vmcnt(0)
	global_atomic_add_u64 v[0:1], v[2:3], off offset:8
.LBB1_263:
	s_or_b32 exec_lo, exec_lo, s6
	s_waitcnt vmcnt(0)
	global_load_b64 v[2:3], v[0:1], off offset:16
	s_waitcnt vmcnt(0)
	v_cmp_eq_u64_e32 vcc_lo, 0, v[2:3]
	s_cbranch_vccnz .LBB1_265
; %bb.264:
	global_load_b32 v0, v[0:1], off offset:24
	s_waitcnt vmcnt(0)
	v_dual_mov_b32 v1, 0 :: v_dual_and_b32 v6, 0xffffff, v0
	s_waitcnt_vscnt null, 0x0
	global_store_b64 v[2:3], v[0:1], off
	v_readfirstlane_b32 m0, v6
	s_sendmsg sendmsg(MSG_INTERRUPT)
.LBB1_265:
	s_or_b32 exec_lo, exec_lo, s1
	s_branch .LBB1_269
	.p2align	6
.LBB1_266:                              ;   in Loop: Header=BB1_269 Depth=1
	s_or_b32 exec_lo, exec_lo, s1
	s_delay_alu instid0(VALU_DEP_1) | instskip(NEXT) | instid1(VALU_DEP_1)
	v_readfirstlane_b32 s1, v0
	s_cmp_eq_u32 s1, 0
	s_cbranch_scc1 .LBB1_268
; %bb.267:                              ;   in Loop: Header=BB1_269 Depth=1
	s_sleep 1
	s_cbranch_execnz .LBB1_269
	s_branch .LBB1_271
	.p2align	6
.LBB1_268:
	s_branch .LBB1_271
.LBB1_269:                              ; =>This Inner Loop Header: Depth=1
	v_mov_b32_e32 v0, 1
	s_and_saveexec_b32 s1, s0
	s_cbranch_execz .LBB1_266
; %bb.270:                              ;   in Loop: Header=BB1_269 Depth=1
	global_load_b32 v0, v[10:11], off offset:20 glc
	s_waitcnt vmcnt(0)
	buffer_gl1_inv
	buffer_gl0_inv
	v_and_b32_e32 v0, 1, v0
	s_branch .LBB1_266
.LBB1_271:
	global_load_b64 v[0:1], v[12:13], off
	s_and_saveexec_b32 s1, s0
	s_cbranch_execz .LBB1_275
; %bb.272:
	v_mov_b32_e32 v10, 0
	s_clause 0x2
	global_load_b64 v[2:3], v10, s[2:3] offset:40
	global_load_b64 v[11:12], v10, s[2:3] offset:24 glc
	global_load_b64 v[8:9], v10, s[2:3]
	s_waitcnt vmcnt(2)
	v_add_co_u32 v13, vcc_lo, v2, 1
	v_add_co_ci_u32_e32 v14, vcc_lo, 0, v3, vcc_lo
	s_delay_alu instid0(VALU_DEP_2) | instskip(NEXT) | instid1(VALU_DEP_2)
	v_add_co_u32 v6, vcc_lo, v13, s4
	v_add_co_ci_u32_e32 v7, vcc_lo, s5, v14, vcc_lo
	s_delay_alu instid0(VALU_DEP_1) | instskip(SKIP_1) | instid1(VALU_DEP_1)
	v_cmp_eq_u64_e32 vcc_lo, 0, v[6:7]
	v_dual_cndmask_b32 v7, v7, v14 :: v_dual_cndmask_b32 v6, v6, v13
	v_and_b32_e32 v3, v7, v3
	s_delay_alu instid0(VALU_DEP_2) | instskip(NEXT) | instid1(VALU_DEP_2)
	v_and_b32_e32 v2, v6, v2
	v_mul_lo_u32 v3, v3, 24
	s_delay_alu instid0(VALU_DEP_2) | instskip(SKIP_1) | instid1(VALU_DEP_2)
	v_mul_hi_u32 v13, v2, 24
	v_mul_lo_u32 v2, v2, 24
	v_add_nc_u32_e32 v3, v13, v3
	s_waitcnt vmcnt(0)
	s_delay_alu instid0(VALU_DEP_2) | instskip(SKIP_1) | instid1(VALU_DEP_3)
	v_add_co_u32 v2, vcc_lo, v8, v2
	v_mov_b32_e32 v8, v11
	v_add_co_ci_u32_e32 v3, vcc_lo, v9, v3, vcc_lo
	v_mov_b32_e32 v9, v12
	global_store_b64 v[2:3], v[11:12], off
	s_waitcnt_vscnt null, 0x0
	global_atomic_cmpswap_b64 v[8:9], v10, v[6:9], s[2:3] offset:24 glc
	s_waitcnt vmcnt(0)
	v_cmp_ne_u64_e32 vcc_lo, v[8:9], v[11:12]
	s_and_b32 exec_lo, exec_lo, vcc_lo
	s_cbranch_execz .LBB1_275
; %bb.273:
	s_mov_b32 s0, 0
.LBB1_274:                              ; =>This Inner Loop Header: Depth=1
	s_sleep 1
	global_store_b64 v[2:3], v[8:9], off
	s_waitcnt_vscnt null, 0x0
	global_atomic_cmpswap_b64 v[11:12], v10, v[6:9], s[2:3] offset:24 glc
	s_waitcnt vmcnt(0)
	v_cmp_eq_u64_e32 vcc_lo, v[11:12], v[8:9]
	v_dual_mov_b32 v8, v11 :: v_dual_mov_b32 v9, v12
	s_or_b32 s0, vcc_lo, s0
	s_delay_alu instid0(SALU_CYCLE_1)
	s_and_not1_b32 exec_lo, exec_lo, s0
	s_cbranch_execnz .LBB1_274
.LBB1_275:
	s_or_b32 exec_lo, exec_lo, s1
	v_dual_mov_b32 v7, v5 :: v_dual_mov_b32 v6, v4
	s_mov_b32 s0, 0
.LBB1_276:                              ; =>This Inner Loop Header: Depth=1
	flat_load_u8 v8, v[6:7]
	v_add_co_u32 v2, vcc_lo, v6, 1
	v_add_co_ci_u32_e32 v3, vcc_lo, 0, v7, vcc_lo
	s_delay_alu instid0(VALU_DEP_1) | instskip(SKIP_3) | instid1(SALU_CYCLE_1)
	v_dual_mov_b32 v7, v3 :: v_dual_mov_b32 v6, v2
	s_waitcnt vmcnt(0) lgkmcnt(0)
	v_cmp_eq_u16_e32 vcc_lo, 0, v8
	s_or_b32 s0, vcc_lo, s0
	s_and_not1_b32 exec_lo, exec_lo, s0
	s_cbranch_execnz .LBB1_276
; %bb.277:
	s_or_b32 exec_lo, exec_lo, s0
	s_delay_alu instid0(SALU_CYCLE_1)
	s_mov_b32 s0, exec_lo
	v_cmpx_ne_u64_e32 0, v[4:5]
	s_xor_b32 s10, exec_lo, s0
	s_cbranch_execz .LBB1_363
; %bb.278:
	v_sub_nc_u32_e32 v26, v2, v4
	v_dual_mov_b32 v7, 0 :: v_dual_and_b32 v32, 2, v0
	v_dual_mov_b32 v9, 1 :: v_dual_and_b32 v0, -3, v0
	v_mov_b32_e32 v8, 2
	s_delay_alu instid0(VALU_DEP_4)
	v_ashrrev_i32_e32 v27, 31, v26
	s_mov_b32 s12, 0
	s_mov_b32 s11, 0
	s_branch .LBB1_280
.LBB1_279:                              ;   in Loop: Header=BB1_280 Depth=1
	s_or_b32 exec_lo, exec_lo, s1
	v_sub_co_u32 v26, vcc_lo, v26, v28
	v_sub_co_ci_u32_e32 v27, vcc_lo, v27, v29, vcc_lo
	v_add_co_u32 v4, s0, v4, v28
	s_delay_alu instid0(VALU_DEP_1) | instskip(NEXT) | instid1(VALU_DEP_3)
	v_add_co_ci_u32_e64 v5, s0, v5, v29, s0
	v_cmp_eq_u64_e32 vcc_lo, 0, v[26:27]
	s_or_b32 s11, vcc_lo, s11
	s_delay_alu instid0(SALU_CYCLE_1)
	s_and_not1_b32 exec_lo, exec_lo, s11
	s_cbranch_execz .LBB1_362
.LBB1_280:                              ; =>This Loop Header: Depth=1
                                        ;     Child Loop BB1_283 Depth 2
                                        ;     Child Loop BB1_291 Depth 2
	;; [unrolled: 1-line block ×11, first 2 shown]
	s_delay_alu instid0(VALU_DEP_1)
	v_cmp_gt_u64_e32 vcc_lo, 56, v[26:27]
	s_mov_b32 s1, exec_lo
                                        ; implicit-def: $vgpr2_vgpr3
                                        ; implicit-def: $sgpr4
	v_dual_cndmask_b32 v29, 0, v27 :: v_dual_cndmask_b32 v28, 56, v26
	v_cmpx_gt_u64_e32 8, v[26:27]
	s_xor_b32 s1, exec_lo, s1
	s_cbranch_execz .LBB1_286
; %bb.281:                              ;   in Loop: Header=BB1_280 Depth=1
	s_waitcnt vmcnt(0)
	v_mov_b32_e32 v2, 0
	v_mov_b32_e32 v3, 0
	s_mov_b64 s[4:5], 0
	s_mov_b32 s6, exec_lo
	v_cmpx_ne_u64_e32 0, v[26:27]
	s_cbranch_execz .LBB1_285
; %bb.282:                              ;   in Loop: Header=BB1_280 Depth=1
	v_lshlrev_b64 v[10:11], 3, v[28:29]
	v_mov_b32_e32 v2, 0
	v_dual_mov_b32 v3, 0 :: v_dual_mov_b32 v12, v5
	v_mov_b32_e32 v11, v4
	s_mov_b32 s7, 0
	.p2align	6
.LBB1_283:                              ;   Parent Loop BB1_280 Depth=1
                                        ; =>  This Inner Loop Header: Depth=2
	flat_load_u8 v6, v[11:12]
	v_mov_b32_e32 v14, s12
	v_add_co_u32 v11, vcc_lo, v11, 1
	v_add_co_ci_u32_e32 v12, vcc_lo, 0, v12, vcc_lo
	s_waitcnt vmcnt(0) lgkmcnt(0)
	v_and_b32_e32 v13, 0xffff, v6
	s_delay_alu instid0(VALU_DEP_1) | instskip(SKIP_3) | instid1(VALU_DEP_2)
	v_lshlrev_b64 v[13:14], s4, v[13:14]
	s_add_u32 s4, s4, 8
	s_addc_u32 s5, s5, 0
	v_cmp_eq_u32_e64 s0, s4, v10
	v_or_b32_e32 v3, v14, v3
	s_delay_alu instid0(VALU_DEP_3) | instskip(NEXT) | instid1(VALU_DEP_3)
	v_or_b32_e32 v2, v13, v2
	s_or_b32 s7, s0, s7
	s_delay_alu instid0(SALU_CYCLE_1)
	s_and_not1_b32 exec_lo, exec_lo, s7
	s_cbranch_execnz .LBB1_283
; %bb.284:                              ;   in Loop: Header=BB1_280 Depth=1
	s_or_b32 exec_lo, exec_lo, s7
.LBB1_285:                              ;   in Loop: Header=BB1_280 Depth=1
	s_delay_alu instid0(SALU_CYCLE_1)
	s_or_b32 exec_lo, exec_lo, s6
	s_mov_b32 s4, 0
.LBB1_286:                              ;   in Loop: Header=BB1_280 Depth=1
	s_or_saveexec_b32 s0, s1
	v_dual_mov_b32 v6, s4 :: v_dual_mov_b32 v23, v5
	v_mov_b32_e32 v22, v4
	s_xor_b32 exec_lo, exec_lo, s0
	s_cbranch_execz .LBB1_288
; %bb.287:                              ;   in Loop: Header=BB1_280 Depth=1
	s_waitcnt vmcnt(0)
	flat_load_b64 v[2:3], v[4:5]
	v_add_co_u32 v22, vcc_lo, v4, 8
	v_add_co_ci_u32_e32 v23, vcc_lo, 0, v5, vcc_lo
	s_waitcnt vmcnt(0) lgkmcnt(0)
	v_and_b32_e32 v6, 0xff, v3
	v_and_b32_e32 v10, 0xff00, v3
	;; [unrolled: 1-line block ×4, first 2 shown]
	v_or3_b32 v2, v2, 0, 0
	s_delay_alu instid0(VALU_DEP_4) | instskip(SKIP_1) | instid1(VALU_DEP_2)
	v_or_b32_e32 v10, v6, v10
	v_add_nc_u32_e32 v6, -8, v28
	v_or3_b32 v3, v10, v11, v3
.LBB1_288:                              ;   in Loop: Header=BB1_280 Depth=1
	s_or_b32 exec_lo, exec_lo, s0
                                        ; implicit-def: $vgpr10_vgpr11
                                        ; implicit-def: $sgpr1
	s_delay_alu instid0(SALU_CYCLE_1) | instskip(NEXT) | instid1(VALU_DEP_2)
	s_mov_b32 s0, exec_lo
	v_cmpx_gt_u32_e32 8, v6
	s_xor_b32 s6, exec_lo, s0
	s_cbranch_execz .LBB1_294
; %bb.289:                              ;   in Loop: Header=BB1_280 Depth=1
	v_mov_b32_e32 v10, 0
	v_mov_b32_e32 v11, 0
	s_mov_b32 s7, exec_lo
	v_cmpx_ne_u32_e32 0, v6
	s_cbranch_execz .LBB1_293
; %bb.290:                              ;   in Loop: Header=BB1_280 Depth=1
	v_mov_b32_e32 v10, 0
	v_mov_b32_e32 v11, 0
	s_mov_b64 s[0:1], 0
	s_mov_b32 s13, 0
	s_mov_b64 s[4:5], 0
	.p2align	6
.LBB1_291:                              ;   Parent Loop BB1_280 Depth=1
                                        ; =>  This Inner Loop Header: Depth=2
	s_delay_alu instid0(SALU_CYCLE_1)
	v_add_co_u32 v12, vcc_lo, v22, s4
	v_add_co_ci_u32_e32 v13, vcc_lo, s5, v23, vcc_lo
	s_add_u32 s4, s4, 1
	s_addc_u32 s5, s5, 0
	v_cmp_eq_u32_e32 vcc_lo, s4, v6
	flat_load_u8 v12, v[12:13]
	s_waitcnt vmcnt(0) lgkmcnt(0)
	v_dual_mov_b32 v13, s12 :: v_dual_and_b32 v12, 0xffff, v12
	s_delay_alu instid0(VALU_DEP_1) | instskip(SKIP_3) | instid1(VALU_DEP_1)
	v_lshlrev_b64 v[12:13], s0, v[12:13]
	s_add_u32 s0, s0, 8
	s_addc_u32 s1, s1, 0
	s_or_b32 s13, vcc_lo, s13
	v_or_b32_e32 v11, v13, v11
	s_delay_alu instid0(VALU_DEP_2)
	v_or_b32_e32 v10, v12, v10
	s_and_not1_b32 exec_lo, exec_lo, s13
	s_cbranch_execnz .LBB1_291
; %bb.292:                              ;   in Loop: Header=BB1_280 Depth=1
	s_or_b32 exec_lo, exec_lo, s13
.LBB1_293:                              ;   in Loop: Header=BB1_280 Depth=1
	s_delay_alu instid0(SALU_CYCLE_1)
	s_or_b32 exec_lo, exec_lo, s7
	s_mov_b32 s1, 0
                                        ; implicit-def: $vgpr6
.LBB1_294:                              ;   in Loop: Header=BB1_280 Depth=1
	s_or_saveexec_b32 s0, s6
	v_mov_b32_e32 v14, s1
	s_xor_b32 exec_lo, exec_lo, s0
	s_cbranch_execz .LBB1_296
; %bb.295:                              ;   in Loop: Header=BB1_280 Depth=1
	flat_load_b64 v[10:11], v[22:23]
	v_add_co_u32 v22, vcc_lo, v22, 8
	v_add_nc_u32_e32 v14, -8, v6
	v_add_co_ci_u32_e32 v23, vcc_lo, 0, v23, vcc_lo
	s_waitcnt vmcnt(0) lgkmcnt(0)
	v_and_b32_e32 v12, 0xff, v11
	v_and_b32_e32 v13, 0xff00, v11
	;; [unrolled: 1-line block ×4, first 2 shown]
	v_or3_b32 v10, v10, 0, 0
	s_delay_alu instid0(VALU_DEP_4) | instskip(NEXT) | instid1(VALU_DEP_1)
	v_or_b32_e32 v12, v12, v13
	v_or3_b32 v11, v12, v15, v11
.LBB1_296:                              ;   in Loop: Header=BB1_280 Depth=1
	s_or_b32 exec_lo, exec_lo, s0
                                        ; implicit-def: $sgpr1
	s_delay_alu instid0(SALU_CYCLE_1)
	s_mov_b32 s0, exec_lo
	v_cmpx_gt_u32_e32 8, v14
	s_xor_b32 s6, exec_lo, s0
	s_cbranch_execz .LBB1_302
; %bb.297:                              ;   in Loop: Header=BB1_280 Depth=1
	v_mov_b32_e32 v12, 0
	v_mov_b32_e32 v13, 0
	s_mov_b32 s7, exec_lo
	v_cmpx_ne_u32_e32 0, v14
	s_cbranch_execz .LBB1_301
; %bb.298:                              ;   in Loop: Header=BB1_280 Depth=1
	v_mov_b32_e32 v12, 0
	v_mov_b32_e32 v13, 0
	s_mov_b64 s[0:1], 0
	s_mov_b32 s13, 0
	s_mov_b64 s[4:5], 0
	.p2align	6
.LBB1_299:                              ;   Parent Loop BB1_280 Depth=1
                                        ; =>  This Inner Loop Header: Depth=2
	s_delay_alu instid0(SALU_CYCLE_1)
	v_add_co_u32 v15, vcc_lo, v22, s4
	v_add_co_ci_u32_e32 v16, vcc_lo, s5, v23, vcc_lo
	s_add_u32 s4, s4, 1
	s_addc_u32 s5, s5, 0
	v_cmp_eq_u32_e32 vcc_lo, s4, v14
	flat_load_u8 v6, v[15:16]
	s_waitcnt vmcnt(0) lgkmcnt(0)
	v_dual_mov_b32 v16, s12 :: v_dual_and_b32 v15, 0xffff, v6
	s_delay_alu instid0(VALU_DEP_1) | instskip(SKIP_3) | instid1(VALU_DEP_1)
	v_lshlrev_b64 v[15:16], s0, v[15:16]
	s_add_u32 s0, s0, 8
	s_addc_u32 s1, s1, 0
	s_or_b32 s13, vcc_lo, s13
	v_or_b32_e32 v13, v16, v13
	s_delay_alu instid0(VALU_DEP_2)
	v_or_b32_e32 v12, v15, v12
	s_and_not1_b32 exec_lo, exec_lo, s13
	s_cbranch_execnz .LBB1_299
; %bb.300:                              ;   in Loop: Header=BB1_280 Depth=1
	s_or_b32 exec_lo, exec_lo, s13
.LBB1_301:                              ;   in Loop: Header=BB1_280 Depth=1
	s_delay_alu instid0(SALU_CYCLE_1)
	s_or_b32 exec_lo, exec_lo, s7
	s_mov_b32 s1, 0
                                        ; implicit-def: $vgpr14
.LBB1_302:                              ;   in Loop: Header=BB1_280 Depth=1
	s_or_saveexec_b32 s0, s6
	v_mov_b32_e32 v6, s1
	s_xor_b32 exec_lo, exec_lo, s0
	s_cbranch_execz .LBB1_304
; %bb.303:                              ;   in Loop: Header=BB1_280 Depth=1
	flat_load_b64 v[12:13], v[22:23]
	v_add_co_u32 v22, vcc_lo, v22, 8
	v_add_co_ci_u32_e32 v23, vcc_lo, 0, v23, vcc_lo
	s_waitcnt vmcnt(0) lgkmcnt(0)
	v_and_b32_e32 v6, 0xff, v13
	v_and_b32_e32 v15, 0xff00, v13
	;; [unrolled: 1-line block ×4, first 2 shown]
	v_or3_b32 v12, v12, 0, 0
	s_delay_alu instid0(VALU_DEP_4) | instskip(SKIP_1) | instid1(VALU_DEP_2)
	v_or_b32_e32 v15, v6, v15
	v_add_nc_u32_e32 v6, -8, v14
	v_or3_b32 v13, v15, v16, v13
.LBB1_304:                              ;   in Loop: Header=BB1_280 Depth=1
	s_or_b32 exec_lo, exec_lo, s0
                                        ; implicit-def: $vgpr14_vgpr15
                                        ; implicit-def: $sgpr1
	s_delay_alu instid0(SALU_CYCLE_1) | instskip(NEXT) | instid1(VALU_DEP_1)
	s_mov_b32 s0, exec_lo
	v_cmpx_gt_u32_e32 8, v6
	s_xor_b32 s6, exec_lo, s0
	s_cbranch_execz .LBB1_310
; %bb.305:                              ;   in Loop: Header=BB1_280 Depth=1
	v_mov_b32_e32 v14, 0
	v_mov_b32_e32 v15, 0
	s_mov_b32 s7, exec_lo
	v_cmpx_ne_u32_e32 0, v6
	s_cbranch_execz .LBB1_309
; %bb.306:                              ;   in Loop: Header=BB1_280 Depth=1
	v_mov_b32_e32 v14, 0
	v_mov_b32_e32 v15, 0
	s_mov_b64 s[0:1], 0
	s_mov_b32 s13, 0
	s_mov_b64 s[4:5], 0
	.p2align	6
.LBB1_307:                              ;   Parent Loop BB1_280 Depth=1
                                        ; =>  This Inner Loop Header: Depth=2
	s_delay_alu instid0(SALU_CYCLE_1)
	v_add_co_u32 v16, vcc_lo, v22, s4
	v_add_co_ci_u32_e32 v17, vcc_lo, s5, v23, vcc_lo
	s_add_u32 s4, s4, 1
	s_addc_u32 s5, s5, 0
	v_cmp_eq_u32_e32 vcc_lo, s4, v6
	flat_load_u8 v16, v[16:17]
	s_waitcnt vmcnt(0) lgkmcnt(0)
	v_dual_mov_b32 v17, s12 :: v_dual_and_b32 v16, 0xffff, v16
	s_delay_alu instid0(VALU_DEP_1) | instskip(SKIP_3) | instid1(VALU_DEP_1)
	v_lshlrev_b64 v[16:17], s0, v[16:17]
	s_add_u32 s0, s0, 8
	s_addc_u32 s1, s1, 0
	s_or_b32 s13, vcc_lo, s13
	v_or_b32_e32 v15, v17, v15
	s_delay_alu instid0(VALU_DEP_2)
	v_or_b32_e32 v14, v16, v14
	s_and_not1_b32 exec_lo, exec_lo, s13
	s_cbranch_execnz .LBB1_307
; %bb.308:                              ;   in Loop: Header=BB1_280 Depth=1
	s_or_b32 exec_lo, exec_lo, s13
.LBB1_309:                              ;   in Loop: Header=BB1_280 Depth=1
	s_delay_alu instid0(SALU_CYCLE_1)
	s_or_b32 exec_lo, exec_lo, s7
	s_mov_b32 s1, 0
                                        ; implicit-def: $vgpr6
.LBB1_310:                              ;   in Loop: Header=BB1_280 Depth=1
	s_or_saveexec_b32 s0, s6
	v_mov_b32_e32 v18, s1
	s_xor_b32 exec_lo, exec_lo, s0
	s_cbranch_execz .LBB1_312
; %bb.311:                              ;   in Loop: Header=BB1_280 Depth=1
	flat_load_b64 v[14:15], v[22:23]
	v_add_co_u32 v22, vcc_lo, v22, 8
	v_add_nc_u32_e32 v18, -8, v6
	v_add_co_ci_u32_e32 v23, vcc_lo, 0, v23, vcc_lo
	s_waitcnt vmcnt(0) lgkmcnt(0)
	v_and_b32_e32 v16, 0xff, v15
	v_and_b32_e32 v17, 0xff00, v15
	;; [unrolled: 1-line block ×4, first 2 shown]
	v_or3_b32 v14, v14, 0, 0
	s_delay_alu instid0(VALU_DEP_4) | instskip(NEXT) | instid1(VALU_DEP_1)
	v_or_b32_e32 v16, v16, v17
	v_or3_b32 v15, v16, v19, v15
.LBB1_312:                              ;   in Loop: Header=BB1_280 Depth=1
	s_or_b32 exec_lo, exec_lo, s0
                                        ; implicit-def: $sgpr1
	s_delay_alu instid0(SALU_CYCLE_1)
	s_mov_b32 s0, exec_lo
	v_cmpx_gt_u32_e32 8, v18
	s_xor_b32 s6, exec_lo, s0
	s_cbranch_execz .LBB1_318
; %bb.313:                              ;   in Loop: Header=BB1_280 Depth=1
	v_mov_b32_e32 v16, 0
	v_mov_b32_e32 v17, 0
	s_mov_b32 s7, exec_lo
	v_cmpx_ne_u32_e32 0, v18
	s_cbranch_execz .LBB1_317
; %bb.314:                              ;   in Loop: Header=BB1_280 Depth=1
	v_mov_b32_e32 v16, 0
	v_mov_b32_e32 v17, 0
	s_mov_b64 s[0:1], 0
	s_mov_b32 s13, 0
	s_mov_b64 s[4:5], 0
	.p2align	6
.LBB1_315:                              ;   Parent Loop BB1_280 Depth=1
                                        ; =>  This Inner Loop Header: Depth=2
	s_delay_alu instid0(SALU_CYCLE_1)
	v_add_co_u32 v19, vcc_lo, v22, s4
	v_add_co_ci_u32_e32 v20, vcc_lo, s5, v23, vcc_lo
	s_add_u32 s4, s4, 1
	s_addc_u32 s5, s5, 0
	v_cmp_eq_u32_e32 vcc_lo, s4, v18
	flat_load_u8 v6, v[19:20]
	s_waitcnt vmcnt(0) lgkmcnt(0)
	v_dual_mov_b32 v20, s12 :: v_dual_and_b32 v19, 0xffff, v6
	s_delay_alu instid0(VALU_DEP_1) | instskip(SKIP_3) | instid1(VALU_DEP_1)
	v_lshlrev_b64 v[19:20], s0, v[19:20]
	s_add_u32 s0, s0, 8
	s_addc_u32 s1, s1, 0
	s_or_b32 s13, vcc_lo, s13
	v_or_b32_e32 v17, v20, v17
	s_delay_alu instid0(VALU_DEP_2)
	v_or_b32_e32 v16, v19, v16
	s_and_not1_b32 exec_lo, exec_lo, s13
	s_cbranch_execnz .LBB1_315
; %bb.316:                              ;   in Loop: Header=BB1_280 Depth=1
	s_or_b32 exec_lo, exec_lo, s13
.LBB1_317:                              ;   in Loop: Header=BB1_280 Depth=1
	s_delay_alu instid0(SALU_CYCLE_1)
	s_or_b32 exec_lo, exec_lo, s7
	s_mov_b32 s1, 0
                                        ; implicit-def: $vgpr18
.LBB1_318:                              ;   in Loop: Header=BB1_280 Depth=1
	s_or_saveexec_b32 s0, s6
	v_mov_b32_e32 v6, s1
	s_xor_b32 exec_lo, exec_lo, s0
	s_cbranch_execz .LBB1_320
; %bb.319:                              ;   in Loop: Header=BB1_280 Depth=1
	flat_load_b64 v[16:17], v[22:23]
	v_add_co_u32 v22, vcc_lo, v22, 8
	v_add_co_ci_u32_e32 v23, vcc_lo, 0, v23, vcc_lo
	s_waitcnt vmcnt(0) lgkmcnt(0)
	v_and_b32_e32 v6, 0xff, v17
	v_and_b32_e32 v19, 0xff00, v17
	v_and_b32_e32 v20, 0xff0000, v17
	v_and_b32_e32 v17, 0xff000000, v17
	v_or3_b32 v16, v16, 0, 0
	s_delay_alu instid0(VALU_DEP_4) | instskip(SKIP_1) | instid1(VALU_DEP_2)
	v_or_b32_e32 v19, v6, v19
	v_add_nc_u32_e32 v6, -8, v18
	v_or3_b32 v17, v19, v20, v17
.LBB1_320:                              ;   in Loop: Header=BB1_280 Depth=1
	s_or_b32 exec_lo, exec_lo, s0
                                        ; implicit-def: $vgpr18_vgpr19
                                        ; implicit-def: $sgpr1
	s_delay_alu instid0(SALU_CYCLE_1) | instskip(NEXT) | instid1(VALU_DEP_1)
	s_mov_b32 s0, exec_lo
	v_cmpx_gt_u32_e32 8, v6
	s_xor_b32 s6, exec_lo, s0
	s_cbranch_execz .LBB1_326
; %bb.321:                              ;   in Loop: Header=BB1_280 Depth=1
	v_mov_b32_e32 v18, 0
	v_mov_b32_e32 v19, 0
	s_mov_b32 s7, exec_lo
	v_cmpx_ne_u32_e32 0, v6
	s_cbranch_execz .LBB1_325
; %bb.322:                              ;   in Loop: Header=BB1_280 Depth=1
	v_mov_b32_e32 v18, 0
	v_mov_b32_e32 v19, 0
	s_mov_b64 s[0:1], 0
	s_mov_b32 s13, 0
	s_mov_b64 s[4:5], 0
	.p2align	6
.LBB1_323:                              ;   Parent Loop BB1_280 Depth=1
                                        ; =>  This Inner Loop Header: Depth=2
	s_delay_alu instid0(SALU_CYCLE_1)
	v_add_co_u32 v20, vcc_lo, v22, s4
	v_add_co_ci_u32_e32 v21, vcc_lo, s5, v23, vcc_lo
	s_add_u32 s4, s4, 1
	s_addc_u32 s5, s5, 0
	v_cmp_eq_u32_e32 vcc_lo, s4, v6
	flat_load_u8 v20, v[20:21]
	s_waitcnt vmcnt(0) lgkmcnt(0)
	v_dual_mov_b32 v21, s12 :: v_dual_and_b32 v20, 0xffff, v20
	s_delay_alu instid0(VALU_DEP_1) | instskip(SKIP_3) | instid1(VALU_DEP_1)
	v_lshlrev_b64 v[20:21], s0, v[20:21]
	s_add_u32 s0, s0, 8
	s_addc_u32 s1, s1, 0
	s_or_b32 s13, vcc_lo, s13
	v_or_b32_e32 v19, v21, v19
	s_delay_alu instid0(VALU_DEP_2)
	v_or_b32_e32 v18, v20, v18
	s_and_not1_b32 exec_lo, exec_lo, s13
	s_cbranch_execnz .LBB1_323
; %bb.324:                              ;   in Loop: Header=BB1_280 Depth=1
	s_or_b32 exec_lo, exec_lo, s13
.LBB1_325:                              ;   in Loop: Header=BB1_280 Depth=1
	s_delay_alu instid0(SALU_CYCLE_1)
	s_or_b32 exec_lo, exec_lo, s7
	s_mov_b32 s1, 0
                                        ; implicit-def: $vgpr6
.LBB1_326:                              ;   in Loop: Header=BB1_280 Depth=1
	s_or_saveexec_b32 s0, s6
	v_mov_b32_e32 v24, s1
	s_xor_b32 exec_lo, exec_lo, s0
	s_cbranch_execz .LBB1_328
; %bb.327:                              ;   in Loop: Header=BB1_280 Depth=1
	flat_load_b64 v[18:19], v[22:23]
	v_add_co_u32 v22, vcc_lo, v22, 8
	v_add_nc_u32_e32 v24, -8, v6
	v_add_co_ci_u32_e32 v23, vcc_lo, 0, v23, vcc_lo
	s_waitcnt vmcnt(0) lgkmcnt(0)
	v_and_b32_e32 v20, 0xff, v19
	v_and_b32_e32 v21, 0xff00, v19
	;; [unrolled: 1-line block ×4, first 2 shown]
	v_or3_b32 v18, v18, 0, 0
	s_delay_alu instid0(VALU_DEP_4) | instskip(NEXT) | instid1(VALU_DEP_1)
	v_or_b32_e32 v20, v20, v21
	v_or3_b32 v19, v20, v25, v19
.LBB1_328:                              ;   in Loop: Header=BB1_280 Depth=1
	s_or_b32 exec_lo, exec_lo, s0
	s_delay_alu instid0(SALU_CYCLE_1)
	s_mov_b32 s0, exec_lo
	v_cmpx_gt_u32_e32 8, v24
	s_xor_b32 s4, exec_lo, s0
	s_cbranch_execz .LBB1_334
; %bb.329:                              ;   in Loop: Header=BB1_280 Depth=1
	v_mov_b32_e32 v20, 0
	v_mov_b32_e32 v21, 0
	s_mov_b32 s5, exec_lo
	v_cmpx_ne_u32_e32 0, v24
	s_cbranch_execz .LBB1_333
; %bb.330:                              ;   in Loop: Header=BB1_280 Depth=1
	v_mov_b32_e32 v20, 0
	v_mov_b32_e32 v21, 0
	s_mov_b64 s[0:1], 0
	s_mov_b32 s6, 0
	.p2align	6
.LBB1_331:                              ;   Parent Loop BB1_280 Depth=1
                                        ; =>  This Inner Loop Header: Depth=2
	flat_load_u8 v6, v[22:23]
	v_dual_mov_b32 v31, s12 :: v_dual_add_nc_u32 v24, -1, v24
	v_add_co_u32 v22, vcc_lo, v22, 1
	v_add_co_ci_u32_e32 v23, vcc_lo, 0, v23, vcc_lo
	s_delay_alu instid0(VALU_DEP_3) | instskip(SKIP_2) | instid1(VALU_DEP_1)
	v_cmp_eq_u32_e32 vcc_lo, 0, v24
	s_waitcnt vmcnt(0) lgkmcnt(0)
	v_and_b32_e32 v30, 0xffff, v6
	v_lshlrev_b64 v[30:31], s0, v[30:31]
	s_add_u32 s0, s0, 8
	s_addc_u32 s1, s1, 0
	s_or_b32 s6, vcc_lo, s6
	s_delay_alu instid0(VALU_DEP_1) | instskip(NEXT) | instid1(VALU_DEP_2)
	v_or_b32_e32 v21, v31, v21
	v_or_b32_e32 v20, v30, v20
	s_and_not1_b32 exec_lo, exec_lo, s6
	s_cbranch_execnz .LBB1_331
; %bb.332:                              ;   in Loop: Header=BB1_280 Depth=1
	s_or_b32 exec_lo, exec_lo, s6
.LBB1_333:                              ;   in Loop: Header=BB1_280 Depth=1
	s_delay_alu instid0(SALU_CYCLE_1)
	s_or_b32 exec_lo, exec_lo, s5
                                        ; implicit-def: $vgpr22_vgpr23
.LBB1_334:                              ;   in Loop: Header=BB1_280 Depth=1
	s_and_not1_saveexec_b32 s0, s4
	s_cbranch_execz .LBB1_336
; %bb.335:                              ;   in Loop: Header=BB1_280 Depth=1
	flat_load_b64 v[20:21], v[22:23]
	s_waitcnt vmcnt(0) lgkmcnt(0)
	v_and_b32_e32 v6, 0xff, v21
	v_and_b32_e32 v22, 0xff00, v21
	;; [unrolled: 1-line block ×4, first 2 shown]
	v_or3_b32 v20, v20, 0, 0
	s_delay_alu instid0(VALU_DEP_4) | instskip(NEXT) | instid1(VALU_DEP_1)
	v_or_b32_e32 v6, v6, v22
	v_or3_b32 v21, v6, v23, v21
.LBB1_336:                              ;   in Loop: Header=BB1_280 Depth=1
	s_or_b32 exec_lo, exec_lo, s0
	v_readfirstlane_b32 s0, v35
	v_mov_b32_e32 v30, 0
	v_mov_b32_e32 v31, 0
	s_delay_alu instid0(VALU_DEP_3) | instskip(NEXT) | instid1(VALU_DEP_1)
	v_cmp_eq_u32_e64 s0, s0, v35
	s_and_saveexec_b32 s1, s0
	s_cbranch_execz .LBB1_342
; %bb.337:                              ;   in Loop: Header=BB1_280 Depth=1
	global_load_b64 v[24:25], v7, s[2:3] offset:24 glc
	s_waitcnt vmcnt(0)
	buffer_gl1_inv
	buffer_gl0_inv
	s_clause 0x1
	global_load_b64 v[22:23], v7, s[2:3] offset:40
	global_load_b64 v[30:31], v7, s[2:3]
	s_mov_b32 s4, exec_lo
	s_waitcnt vmcnt(1)
	v_and_b32_e32 v6, v23, v25
	v_and_b32_e32 v22, v22, v24
	s_delay_alu instid0(VALU_DEP_2) | instskip(NEXT) | instid1(VALU_DEP_2)
	v_mul_lo_u32 v6, v6, 24
	v_mul_hi_u32 v23, v22, 24
	v_mul_lo_u32 v22, v22, 24
	s_delay_alu instid0(VALU_DEP_2) | instskip(SKIP_1) | instid1(VALU_DEP_2)
	v_add_nc_u32_e32 v6, v23, v6
	s_waitcnt vmcnt(0)
	v_add_co_u32 v22, vcc_lo, v30, v22
	s_delay_alu instid0(VALU_DEP_2)
	v_add_co_ci_u32_e32 v23, vcc_lo, v31, v6, vcc_lo
	global_load_b64 v[22:23], v[22:23], off glc
	s_waitcnt vmcnt(0)
	global_atomic_cmpswap_b64 v[30:31], v7, v[22:25], s[2:3] offset:24 glc
	s_waitcnt vmcnt(0)
	buffer_gl1_inv
	buffer_gl0_inv
	v_cmpx_ne_u64_e64 v[30:31], v[24:25]
	s_cbranch_execz .LBB1_341
; %bb.338:                              ;   in Loop: Header=BB1_280 Depth=1
	s_mov_b32 s5, 0
	.p2align	6
.LBB1_339:                              ;   Parent Loop BB1_280 Depth=1
                                        ; =>  This Inner Loop Header: Depth=2
	s_sleep 1
	s_clause 0x1
	global_load_b64 v[22:23], v7, s[2:3] offset:40
	global_load_b64 v[36:37], v7, s[2:3]
	v_dual_mov_b32 v24, v30 :: v_dual_mov_b32 v25, v31
	s_waitcnt vmcnt(1)
	s_delay_alu instid0(VALU_DEP_1) | instskip(NEXT) | instid1(VALU_DEP_2)
	v_and_b32_e32 v6, v22, v24
	v_and_b32_e32 v33, v23, v25
	s_waitcnt vmcnt(0)
	s_delay_alu instid0(VALU_DEP_2) | instskip(NEXT) | instid1(VALU_DEP_1)
	v_mad_u64_u32 v[30:31], null, v6, 24, v[36:37]
	v_mov_b32_e32 v6, v31
	s_delay_alu instid0(VALU_DEP_1) | instskip(NEXT) | instid1(VALU_DEP_1)
	v_mad_u64_u32 v[22:23], null, v33, 24, v[6:7]
	v_mov_b32_e32 v31, v22
	global_load_b64 v[22:23], v[30:31], off glc
	s_waitcnt vmcnt(0)
	global_atomic_cmpswap_b64 v[30:31], v7, v[22:25], s[2:3] offset:24 glc
	s_waitcnt vmcnt(0)
	buffer_gl1_inv
	buffer_gl0_inv
	v_cmp_eq_u64_e32 vcc_lo, v[30:31], v[24:25]
	s_or_b32 s5, vcc_lo, s5
	s_delay_alu instid0(SALU_CYCLE_1)
	s_and_not1_b32 exec_lo, exec_lo, s5
	s_cbranch_execnz .LBB1_339
; %bb.340:                              ;   in Loop: Header=BB1_280 Depth=1
	s_or_b32 exec_lo, exec_lo, s5
.LBB1_341:                              ;   in Loop: Header=BB1_280 Depth=1
	s_delay_alu instid0(SALU_CYCLE_1)
	s_or_b32 exec_lo, exec_lo, s4
.LBB1_342:                              ;   in Loop: Header=BB1_280 Depth=1
	s_delay_alu instid0(SALU_CYCLE_1)
	s_or_b32 exec_lo, exec_lo, s1
	s_clause 0x1
	global_load_b64 v[36:37], v7, s[2:3] offset:40
	global_load_b128 v[22:25], v7, s[2:3]
	v_readfirstlane_b32 s4, v30
	v_readfirstlane_b32 s5, v31
	s_mov_b32 s1, exec_lo
	s_waitcnt vmcnt(1)
	v_readfirstlane_b32 s6, v36
	v_readfirstlane_b32 s7, v37
	s_delay_alu instid0(VALU_DEP_1) | instskip(NEXT) | instid1(SALU_CYCLE_1)
	s_and_b64 s[6:7], s[4:5], s[6:7]
	s_mul_i32 s13, s7, 24
	s_mul_hi_u32 s14, s6, 24
	s_mul_i32 s15, s6, 24
	s_add_i32 s14, s14, s13
	s_waitcnt vmcnt(0)
	v_add_co_u32 v30, vcc_lo, v22, s15
	v_add_co_ci_u32_e32 v31, vcc_lo, s14, v23, vcc_lo
	s_and_saveexec_b32 s13, s0
	s_cbranch_execz .LBB1_344
; %bb.343:                              ;   in Loop: Header=BB1_280 Depth=1
	v_mov_b32_e32 v6, s1
	global_store_b128 v[30:31], v[6:9], off offset:8
.LBB1_344:                              ;   in Loop: Header=BB1_280 Depth=1
	s_or_b32 exec_lo, exec_lo, s13
	v_cmp_lt_u64_e32 vcc_lo, 56, v[26:27]
	v_or_b32_e32 v6, 0, v1
	v_or_b32_e32 v33, v0, v32
	v_lshl_add_u32 v36, v28, 2, 28
	s_lshl_b64 s[6:7], s[6:7], 12
	s_delay_alu instid0(SALU_CYCLE_1) | instskip(NEXT) | instid1(VALU_DEP_1)
	v_add_co_u32 v24, s1, v24, s6
	v_add_co_ci_u32_e64 v25, s1, s7, v25, s1
	v_dual_cndmask_b32 v1, v6, v1 :: v_dual_cndmask_b32 v0, v33, v0
	v_and_b32_e32 v6, 0x1e0, v36
	s_delay_alu instid0(VALU_DEP_4) | instskip(NEXT) | instid1(VALU_DEP_4)
	v_readfirstlane_b32 s6, v24
	v_readfirstlane_b32 s7, v25
	s_delay_alu instid0(VALU_DEP_3)
	v_and_or_b32 v0, 0xffffff1f, v0, v6
	s_clause 0x3
	global_store_b128 v34, v[0:3], s[6:7]
	global_store_b128 v34, v[10:13], s[6:7] offset:16
	global_store_b128 v34, v[14:17], s[6:7] offset:32
	;; [unrolled: 1-line block ×3, first 2 shown]
	s_and_saveexec_b32 s1, s0
	s_cbranch_execz .LBB1_352
; %bb.345:                              ;   in Loop: Header=BB1_280 Depth=1
	s_clause 0x1
	global_load_b64 v[14:15], v7, s[2:3] offset:32 glc
	global_load_b64 v[0:1], v7, s[2:3] offset:40
	v_dual_mov_b32 v12, s4 :: v_dual_mov_b32 v13, s5
	s_waitcnt vmcnt(0)
	v_readfirstlane_b32 s6, v0
	v_readfirstlane_b32 s7, v1
	s_delay_alu instid0(VALU_DEP_1) | instskip(NEXT) | instid1(SALU_CYCLE_1)
	s_and_b64 s[6:7], s[6:7], s[4:5]
	s_mul_i32 s7, s7, 24
	s_mul_hi_u32 s13, s6, 24
	s_mul_i32 s6, s6, 24
	s_add_i32 s13, s13, s7
	v_add_co_u32 v10, vcc_lo, v22, s6
	v_add_co_ci_u32_e32 v11, vcc_lo, s13, v23, vcc_lo
	s_mov_b32 s6, exec_lo
	global_store_b64 v[10:11], v[14:15], off
	s_waitcnt_vscnt null, 0x0
	global_atomic_cmpswap_b64 v[2:3], v7, v[12:15], s[2:3] offset:32 glc
	s_waitcnt vmcnt(0)
	v_cmpx_ne_u64_e64 v[2:3], v[14:15]
	s_cbranch_execz .LBB1_348
; %bb.346:                              ;   in Loop: Header=BB1_280 Depth=1
	s_mov_b32 s7, 0
.LBB1_347:                              ;   Parent Loop BB1_280 Depth=1
                                        ; =>  This Inner Loop Header: Depth=2
	v_dual_mov_b32 v0, s4 :: v_dual_mov_b32 v1, s5
	s_sleep 1
	global_store_b64 v[10:11], v[2:3], off
	s_waitcnt_vscnt null, 0x0
	global_atomic_cmpswap_b64 v[0:1], v7, v[0:3], s[2:3] offset:32 glc
	s_waitcnt vmcnt(0)
	v_cmp_eq_u64_e32 vcc_lo, v[0:1], v[2:3]
	v_dual_mov_b32 v3, v1 :: v_dual_mov_b32 v2, v0
	s_or_b32 s7, vcc_lo, s7
	s_delay_alu instid0(SALU_CYCLE_1)
	s_and_not1_b32 exec_lo, exec_lo, s7
	s_cbranch_execnz .LBB1_347
.LBB1_348:                              ;   in Loop: Header=BB1_280 Depth=1
	s_or_b32 exec_lo, exec_lo, s6
	global_load_b64 v[0:1], v7, s[2:3] offset:16
	s_mov_b32 s7, exec_lo
	s_mov_b32 s6, exec_lo
	v_mbcnt_lo_u32_b32 v2, s7, 0
	s_delay_alu instid0(VALU_DEP_1)
	v_cmpx_eq_u32_e32 0, v2
	s_cbranch_execz .LBB1_350
; %bb.349:                              ;   in Loop: Header=BB1_280 Depth=1
	s_bcnt1_i32_b32 s7, s7
	s_delay_alu instid0(SALU_CYCLE_1)
	v_mov_b32_e32 v6, s7
	s_waitcnt vmcnt(0)
	global_atomic_add_u64 v[0:1], v[6:7], off offset:8
.LBB1_350:                              ;   in Loop: Header=BB1_280 Depth=1
	s_or_b32 exec_lo, exec_lo, s6
	s_waitcnt vmcnt(0)
	global_load_b64 v[2:3], v[0:1], off offset:16
	s_waitcnt vmcnt(0)
	v_cmp_eq_u64_e32 vcc_lo, 0, v[2:3]
	s_cbranch_vccnz .LBB1_352
; %bb.351:                              ;   in Loop: Header=BB1_280 Depth=1
	global_load_b32 v6, v[0:1], off offset:24
	s_waitcnt vmcnt(0)
	v_and_b32_e32 v0, 0xffffff, v6
	s_waitcnt_vscnt null, 0x0
	global_store_b64 v[2:3], v[6:7], off
	v_readfirstlane_b32 m0, v0
	s_sendmsg sendmsg(MSG_INTERRUPT)
.LBB1_352:                              ;   in Loop: Header=BB1_280 Depth=1
	s_or_b32 exec_lo, exec_lo, s1
	v_add_co_u32 v0, vcc_lo, v24, v34
	v_add_co_ci_u32_e32 v1, vcc_lo, 0, v25, vcc_lo
	s_branch .LBB1_356
	.p2align	6
.LBB1_353:                              ;   in Loop: Header=BB1_356 Depth=2
	s_or_b32 exec_lo, exec_lo, s1
	s_delay_alu instid0(VALU_DEP_1) | instskip(NEXT) | instid1(VALU_DEP_1)
	v_readfirstlane_b32 s1, v2
	s_cmp_eq_u32 s1, 0
	s_cbranch_scc1 .LBB1_355
; %bb.354:                              ;   in Loop: Header=BB1_356 Depth=2
	s_sleep 1
	s_cbranch_execnz .LBB1_356
	s_branch .LBB1_358
	.p2align	6
.LBB1_355:                              ;   in Loop: Header=BB1_280 Depth=1
	s_branch .LBB1_358
.LBB1_356:                              ;   Parent Loop BB1_280 Depth=1
                                        ; =>  This Inner Loop Header: Depth=2
	v_mov_b32_e32 v2, 1
	s_and_saveexec_b32 s1, s0
	s_cbranch_execz .LBB1_353
; %bb.357:                              ;   in Loop: Header=BB1_356 Depth=2
	global_load_b32 v2, v[30:31], off offset:20 glc
	s_waitcnt vmcnt(0)
	buffer_gl1_inv
	buffer_gl0_inv
	v_and_b32_e32 v2, 1, v2
	s_branch .LBB1_353
.LBB1_358:                              ;   in Loop: Header=BB1_280 Depth=1
	global_load_b128 v[0:3], v[0:1], off
	s_and_saveexec_b32 s1, s0
	s_cbranch_execz .LBB1_279
; %bb.359:                              ;   in Loop: Header=BB1_280 Depth=1
	s_clause 0x2
	global_load_b64 v[2:3], v7, s[2:3] offset:40
	global_load_b64 v[14:15], v7, s[2:3] offset:24 glc
	global_load_b64 v[12:13], v7, s[2:3]
	s_waitcnt vmcnt(2)
	v_add_co_u32 v6, vcc_lo, v2, 1
	v_add_co_ci_u32_e32 v16, vcc_lo, 0, v3, vcc_lo
	s_delay_alu instid0(VALU_DEP_2) | instskip(NEXT) | instid1(VALU_DEP_2)
	v_add_co_u32 v10, vcc_lo, v6, s4
	v_add_co_ci_u32_e32 v11, vcc_lo, s5, v16, vcc_lo
	s_delay_alu instid0(VALU_DEP_1) | instskip(SKIP_1) | instid1(VALU_DEP_1)
	v_cmp_eq_u64_e32 vcc_lo, 0, v[10:11]
	v_dual_cndmask_b32 v11, v11, v16 :: v_dual_cndmask_b32 v10, v10, v6
	v_and_b32_e32 v3, v11, v3
	s_delay_alu instid0(VALU_DEP_2) | instskip(NEXT) | instid1(VALU_DEP_1)
	v_and_b32_e32 v2, v10, v2
	v_mul_hi_u32 v6, v2, 24
	v_mul_lo_u32 v2, v2, 24
	s_waitcnt vmcnt(0)
	s_delay_alu instid0(VALU_DEP_1) | instskip(SKIP_2) | instid1(VALU_DEP_1)
	v_add_co_u32 v2, vcc_lo, v12, v2
	v_mov_b32_e32 v12, v14
	v_mul_lo_u32 v3, v3, 24
	v_add_nc_u32_e32 v3, v6, v3
	s_delay_alu instid0(VALU_DEP_1)
	v_add_co_ci_u32_e32 v3, vcc_lo, v13, v3, vcc_lo
	v_mov_b32_e32 v13, v15
	global_store_b64 v[2:3], v[14:15], off
	s_waitcnt_vscnt null, 0x0
	global_atomic_cmpswap_b64 v[12:13], v7, v[10:13], s[2:3] offset:24 glc
	s_waitcnt vmcnt(0)
	v_cmp_ne_u64_e32 vcc_lo, v[12:13], v[14:15]
	s_and_b32 exec_lo, exec_lo, vcc_lo
	s_cbranch_execz .LBB1_279
; %bb.360:                              ;   in Loop: Header=BB1_280 Depth=1
	s_mov_b32 s0, 0
.LBB1_361:                              ;   Parent Loop BB1_280 Depth=1
                                        ; =>  This Inner Loop Header: Depth=2
	s_sleep 1
	global_store_b64 v[2:3], v[12:13], off
	s_waitcnt_vscnt null, 0x0
	global_atomic_cmpswap_b64 v[14:15], v7, v[10:13], s[2:3] offset:24 glc
	s_waitcnt vmcnt(0)
	v_cmp_eq_u64_e32 vcc_lo, v[14:15], v[12:13]
	v_dual_mov_b32 v12, v14 :: v_dual_mov_b32 v13, v15
	s_or_b32 s0, vcc_lo, s0
	s_delay_alu instid0(SALU_CYCLE_1)
	s_and_not1_b32 exec_lo, exec_lo, s0
	s_cbranch_execnz .LBB1_361
	s_branch .LBB1_279
.LBB1_362:
	s_or_b32 exec_lo, exec_lo, s11
                                        ; implicit-def: $vgpr34
                                        ; implicit-def: $vgpr35
.LBB1_363:
	s_and_not1_saveexec_b32 s1, s10
	s_cbranch_execz .LBB1_391
; %bb.364:
	v_readfirstlane_b32 s0, v35
	v_mov_b32_e32 v8, 0
	v_mov_b32_e32 v9, 0
	s_delay_alu instid0(VALU_DEP_3) | instskip(NEXT) | instid1(VALU_DEP_1)
	v_cmp_eq_u32_e64 s0, s0, v35
	s_and_saveexec_b32 s4, s0
	s_cbranch_execz .LBB1_370
; %bb.365:
	s_waitcnt vmcnt(0)
	v_mov_b32_e32 v2, 0
	s_mov_b32 s5, exec_lo
	global_load_b64 v[5:6], v2, s[2:3] offset:24 glc
	s_waitcnt vmcnt(0)
	buffer_gl1_inv
	buffer_gl0_inv
	s_clause 0x1
	global_load_b64 v[3:4], v2, s[2:3] offset:40
	global_load_b64 v[7:8], v2, s[2:3]
	s_waitcnt vmcnt(1)
	v_and_b32_e32 v3, v3, v5
	v_and_b32_e32 v4, v4, v6
	s_delay_alu instid0(VALU_DEP_2) | instskip(NEXT) | instid1(VALU_DEP_2)
	v_mul_hi_u32 v9, v3, 24
	v_mul_lo_u32 v4, v4, 24
	v_mul_lo_u32 v3, v3, 24
	s_delay_alu instid0(VALU_DEP_2) | instskip(SKIP_1) | instid1(VALU_DEP_2)
	v_add_nc_u32_e32 v4, v9, v4
	s_waitcnt vmcnt(0)
	v_add_co_u32 v3, vcc_lo, v7, v3
	s_delay_alu instid0(VALU_DEP_2)
	v_add_co_ci_u32_e32 v4, vcc_lo, v8, v4, vcc_lo
	global_load_b64 v[3:4], v[3:4], off glc
	s_waitcnt vmcnt(0)
	global_atomic_cmpswap_b64 v[8:9], v2, v[3:6], s[2:3] offset:24 glc
	s_waitcnt vmcnt(0)
	buffer_gl1_inv
	buffer_gl0_inv
	v_cmpx_ne_u64_e64 v[8:9], v[5:6]
	s_cbranch_execz .LBB1_369
; %bb.366:
	s_mov_b32 s6, 0
	.p2align	6
.LBB1_367:                              ; =>This Inner Loop Header: Depth=1
	s_sleep 1
	s_clause 0x1
	global_load_b64 v[3:4], v2, s[2:3] offset:40
	global_load_b64 v[10:11], v2, s[2:3]
	v_dual_mov_b32 v5, v8 :: v_dual_mov_b32 v6, v9
	s_waitcnt vmcnt(1)
	s_delay_alu instid0(VALU_DEP_1) | instskip(NEXT) | instid1(VALU_DEP_2)
	v_and_b32_e32 v3, v3, v5
	v_and_b32_e32 v4, v4, v6
	s_waitcnt vmcnt(0)
	s_delay_alu instid0(VALU_DEP_2) | instskip(NEXT) | instid1(VALU_DEP_1)
	v_mad_u64_u32 v[7:8], null, v3, 24, v[10:11]
	v_mov_b32_e32 v3, v8
	s_delay_alu instid0(VALU_DEP_1)
	v_mad_u64_u32 v[8:9], null, v4, 24, v[3:4]
	global_load_b64 v[3:4], v[7:8], off glc
	s_waitcnt vmcnt(0)
	global_atomic_cmpswap_b64 v[8:9], v2, v[3:6], s[2:3] offset:24 glc
	s_waitcnt vmcnt(0)
	buffer_gl1_inv
	buffer_gl0_inv
	v_cmp_eq_u64_e32 vcc_lo, v[8:9], v[5:6]
	s_or_b32 s6, vcc_lo, s6
	s_delay_alu instid0(SALU_CYCLE_1)
	s_and_not1_b32 exec_lo, exec_lo, s6
	s_cbranch_execnz .LBB1_367
; %bb.368:
	s_or_b32 exec_lo, exec_lo, s6
.LBB1_369:
	s_delay_alu instid0(SALU_CYCLE_1)
	s_or_b32 exec_lo, exec_lo, s5
.LBB1_370:
	s_delay_alu instid0(SALU_CYCLE_1)
	s_or_b32 exec_lo, exec_lo, s4
	s_waitcnt vmcnt(0)
	v_mov_b32_e32 v2, 0
	v_readfirstlane_b32 s4, v8
	v_readfirstlane_b32 s5, v9
	s_mov_b32 s10, exec_lo
	s_clause 0x1
	global_load_b64 v[10:11], v2, s[2:3] offset:40
	global_load_b128 v[4:7], v2, s[2:3]
	s_waitcnt vmcnt(1)
	v_readfirstlane_b32 s6, v10
	v_readfirstlane_b32 s7, v11
	s_delay_alu instid0(VALU_DEP_1) | instskip(NEXT) | instid1(SALU_CYCLE_1)
	s_and_b64 s[6:7], s[4:5], s[6:7]
	s_mul_i32 s11, s7, 24
	s_mul_hi_u32 s12, s6, 24
	s_mul_i32 s13, s6, 24
	s_add_i32 s12, s12, s11
	s_waitcnt vmcnt(0)
	v_add_co_u32 v8, vcc_lo, v4, s13
	v_add_co_ci_u32_e32 v9, vcc_lo, s12, v5, vcc_lo
	s_and_saveexec_b32 s11, s0
	s_cbranch_execz .LBB1_372
; %bb.371:
	v_dual_mov_b32 v10, s10 :: v_dual_mov_b32 v11, v2
	v_dual_mov_b32 v12, 2 :: v_dual_mov_b32 v13, 1
	global_store_b128 v[8:9], v[10:13], off offset:8
.LBB1_372:
	s_or_b32 exec_lo, exec_lo, s11
	s_lshl_b64 s[6:7], s[6:7], 12
	s_mov_b32 s12, 0
	v_add_co_u32 v6, vcc_lo, v6, s6
	v_add_co_ci_u32_e32 v7, vcc_lo, s7, v7, vcc_lo
	s_mov_b32 s13, s12
	s_delay_alu instid0(VALU_DEP_2)
	v_readfirstlane_b32 s6, v6
	v_add_co_u32 v6, vcc_lo, v6, v34
	s_mov_b32 s14, s12
	s_mov_b32 s15, s12
	v_and_or_b32 v0, 0xffffff1f, v0, 32
	v_dual_mov_b32 v3, v2 :: v_dual_mov_b32 v10, s12
	v_readfirstlane_b32 s7, v7
	v_add_co_ci_u32_e32 v7, vcc_lo, 0, v7, vcc_lo
	v_dual_mov_b32 v11, s13 :: v_dual_mov_b32 v12, s14
	v_mov_b32_e32 v13, s15
	s_clause 0x3
	global_store_b128 v34, v[0:3], s[6:7]
	global_store_b128 v34, v[10:13], s[6:7] offset:16
	global_store_b128 v34, v[10:13], s[6:7] offset:32
	;; [unrolled: 1-line block ×3, first 2 shown]
	s_and_saveexec_b32 s6, s0
	s_cbranch_execz .LBB1_380
; %bb.373:
	v_dual_mov_b32 v10, 0 :: v_dual_mov_b32 v11, s4
	v_mov_b32_e32 v12, s5
	s_clause 0x1
	global_load_b64 v[13:14], v10, s[2:3] offset:32 glc
	global_load_b64 v[0:1], v10, s[2:3] offset:40
	s_waitcnt vmcnt(0)
	v_readfirstlane_b32 s10, v0
	v_readfirstlane_b32 s11, v1
	s_delay_alu instid0(VALU_DEP_1) | instskip(NEXT) | instid1(SALU_CYCLE_1)
	s_and_b64 s[10:11], s[10:11], s[4:5]
	s_mul_i32 s7, s11, 24
	s_mul_hi_u32 s11, s10, 24
	s_mul_i32 s10, s10, 24
	s_add_i32 s11, s11, s7
	v_add_co_u32 v4, vcc_lo, v4, s10
	v_add_co_ci_u32_e32 v5, vcc_lo, s11, v5, vcc_lo
	s_mov_b32 s7, exec_lo
	global_store_b64 v[4:5], v[13:14], off
	s_waitcnt_vscnt null, 0x0
	global_atomic_cmpswap_b64 v[2:3], v10, v[11:14], s[2:3] offset:32 glc
	s_waitcnt vmcnt(0)
	v_cmpx_ne_u64_e64 v[2:3], v[13:14]
	s_cbranch_execz .LBB1_376
; %bb.374:
	s_mov_b32 s10, 0
.LBB1_375:                              ; =>This Inner Loop Header: Depth=1
	v_dual_mov_b32 v0, s4 :: v_dual_mov_b32 v1, s5
	s_sleep 1
	global_store_b64 v[4:5], v[2:3], off
	s_waitcnt_vscnt null, 0x0
	global_atomic_cmpswap_b64 v[0:1], v10, v[0:3], s[2:3] offset:32 glc
	s_waitcnt vmcnt(0)
	v_cmp_eq_u64_e32 vcc_lo, v[0:1], v[2:3]
	v_dual_mov_b32 v3, v1 :: v_dual_mov_b32 v2, v0
	s_or_b32 s10, vcc_lo, s10
	s_delay_alu instid0(SALU_CYCLE_1)
	s_and_not1_b32 exec_lo, exec_lo, s10
	s_cbranch_execnz .LBB1_375
.LBB1_376:
	s_or_b32 exec_lo, exec_lo, s7
	v_mov_b32_e32 v3, 0
	s_mov_b32 s10, exec_lo
	s_mov_b32 s7, exec_lo
	v_mbcnt_lo_u32_b32 v2, s10, 0
	global_load_b64 v[0:1], v3, s[2:3] offset:16
	v_cmpx_eq_u32_e32 0, v2
	s_cbranch_execz .LBB1_378
; %bb.377:
	s_bcnt1_i32_b32 s10, s10
	s_delay_alu instid0(SALU_CYCLE_1)
	v_mov_b32_e32 v2, s10
	s_waitcnt vmcnt(0)
	global_atomic_add_u64 v[0:1], v[2:3], off offset:8
.LBB1_378:
	s_or_b32 exec_lo, exec_lo, s7
	s_waitcnt vmcnt(0)
	global_load_b64 v[2:3], v[0:1], off offset:16
	s_waitcnt vmcnt(0)
	v_cmp_eq_u64_e32 vcc_lo, 0, v[2:3]
	s_cbranch_vccnz .LBB1_380
; %bb.379:
	global_load_b32 v0, v[0:1], off offset:24
	s_waitcnt vmcnt(0)
	v_dual_mov_b32 v1, 0 :: v_dual_and_b32 v4, 0xffffff, v0
	s_waitcnt_vscnt null, 0x0
	global_store_b64 v[2:3], v[0:1], off
	v_readfirstlane_b32 m0, v4
	s_sendmsg sendmsg(MSG_INTERRUPT)
.LBB1_380:
	s_or_b32 exec_lo, exec_lo, s6
	s_branch .LBB1_384
	.p2align	6
.LBB1_381:                              ;   in Loop: Header=BB1_384 Depth=1
	s_or_b32 exec_lo, exec_lo, s6
	s_delay_alu instid0(VALU_DEP_1) | instskip(NEXT) | instid1(VALU_DEP_1)
	v_readfirstlane_b32 s6, v0
	s_cmp_eq_u32 s6, 0
	s_cbranch_scc1 .LBB1_383
; %bb.382:                              ;   in Loop: Header=BB1_384 Depth=1
	s_sleep 1
	s_cbranch_execnz .LBB1_384
	s_branch .LBB1_386
	.p2align	6
.LBB1_383:
	s_branch .LBB1_386
.LBB1_384:                              ; =>This Inner Loop Header: Depth=1
	v_mov_b32_e32 v0, 1
	s_and_saveexec_b32 s6, s0
	s_cbranch_execz .LBB1_381
; %bb.385:                              ;   in Loop: Header=BB1_384 Depth=1
	global_load_b32 v0, v[8:9], off offset:20 glc
	s_waitcnt vmcnt(0)
	buffer_gl1_inv
	buffer_gl0_inv
	v_and_b32_e32 v0, 1, v0
	s_branch .LBB1_381
.LBB1_386:
	global_load_b64 v[0:1], v[6:7], off
	s_and_saveexec_b32 s6, s0
	s_cbranch_execz .LBB1_390
; %bb.387:
	v_mov_b32_e32 v8, 0
	s_clause 0x2
	global_load_b64 v[4:5], v8, s[2:3] offset:40
	global_load_b64 v[9:10], v8, s[2:3] offset:24 glc
	global_load_b64 v[6:7], v8, s[2:3]
	s_waitcnt vmcnt(2)
	v_add_co_u32 v11, vcc_lo, v4, 1
	v_add_co_ci_u32_e32 v12, vcc_lo, 0, v5, vcc_lo
	s_delay_alu instid0(VALU_DEP_2) | instskip(NEXT) | instid1(VALU_DEP_2)
	v_add_co_u32 v2, vcc_lo, v11, s4
	v_add_co_ci_u32_e32 v3, vcc_lo, s5, v12, vcc_lo
	s_delay_alu instid0(VALU_DEP_1) | instskip(SKIP_1) | instid1(VALU_DEP_1)
	v_cmp_eq_u64_e32 vcc_lo, 0, v[2:3]
	v_dual_cndmask_b32 v3, v3, v12 :: v_dual_cndmask_b32 v2, v2, v11
	v_and_b32_e32 v5, v3, v5
	s_delay_alu instid0(VALU_DEP_2) | instskip(NEXT) | instid1(VALU_DEP_2)
	v_and_b32_e32 v4, v2, v4
	v_mul_lo_u32 v5, v5, 24
	s_delay_alu instid0(VALU_DEP_2) | instskip(SKIP_1) | instid1(VALU_DEP_2)
	v_mul_hi_u32 v11, v4, 24
	v_mul_lo_u32 v4, v4, 24
	v_add_nc_u32_e32 v5, v11, v5
	s_waitcnt vmcnt(0)
	s_delay_alu instid0(VALU_DEP_2) | instskip(SKIP_1) | instid1(VALU_DEP_3)
	v_add_co_u32 v6, vcc_lo, v6, v4
	v_mov_b32_e32 v4, v9
	v_add_co_ci_u32_e32 v7, vcc_lo, v7, v5, vcc_lo
	v_mov_b32_e32 v5, v10
	global_store_b64 v[6:7], v[9:10], off
	s_waitcnt_vscnt null, 0x0
	global_atomic_cmpswap_b64 v[4:5], v8, v[2:5], s[2:3] offset:24 glc
	s_waitcnt vmcnt(0)
	v_cmp_ne_u64_e32 vcc_lo, v[4:5], v[9:10]
	s_and_b32 exec_lo, exec_lo, vcc_lo
	s_cbranch_execz .LBB1_390
; %bb.388:
	s_mov_b32 s0, 0
.LBB1_389:                              ; =>This Inner Loop Header: Depth=1
	s_sleep 1
	global_store_b64 v[6:7], v[4:5], off
	s_waitcnt_vscnt null, 0x0
	global_atomic_cmpswap_b64 v[9:10], v8, v[2:5], s[2:3] offset:24 glc
	s_waitcnt vmcnt(0)
	v_cmp_eq_u64_e32 vcc_lo, v[9:10], v[4:5]
	v_dual_mov_b32 v4, v9 :: v_dual_mov_b32 v5, v10
	s_or_b32 s0, vcc_lo, s0
	s_delay_alu instid0(SALU_CYCLE_1)
	s_and_not1_b32 exec_lo, exec_lo, s0
	s_cbranch_execnz .LBB1_389
.LBB1_390:
	s_or_b32 exec_lo, exec_lo, s6
.LBB1_391:
	s_delay_alu instid0(SALU_CYCLE_1)
	s_or_b32 exec_lo, exec_lo, s1
	s_getpc_b64 s[0:1]
	s_add_u32 s0, s0, .str.1@rel32@lo+4
	s_addc_u32 s1, s1, .str.1@rel32@hi+12
	s_getpc_b64 s[2:3]
	s_add_u32 s2, s2, .str.1@rel32@lo+32
	s_addc_u32 s3, s3, .str.1@rel32@hi+40
	s_sub_i32 s4, s2, s0
	s_getpc_b64 s[2:3]
	s_add_u32 s2, s2, __ockl_fprintf_append_string_n@rel32@lo+4
	s_addc_u32 s3, s3, __ockl_fprintf_append_string_n@rel32@hi+12
	s_ashr_i32 s5, s4, 31
	s_waitcnt vmcnt(0)
	v_dual_mov_b32 v2, s0 :: v_dual_mov_b32 v3, s1
	v_dual_mov_b32 v4, s4 :: v_dual_mov_b32 v5, s5
	v_mov_b32_e32 v6, 1
	s_swappc_b64 s[30:31], s[2:3]
	s_trap 2
	s_sendmsg_rtn_b32 s0, sendmsg(MSG_RTN_GET_DOORBELL)
	s_mov_b32 ttmp2, m0
	s_waitcnt lgkmcnt(0)
	s_and_b32 s0, s0, 0x3ff
	s_delay_alu instid0(SALU_CYCLE_1) | instskip(NEXT) | instid1(SALU_CYCLE_1)
	s_bitset1_b32 s0, 10
	s_mov_b32 m0, s0
	s_sendmsg sendmsg(MSG_INTERRUPT)
	s_mov_b32 m0, ttmp2
.LBB1_392:                              ; =>This Inner Loop Header: Depth=1
	s_sethalt 5
	s_branch .LBB1_392
.Lfunc_end1:
	.size	__assert_fail, .Lfunc_end1-__assert_fail
                                        ; -- End function
	.section	.AMDGPU.csdata,"",@progbits
; Function info:
; codeLenInByte = 16148
; NumSgprs: 36
; NumVgprs: 41
; ScratchSize: 64
; MemoryBound: 0
	.text
	.p2align	2                               ; -- Begin function _ZN12_GLOBAL__N_17runRingI12rccl_bfloat813FuncPreMulSumIS1_E11ProtoSimpleILi2ELi2ELi0ELi1ELi0ELi0EELi0ELi0ELi1ELi0EEEviiP15ncclDevWorkColl
	.type	_ZN12_GLOBAL__N_17runRingI12rccl_bfloat813FuncPreMulSumIS1_E11ProtoSimpleILi2ELi2ELi0ELi1ELi0ELi0EELi0ELi0ELi1ELi0EEEviiP15ncclDevWorkColl,@function
_ZN12_GLOBAL__N_17runRingI12rccl_bfloat813FuncPreMulSumIS1_E11ProtoSimpleILi2ELi2ELi0ELi1ELi0ELi0EELi0ELi0ELi1ELi0EEEviiP15ncclDevWorkColl: ; @_ZN12_GLOBAL__N_17runRingI12rccl_bfloat813FuncPreMulSumIS1_E11ProtoSimpleILi2ELi2ELi0ELi1ELi0ELi0EELi0ELi0ELi1ELi0EEEviiP15ncclDevWorkColl
; %bb.0:
	s_waitcnt vmcnt(0) expcnt(0) lgkmcnt(0)
	s_mov_b32 s0, s33
	s_mov_b32 s33, s32
	s_or_saveexec_b32 s1, -1
	s_clause 0x1
	scratch_store_b32 off, v45, s33 offset:20
	; meta instruction
	scratch_store_b32 off, v46, s33 offset:24
	s_mov_b32 exec_lo, s1
	v_writelane_b32 v45, s0, 14
	s_add_i32 s32, s32, 32
	s_clause 0x4
	scratch_store_b32 off, v40, s33 offset:16
	; meta instruction
	scratch_store_b32 off, v41, s33 offset:12
	; meta instruction
	;; [unrolled: 2-line block ×4, first 2 shown]
	scratch_store_b32 off, v44, s33
	v_writelane_b32 v45, s34, 0
	v_writelane_b32 v45, s35, 1
	;; [unrolled: 1-line block ×14, first 2 shown]
	s_cbranch_execz .LBB2_1
; %bb.7935:
	s_getpc_b64 s[48:49]
.Lpost_getpc0:
	s_add_u32 s48, s48, (.LBB2_7381-.Lpost_getpc0)&4294967295
	s_addc_u32 s49, s49, (.LBB2_7381-.Lpost_getpc0)>>32
	s_setpc_b64 s[48:49]
.LBB2_1:
	flat_load_b32 v7, v[2:3]
	ds_load_b32 v6, v0
	s_mov_b32 s0, exec_lo
                                        ; implicit-def: $vgpr32_vgpr33
                                        ; implicit-def: $vgpr14_vgpr15
                                        ; implicit-def: $vgpr4_vgpr5
	s_waitcnt lgkmcnt(0)
	v_readfirstlane_b32 s19, v6
	s_waitcnt vmcnt(0)
	v_and_b32_e32 v8, 0xff, v7
	s_delay_alu instid0(VALU_DEP_1)
	v_cmpx_ne_u32_e64 v8, v6
	s_xor_b32 s0, exec_lo, s0
	s_cbranch_execz .LBB2_2
; %bb.7937:
	s_getpc_b64 s[48:49]
.Lpost_getpc1:
	s_add_u32 s48, s48, (.LBB2_7383-.Lpost_getpc1)&4294967295
	s_addc_u32 s49, s49, (.LBB2_7383-.Lpost_getpc1)>>32
	s_setpc_b64 s[48:49]
.LBB2_2:
	s_and_not1_saveexec_b32 s0, s0
	s_cbranch_execz .LBB2_3
; %bb.7939:
	s_getpc_b64 s[48:49]
.Lpost_getpc2:
	s_add_u32 s48, s48, (.LBB2_7388-.Lpost_getpc2)&4294967295
	s_addc_u32 s49, s49, (.LBB2_7388-.Lpost_getpc2)>>32
	s_setpc_b64 s[48:49]
.LBB2_3:
	s_or_b32 exec_lo, exec_lo, s0
	s_cbranch_execz .LBB2_4
; %bb.7941:
	s_getpc_b64 s[48:49]
.Lpost_getpc3:
	s_add_u32 s48, s48, (.LBB2_7389-.Lpost_getpc3)&4294967295
	s_addc_u32 s49, s49, (.LBB2_7389-.Lpost_getpc3)>>32
	s_setpc_b64 s[48:49]
.LBB2_4:
	ds_load_b64 v[6:7], v0
	s_mov_b32 s1, exec_lo
	s_waitcnt lgkmcnt(0)
	v_cmp_ne_u32_e32 vcc_lo, -1, v6
	v_cndmask_b32_e64 v36, 0, 1, vcc_lo
	v_cmp_ne_u32_e32 vcc_lo, -1, v7
	s_delay_alu instid0(VALU_DEP_2) | instskip(NEXT) | instid1(VALU_DEP_1)
	v_add_co_ci_u32_e64 v8, s0, 0, v36, vcc_lo
	v_lshlrev_b32_e32 v6, 1, v8
	s_delay_alu instid0(VALU_DEP_1)
	v_cmpx_le_i32_e64 v6, v1
	s_xor_b32 s18, exec_lo, s1
	s_cbranch_execnz .LBB2_5
; %bb.7943:
	s_getpc_b64 s[48:49]
.Lpost_getpc4:
	s_add_u32 s48, s48, (.LBB2_7634-.Lpost_getpc4)&4294967295
	s_addc_u32 s49, s49, (.LBB2_7634-.Lpost_getpc4)>>32
	s_setpc_b64 s[48:49]
.LBB2_5:
	s_clause 0x3
	flat_load_b64 v[33:34], v[2:3] offset:104
	flat_load_b128 v[10:13], v[2:3] offset:16
	flat_load_u16 v7, v[2:3] offset:8
	flat_load_b32 v6, v[2:3] offset:4
	s_cbranch_execz .LBB2_6
; %bb.7945:
	s_getpc_b64 s[48:49]
.Lpost_getpc5:
	s_add_u32 s48, s48, (.LBB2_7391-.Lpost_getpc5)&4294967295
	s_addc_u32 s49, s49, (.LBB2_7391-.Lpost_getpc5)>>32
	s_setpc_b64 s[48:49]
.LBB2_6:
	s_load_b32 s0, s[8:9], 0x0
	v_dual_mov_b32 v9, 0 :: v_dual_mov_b32 v30, 4
	s_waitcnt lgkmcnt(0)
	s_cmp_lt_u32 s12, s0
	s_cselect_b32 s0, 12, 18
	s_delay_alu instid0(SALU_CYCLE_1)
	s_add_u32 s0, s8, s0
	s_addc_u32 s1, s9, 0
	global_load_u16 v35, v9, s[0:1]
	ds_load_b32 v9, v0
	s_mov_b32 s1, exec_lo
	s_waitcnt lgkmcnt(0)
	v_readfirstlane_b32 s5, v9
	v_cmpx_ge_i32_e64 v0, v36
	s_cbranch_execz .LBB2_16
; %bb.7:
	v_cmp_le_u32_e64 s0, v8, v0
                                        ; implicit-def: $vgpr30
	s_delay_alu instid0(VALU_DEP_1) | instskip(NEXT) | instid1(SALU_CYCLE_1)
	s_and_saveexec_b32 s2, s0
	s_xor_b32 s0, exec_lo, s2
	s_cbranch_execz .LBB2_13
; %bb.8:
	v_cndmask_b32_e64 v9, 0, 1, vcc_lo
	s_mov_b32 s2, exec_lo
                                        ; implicit-def: $sgpr3
	s_delay_alu instid0(VALU_DEP_1) | instskip(NEXT) | instid1(VALU_DEP_1)
	v_sub_nc_u32_e32 v9, v1, v9
	v_cmpx_ge_u32_e64 v0, v9
	s_xor_b32 s2, exec_lo, s2
; %bb.9:
	s_mov_b32 s3, 16
                                        ; implicit-def: $vgpr8
; %bb.10:
	s_or_saveexec_b32 s2, s2
	v_mov_b32_e32 v30, s3
	s_xor_b32 exec_lo, exec_lo, s2
; %bb.11:
	v_sub_nc_u32_e32 v8, v1, v8
	s_delay_alu instid0(VALU_DEP_1) | instskip(SKIP_1) | instid1(VALU_DEP_1)
	v_cmp_ge_i32_e32 vcc_lo, v0, v8
	v_cndmask_b32_e64 v8, 0, 1, vcc_lo
	v_lshlrev_b32_e32 v30, 5, v8
; %bb.12:
	s_or_b32 exec_lo, exec_lo, s2
.LBB2_13:
	s_and_not1_saveexec_b32 s0, s0
; %bb.14:
	v_mov_b32_e32 v30, 8
; %bb.15:
	s_or_b32 exec_lo, exec_lo, s0
.LBB2_16:
	s_delay_alu instid0(SALU_CYCLE_1) | instskip(NEXT) | instid1(VALU_DEP_1)
	s_or_b32 exec_lo, exec_lo, s1
	v_and_b32_e32 v8, 36, v30
	s_delay_alu instid0(VALU_DEP_1)
	v_cmp_ne_u32_e32 vcc_lo, 0, v8
	v_mov_b32_e32 v8, -1
	s_and_saveexec_b32 s0, vcc_lo
	s_cbranch_execz .LBB2_19
; %bb.17:
	s_cbranch_execz .LBB2_18
; %bb.7947:
	s_getpc_b64 s[48:49]
.Lpost_getpc6:
	s_add_u32 s48, s48, (.LBB2_7393-.Lpost_getpc6)&4294967295
	s_addc_u32 s49, s49, (.LBB2_7393-.Lpost_getpc6)>>32
	s_setpc_b64 s[48:49]
.LBB2_18:
	ds_load_b32 v8, v0
.LBB2_19:
	s_or_b32 exec_lo, exec_lo, s0
	v_and_b32_e32 v9, 24, v30
	s_mov_b32 s1, exec_lo
	s_delay_alu instid0(VALU_DEP_1)
	v_cmpx_ne_u32_e32 0, v9
	s_cbranch_execz .LBB2_22
; %bb.20:
	s_cbranch_execz .LBB2_21
; %bb.7949:
	s_getpc_b64 s[48:49]
.Lpost_getpc7:
	s_add_u32 s48, s48, (.LBB2_7395-.Lpost_getpc7)&4294967295
	s_addc_u32 s49, s49, (.LBB2_7395-.Lpost_getpc7)>>32
	s_setpc_b64 s[48:49]
.LBB2_21:
	s_waitcnt lgkmcnt(0)
	ds_load_b32 v8, v0
.LBB2_22:
	s_or_b32 exec_lo, exec_lo, s1
	s_waitcnt vmcnt(1)
	v_lshrrev_b64 v[6:7], 31, v[6:7]
	v_mov_b32_e32 v18, 0
	v_mov_b32_e32 v19, 0
                                        ; implicit-def: $vgpr16_vgpr17
                                        ; implicit-def: $vgpr68
                                        ; implicit-def: $vgpr22_vgpr23
                                        ; implicit-def: $vgpr24_vgpr25
                                        ; implicit-def: $vgpr28_vgpr29
                                        ; implicit-def: $vgpr20_vgpr21
	s_delay_alu instid0(VALU_DEP_2) | instskip(NEXT) | instid1(VALU_DEP_2)
	v_dual_mov_b32 v6, v18 :: v_dual_and_b32 v37, 3, v6
	v_mov_b32_e32 v7, v19
	s_and_saveexec_b32 s0, vcc_lo
	s_cbranch_execz .LBB2_35
; %bb.23:
	s_cbranch_execz .LBB2_24
; %bb.7951:
	s_getpc_b64 s[48:49]
.Lpost_getpc8:
	s_add_u32 s48, s48, (.LBB2_7397-.Lpost_getpc8)&4294967295
	s_addc_u32 s49, s49, (.LBB2_7397-.Lpost_getpc8)>>32
	s_setpc_b64 s[48:49]
.LBB2_24:
	ds_load_b64 v[6:7], v0
	s_waitcnt lgkmcnt(1)
	v_ashrrev_i32_e32 v9, 31, v8
	s_mov_b32 s1, exec_lo
	s_delay_alu instid0(VALU_DEP_1) | instskip(SKIP_2) | instid1(VALU_DEP_2)
	v_lshlrev_b64 v[16:17], 3, v[8:9]
	v_and_b32_e32 v9, 0xffff, v37
	s_waitcnt lgkmcnt(0)
	v_add_co_u32 v6, vcc_lo, v6, v16
	s_delay_alu instid0(VALU_DEP_3)
	v_add_co_ci_u32_e32 v7, vcc_lo, v7, v17, vcc_lo
	flat_load_b64 v[6:7], v[6:7]
	s_waitcnt vmcnt(0) lgkmcnt(0)
	v_mad_u64_u32 v[16:17], null, 0xa8, v9, v[6:7]
	flat_load_b32 v6, v[16:17] offset:640
	v_add_co_u32 v18, vcc_lo, 0x1f8, v16
	v_add_co_ci_u32_e32 v19, vcc_lo, 0, v17, vcc_lo
                                        ; implicit-def: $vgpr16_vgpr17
	s_waitcnt vmcnt(0) lgkmcnt(0)
	v_cmpx_eq_u32_e32 1, v6
	s_cbranch_execz .LBB2_27
; %bb.25:
	flat_load_b64 v[16:17], v[18:19] offset:144
	s_waitcnt vmcnt(0) lgkmcnt(0)
	flat_load_b64 v[6:7], v[16:17]
	s_cbranch_execz .LBB2_26
; %bb.7953:
	s_getpc_b64 s[48:49]
.Lpost_getpc9:
	s_add_u32 s48, s48, (.LBB2_7405-.Lpost_getpc9)&4294967295
	s_addc_u32 s49, s49, (.LBB2_7405-.Lpost_getpc9)>>32
	s_setpc_b64 s[48:49]
.LBB2_26:
	s_waitcnt vmcnt(0) lgkmcnt(0)
	ds_store_b64 v0, v[6:7]
	flat_load_b64 v[6:7], v[16:17] offset:8
	v_or_b32_e32 v30, 0x2000, v30
	s_waitcnt vmcnt(0) lgkmcnt(0)
	ds_store_b64 v0, v[6:7]
	flat_load_b64 v[6:7], v[16:17] offset:16
	s_waitcnt vmcnt(0) lgkmcnt(0)
	ds_store_b64 v0, v[6:7]
.LBB2_27:
	s_or_b32 exec_lo, exec_lo, s1
	flat_load_b64 v[6:7], v[18:19] offset:104
	v_and_b32_e32 v9, 32, v30
	s_mov_b32 s1, exec_lo
                                        ; implicit-def: $vgpr20_vgpr21
	s_waitcnt vmcnt(0) lgkmcnt(0)
	v_add_co_u32 v6, vcc_lo, v6, 3
	v_add_co_ci_u32_e32 v23, vcc_lo, 0, v7, vcc_lo
	s_delay_alu instid0(VALU_DEP_2)
	v_and_b32_e32 v22, -4, v6
	v_cmpx_ne_u32_e32 0, v9
	s_cbranch_execz .LBB2_29
; %bb.28:
	flat_load_b64 v[20:21], v[18:19] offset:56
	s_waitcnt vmcnt(0) lgkmcnt(0)
	s_waitcnt_vscnt null, 0x0
	flat_store_b64 v[20:21], v[22:23]
.LBB2_29:
	s_or_b32 exec_lo, exec_lo, s1
	v_dual_mov_b32 v6, 0 :: v_dual_and_b32 v9, 4, v30
	v_mov_b32_e32 v7, 0
	s_mov_b32 s1, exec_lo
                                        ; implicit-def: $vgpr68
                                        ; implicit-def: $vgpr24_vgpr25
                                        ; implicit-def: $vgpr28_vgpr29
	s_delay_alu instid0(VALU_DEP_2)
	v_cmpx_ne_u32_e32 0, v9
	s_cbranch_execz .LBB2_34
; %bb.30:
	v_and_b32_e32 v6, 0x800, v30
	s_mov_b32 s2, exec_lo
	s_delay_alu instid0(VALU_DEP_1)
	v_cmpx_eq_u32_e32 0, v6
	s_cbranch_execz .LBB2_33
; %bb.31:
	s_cbranch_execz .LBB2_32
; %bb.7955:
	s_getpc_b64 s[48:49]
.Lpost_getpc10:
	s_add_u32 s48, s48, (.LBB2_7407-.Lpost_getpc10)&4294967295
	s_addc_u32 s49, s49, (.LBB2_7407-.Lpost_getpc10)>>32
	s_setpc_b64 s[48:49]
.LBB2_32:
	ds_store_b64 v0, v[18:19]
.LBB2_33:
	s_or_b32 exec_lo, exec_lo, s2
	flat_load_b64 v[20:21], v[18:19] offset:48
	v_or_b32_e32 v9, 0x100, v30
	s_waitcnt vmcnt(0) lgkmcnt(0)
	flat_load_b64 v[28:29], v[20:21] glc
	s_clause 0x2
	flat_load_b64 v[6:7], v[18:19] offset:96
	flat_load_b32 v68, v[18:19] offset:72
	flat_load_b64 v[24:25], v[18:19] offset:16
	s_waitcnt vmcnt(2) lgkmcnt(2)
	v_cmp_eq_u64_e32 vcc_lo, 0, v[6:7]
	v_cndmask_b32_e32 v30, v9, v30, vcc_lo
.LBB2_34:
	s_or_b32 exec_lo, exec_lo, s1
.LBB2_35:
	s_delay_alu instid0(SALU_CYCLE_1) | instskip(NEXT) | instid1(VALU_DEP_1)
	s_or_b32 exec_lo, exec_lo, s0
	v_and_b32_e32 v9, 24, v30
	s_mov_b32 s0, exec_lo
                                        ; implicit-def: $vgpr26_vgpr27
	s_delay_alu instid0(VALU_DEP_1)
	v_cmpx_ne_u32_e32 0, v9
	s_cbranch_execz .LBB2_45
; %bb.36:
	s_cbranch_execz .LBB2_37
; %bb.7957:
	s_getpc_b64 s[48:49]
.Lpost_getpc11:
	s_add_u32 s48, s48, (.LBB2_7399-.Lpost_getpc11)&4294967295
	s_addc_u32 s49, s49, (.LBB2_7399-.Lpost_getpc11)>>32
	s_setpc_b64 s[48:49]
.LBB2_37:
	ds_load_b64 v[6:7], v0
	s_waitcnt lgkmcnt(1)
	v_ashrrev_i32_e32 v9, 31, v8
	v_or_b32_e32 v22, 0x100, v30
	s_mov_b32 s1, exec_lo
                                        ; implicit-def: $vgpr26_vgpr27
	s_delay_alu instid0(VALU_DEP_2) | instskip(SKIP_1) | instid1(VALU_DEP_1)
	v_lshlrev_b64 v[8:9], 3, v[8:9]
	s_waitcnt lgkmcnt(0)
	v_add_co_u32 v6, vcc_lo, v6, v8
	s_delay_alu instid0(VALU_DEP_2)
	v_add_co_ci_u32_e32 v7, vcc_lo, v7, v9, vcc_lo
	v_and_b32_e32 v8, 0xffff, v37
	flat_load_b64 v[6:7], v[6:7]
	s_waitcnt vmcnt(0) lgkmcnt(0)
	v_mad_u64_u32 v[18:19], null, 0xa8, v8, v[6:7]
	flat_load_b128 v[6:9], v[18:19] offset:96
	s_waitcnt vmcnt(0) lgkmcnt(0)
	v_cmp_eq_u64_e32 vcc_lo, 0, v[6:7]
	v_cndmask_b32_e32 v30, v22, v30, vcc_lo
	s_delay_alu instid0(VALU_DEP_1) | instskip(NEXT) | instid1(VALU_DEP_1)
	v_and_b32_e32 v22, 16, v30
	v_cmpx_ne_u32_e32 0, v22
; %bb.38:
	s_clause 0x2
	flat_load_b64 v[26:27], v[18:19] offset:120
	flat_load_b64 v[20:21], v[18:19] offset:48
	flat_load_b64 v[24:25], v[18:19] offset:16
; %bb.39:
	s_or_b32 exec_lo, exec_lo, s1
	v_and_b32_e32 v22, 8, v30
	s_mov_b32 s1, exec_lo
	s_delay_alu instid0(VALU_DEP_1)
	v_cmpx_ne_u32_e32 0, v22
	s_cbranch_execz .LBB2_44
; %bb.40:
	s_waitcnt vmcnt(1) lgkmcnt(1)
	v_and_b32_e32 v20, 0x800, v30
	s_mov_b32 s2, exec_lo
	s_delay_alu instid0(VALU_DEP_1)
	v_cmpx_eq_u32_e32 0, v20
	s_cbranch_execz .LBB2_43
; %bb.41:
	s_cbranch_execz .LBB2_42
; %bb.7959:
	s_getpc_b64 s[48:49]
.Lpost_getpc12:
	s_add_u32 s48, s48, (.LBB2_7409-.Lpost_getpc12)&4294967295
	s_addc_u32 s49, s49, (.LBB2_7409-.Lpost_getpc12)>>32
	s_setpc_b64 s[48:49]
.LBB2_42:
	ds_store_b64 v0, v[18:19]
.LBB2_43:
	s_or_b32 exec_lo, exec_lo, s2
	flat_load_b64 v[20:21], v[18:19] offset:56
	s_waitcnt vmcnt(0) lgkmcnt(0)
	flat_load_b64 v[28:29], v[20:21] glc
	s_clause 0x1
	flat_load_b32 v68, v[18:19] offset:72
	flat_load_b64 v[24:25], v[18:19] offset:16
.LBB2_44:
	s_or_b32 exec_lo, exec_lo, s1
	v_add_co_u32 v8, vcc_lo, v8, 3
	v_add_co_ci_u32_e32 v23, vcc_lo, 0, v9, vcc_lo
	s_delay_alu instid0(VALU_DEP_2)
	v_and_b32_e32 v22, -4, v8
.LBB2_45:
	s_or_b32 exec_lo, exec_lo, s0
	v_cmp_eq_u32_e64 s0, 0, v0
	s_delay_alu instid0(VALU_DEP_1)
	s_and_saveexec_b32 s1, s0
	s_cbranch_execz .LBB2_48
; %bb.46:
	s_waitcnt lgkmcnt(0)
	flat_load_b64 v[8:9], v[2:3] offset:32
	ds_store_2addr_b64 v0, v[12:13], v[10:11] offset1:1
	s_cbranch_execz .LBB2_47
; %bb.7961:
	s_getpc_b64 s[48:49]
.Lpost_getpc13:
	s_add_u32 s48, s48, (.LBB2_7401-.Lpost_getpc13)&4294967295
	s_addc_u32 s49, s49, (.LBB2_7401-.Lpost_getpc13)>>32
	s_setpc_b64 s[48:49]
.LBB2_47:
	s_waitcnt vmcnt(0) lgkmcnt(1)
	ds_store_b64 v0, v[8:9]
	ds_store_b64 v0, v[33:34]
.LBB2_48:
	s_or_b32 exec_lo, exec_lo, s1
	s_waitcnt vmcnt(0)
	v_dual_mov_b32 v12, 0 :: v_dual_and_b32 v69, 0xffff, v35
	v_mov_b32_e32 v13, 0
	s_mov_b32 s20, exec_lo
	v_cmpx_lt_i64_e32 0, v[4:5]
	s_cbranch_execnz .LBB2_49
; %bb.7963:
	s_getpc_b64 s[48:49]
.Lpost_getpc14:
	s_add_u32 s48, s48, (.LBB2_7375-.Lpost_getpc14)&4294967295
	s_addc_u32 s49, s49, (.LBB2_7375-.Lpost_getpc14)>>32
	s_setpc_b64 s[48:49]
.LBB2_49:
	s_waitcnt lgkmcnt(0)
	flat_load_b32 v8, v[2:3] offset:4
	v_dual_mov_b32 v3, 0 :: v_dual_and_b32 v2, 31, v31
	s_ashr_i32 s21, s19, 31
	s_add_u32 s22, s19, -1
	s_addc_u32 s23, s21, -1
	s_not_b32 s2, s19
	v_cmp_ge_i32_e32 vcc_lo, v0, v1
	v_cmp_eq_u32_e64 s1, 0, v2
	s_cmp_gt_i32 s19, 0
	s_mov_b32 s24, 0
	s_cselect_b32 s26, s2, -1
	s_cbranch_execz .LBB2_50
; %bb.7965:
	s_getpc_b64 s[48:49]
.Lpost_getpc15:
	s_add_u32 s48, s48, (.LBB2_7403-.Lpost_getpc15)&4294967295
	s_addc_u32 s49, s49, (.LBB2_7403-.Lpost_getpc15)>>32
	s_setpc_b64 s[48:49]
.LBB2_50:
	v_ashrrev_i32_e32 v9, 31, v0
	s_ashr_i32 s6, s5, 31
	v_lshrrev_b32_e32 v71, 5, v1
	s_lshr_b32 s6, s6, 25
	v_and_b32_e32 v2, 0x3ffffe00, v32
	v_lshrrev_b32_e32 v9, 27, v9
	s_add_i32 s5, s5, s6
	s_waitcnt vmcnt(0) lgkmcnt(0)
	v_and_b32_e32 v8, 1, v8
	s_add_i32 s25, s19, s19
	s_ashr_i32 s28, s5, 7
	v_add_nc_u32_e32 v9, v0, v9
	s_add_i32 s26, s26, s25
	v_lshlrev_b32_e32 v112, 4, v0
	s_ashr_i32 s27, s26, 31
	s_cmp_gt_i32 s19, 2
	v_dual_mov_b32 v115, 1 :: v_dual_and_b32 v10, 0xffffffe0, v9
	s_cselect_b32 s29, -1, 0
	s_add_i32 s13, s19, 1
	v_cmp_eq_u64_e64 s10, 0, v[26:27]
	s_delay_alu instid0(VALU_DEP_2)
	v_sub_nc_u32_e32 v81, v0, v10
	v_cmp_ne_u64_e64 s11, 0, v[26:27]
	v_ashrrev_i32_e32 v70, 31, v68
	v_cmp_eq_u32_e64 s2, 32, v1
	v_cmp_ne_u32_e64 s3, 32, v1
	v_cmp_lt_i32_e64 s6, v81, v36
	v_cmp_le_i32_e64 s12, v81, v36
	v_mov_b32_e32 v36, 0
	v_ashrrev_i32_e32 v80, 5, v9
	v_dual_mov_b32 v37, 0 :: v_dual_lshlrev_b32 v82, 9, v71
	v_lshl_add_u32 v9, v71, 10, 0xfffffc00
	s_delay_alu instid0(VALU_DEP_4) | instskip(NEXT) | instid1(VALU_DEP_4)
	v_dual_mov_b32 v12, v36 :: v_dual_and_b32 v87, 0xffffffe0, v1
	v_dual_mov_b32 v39, v3 :: v_dual_lshlrev_b32 v10, 10, v80
	s_delay_alu instid0(VALU_DEP_4) | instskip(SKIP_1) | instid1(VALU_DEP_3)
	v_mov_b32_e32 v13, v37
	v_dual_mov_b32 v38, v2 :: v_dual_add_nc_u32 v83, 0xfffffe00, v82
	v_lshl_add_u32 v34, v81, 4, v10
	v_ashrrev_i32_e32 v10, 31, v9
	v_add_co_u32 v84, s7, 0x400, v9
	v_lshl_add_u32 v9, v71, 8, 0xffffff00
	v_ashrrev_i32_e32 v86, 31, v83
	v_subrev_nc_u32_e32 v98, 32, v87
	v_add_co_ci_u32_e64 v85, s7, 0, v10, s7
	v_add_co_u32 v96, s7, 0x200, v83
	v_ashrrev_i32_e32 v10, 31, v9
	v_add_co_ci_u32_e64 v97, s7, 0, v86, s7
	v_add_co_u32 v99, s7, 0x100, v9
	v_ashrrev_i32_e32 v101, 31, v98
	s_delay_alu instid0(VALU_DEP_4) | instskip(SKIP_1) | instid1(VALU_DEP_1)
	v_add_co_ci_u32_e64 v100, s7, 0, v10, s7
	v_add_co_u32 v102, s7, v98, 32
	v_add_co_ci_u32_e64 v103, s7, 0, v101, s7
	v_cmp_eq_u32_e64 s7, 1, v8
	v_mad_i64_i32 v[32:33], null, v2, s19, 0
	v_cmp_ne_u32_e64 s4, v69, v1
	v_cmp_gt_i32_e64 s5, 1, v81
	s_delay_alu instid0(VALU_DEP_4)
	s_xor_b32 vcc_hi, s7, -1
	s_cmp_le_i32 s19, s13
	v_ashrrev_i32_e32 v35, 31, v34
	s_cselect_b32 s14, s19, 0
	v_sub_nc_u32_e32 v113, 0, v80
	v_ashrrev_i32_e32 v114, 31, v112
	s_sub_i32 s35, s13, s14
	s_add_i32 s14, s19, -2
	s_ashr_i32 s34, s35, 31
	s_xor_b32 s30, vcc_lo, -1
	s_sub_i32 s31, 0, s19
.LBB2_51:                               ; =>This Loop Header: Depth=1
                                        ;     Child Loop BB2_59 Depth 2
                                        ;       Child Loop BB2_68 Depth 3
                                        ;       Child Loop BB2_95 Depth 3
                                        ;       Child Loop BB2_118 Depth 3
                                        ;       Child Loop BB2_144 Depth 3
                                        ;       Child Loop BB2_671 Depth 3
                                        ;       Child Loop BB2_943 Depth 3
                                        ;       Child Loop BB2_1087 Depth 3
                                        ;       Child Loop BB2_1125 Depth 3
                                        ;       Child Loop BB2_1151 Depth 3
                                        ;     Child Loop BB2_1172 Depth 2
                                        ;       Child Loop BB2_1178 Depth 3
                                        ;       Child Loop BB2_1205 Depth 3
	;; [unrolled: 1-line block ×3, first 2 shown]
                                        ;     Child Loop BB2_1253 Depth 2
                                        ;       Child Loop BB2_1255 Depth 3
                                        ;         Child Loop BB2_1264 Depth 4
                                        ;         Child Loop BB2_1296 Depth 4
	;; [unrolled: 1-line block ×9, first 2 shown]
                                        ;       Child Loop BB2_3101 Depth 3
                                        ;         Child Loop BB2_3107 Depth 4
                                        ;         Child Loop BB2_3137 Depth 4
	;; [unrolled: 1-line block ×3, first 2 shown]
                                        ;     Child Loop BB2_3186 Depth 2
                                        ;       Child Loop BB2_3195 Depth 3
                                        ;       Child Loop BB2_3225 Depth 3
	;; [unrolled: 1-line block ×4, first 2 shown]
                                        ;         Child Loop BB2_3731 Depth 4
                                        ;       Child Loop BB2_3931 Depth 3
                                        ;         Child Loop BB2_4389 Depth 4
                                        ;       Child Loop BB2_4592 Depth 3
                                        ;       Child Loop BB2_4928 Depth 3
                                        ;         Child Loop BB2_4967 Depth 4
                                        ;       Child Loop BB2_4995 Depth 3
                                        ;       Child Loop BB2_5650 Depth 3
	;; [unrolled: 1-line block ×6, first 2 shown]
                                        ;     Child Loop BB2_6751 Depth 2
                                        ;       Child Loop BB2_6757 Depth 3
                                        ;       Child Loop BB2_6789 Depth 3
	;; [unrolled: 1-line block ×3, first 2 shown]
                                        ;     Child Loop BB2_6837 Depth 2
                                        ;       Child Loop BB2_6839 Depth 3
                                        ;         Child Loop BB2_6848 Depth 4
                                        ;         Child Loop BB2_6880 Depth 4
	;; [unrolled: 1-line block ×4, first 2 shown]
                                        ;           Child Loop BB2_6929 Depth 5
                                        ;         Child Loop BB2_6936 Depth 4
                                        ;           Child Loop BB2_6937 Depth 5
                                        ;         Child Loop BB2_6948 Depth 4
                                        ;         Child Loop BB2_6954 Depth 4
                                        ;           Child Loop BB2_6955 Depth 5
                                        ;         Child Loop BB2_6969 Depth 4
                                        ;         Child Loop BB2_6975 Depth 4
	;; [unrolled: 1-line block ×6, first 2 shown]
                                        ;       Child Loop BB2_7050 Depth 3
                                        ;         Child Loop BB2_7056 Depth 4
                                        ;         Child Loop BB2_7086 Depth 4
	;; [unrolled: 1-line block ×3, first 2 shown]
                                        ;     Child Loop BB2_7135 Depth 2
                                        ;       Child Loop BB2_7144 Depth 3
                                        ;       Child Loop BB2_7171 Depth 3
                                        ;       Child Loop BB2_7194 Depth 3
                                        ;       Child Loop BB2_7217 Depth 3
                                        ;       Child Loop BB2_7223 Depth 3
                                        ;       Child Loop BB2_7233 Depth 3
                                        ;       Child Loop BB2_7239 Depth 3
                                        ;       Child Loop BB2_7251 Depth 3
                                        ;       Child Loop BB2_7277 Depth 3
                                        ;     Child Loop BB2_7296 Depth 2
                                        ;       Child Loop BB2_7302 Depth 3
                                        ;       Child Loop BB2_7329 Depth 3
	;; [unrolled: 1-line block ×3, first 2 shown]
	v_sub_co_u32 v48, vcc_lo, v4, v36
	v_sub_co_ci_u32_e32 v49, vcc_lo, v5, v37, vcc_lo
	s_mov_b32 s36, exec_lo
	s_delay_alu instid0(VALU_DEP_1)
	v_cmpx_lt_i64_e64 v[48:49], v[32:33]
	s_cbranch_execz .LBB2_57
; %bb.52:                               ;   in Loop: Header=BB2_51 Depth=1
	v_add_co_u32 v2, vcc_lo, s22, v48
	v_add_co_ci_u32_e32 v10, vcc_lo, s23, v49, vcc_lo
	v_mov_b32_e32 v8, v3
	s_delay_alu instid0(VALU_DEP_2) | instskip(NEXT) | instid1(VALU_DEP_1)
	v_or_b32_e32 v9, s21, v10
	v_cmp_ne_u64_e32 vcc_lo, 0, v[8:9]
                                        ; implicit-def: $vgpr8_vgpr9
	s_and_saveexec_b32 s13, vcc_lo
	s_delay_alu instid0(SALU_CYCLE_1)
	s_xor_b32 s37, exec_lo, s13
	s_cbranch_execz .LBB2_54
; %bb.53:                               ;   in Loop: Header=BB2_51 Depth=1
	s_add_u32 s16, s19, s21
	s_mov_b32 s38, s14
	s_mov_b32 s14, s21
	;; [unrolled: 1-line block ×3, first 2 shown]
	s_addc_u32 s17, s21, s21
	s_delay_alu instid0(SALU_CYCLE_1) | instskip(NEXT) | instid1(SALU_CYCLE_1)
	s_xor_b64 s[16:17], s[16:17], s[14:15]
	v_cvt_f32_u32_e32 v8, s16
	v_cvt_f32_u32_e32 v9, s17
	s_sub_u32 s13, 0, s16
	s_subb_u32 s39, 0, s17
	s_delay_alu instid0(VALU_DEP_1) | instskip(NEXT) | instid1(VALU_DEP_1)
	v_fmac_f32_e32 v8, 0x4f800000, v9
	v_rcp_f32_e32 v8, v8
	s_waitcnt_depctr 0xfff
	v_mul_f32_e32 v8, 0x5f7ffffc, v8
	s_delay_alu instid0(VALU_DEP_1) | instskip(NEXT) | instid1(VALU_DEP_1)
	v_mul_f32_e32 v9, 0x2f800000, v8
	v_trunc_f32_e32 v9, v9
	s_delay_alu instid0(VALU_DEP_1) | instskip(SKIP_1) | instid1(VALU_DEP_2)
	v_fmac_f32_e32 v8, 0xcf800000, v9
	v_cvt_u32_f32_e32 v9, v9
	v_cvt_u32_f32_e32 v8, v8
	s_delay_alu instid0(VALU_DEP_2) | instskip(NEXT) | instid1(VALU_DEP_2)
	v_mul_lo_u32 v11, s13, v9
	v_mul_hi_u32 v38, s13, v8
	v_mul_lo_u32 v39, s39, v8
	s_delay_alu instid0(VALU_DEP_2) | instskip(SKIP_1) | instid1(VALU_DEP_2)
	v_add_nc_u32_e32 v11, v38, v11
	v_mul_lo_u32 v38, s13, v8
	v_add_nc_u32_e32 v11, v11, v39
	s_delay_alu instid0(VALU_DEP_2) | instskip(NEXT) | instid1(VALU_DEP_2)
	v_mul_hi_u32 v39, v8, v38
	v_mul_lo_u32 v50, v8, v11
	v_mul_hi_u32 v51, v8, v11
	v_mul_hi_u32 v52, v9, v38
	v_mul_lo_u32 v38, v9, v38
	v_mul_hi_u32 v53, v9, v11
	v_mul_lo_u32 v11, v9, v11
	v_add_co_u32 v39, vcc_lo, v39, v50
	v_add_co_ci_u32_e32 v50, vcc_lo, 0, v51, vcc_lo
	s_delay_alu instid0(VALU_DEP_2) | instskip(NEXT) | instid1(VALU_DEP_2)
	v_add_co_u32 v38, vcc_lo, v39, v38
	v_add_co_ci_u32_e32 v38, vcc_lo, v50, v52, vcc_lo
	v_add_co_ci_u32_e32 v39, vcc_lo, 0, v53, vcc_lo
	v_ashrrev_i32_e32 v52, 31, v10
	s_delay_alu instid0(VALU_DEP_3) | instskip(NEXT) | instid1(VALU_DEP_3)
	v_add_co_u32 v11, vcc_lo, v38, v11
	v_add_co_ci_u32_e32 v38, vcc_lo, 0, v39, vcc_lo
	s_delay_alu instid0(VALU_DEP_2) | instskip(NEXT) | instid1(VALU_DEP_2)
	v_add_co_u32 v8, vcc_lo, v8, v11
	v_add_co_ci_u32_e32 v9, vcc_lo, v9, v38, vcc_lo
	s_delay_alu instid0(VALU_DEP_2) | instskip(SKIP_1) | instid1(VALU_DEP_3)
	v_mul_hi_u32 v11, s13, v8
	v_mul_lo_u32 v39, s39, v8
	v_mul_lo_u32 v38, s13, v9
	s_delay_alu instid0(VALU_DEP_1) | instskip(SKIP_1) | instid1(VALU_DEP_2)
	v_add_nc_u32_e32 v11, v11, v38
	v_mul_lo_u32 v38, s13, v8
	v_add_nc_u32_e32 v11, v11, v39
	s_delay_alu instid0(VALU_DEP_2) | instskip(NEXT) | instid1(VALU_DEP_2)
	v_mul_hi_u32 v39, v8, v38
	v_mul_lo_u32 v50, v8, v11
	v_mul_hi_u32 v51, v8, v11
	v_mul_hi_u32 v53, v9, v38
	v_mul_lo_u32 v38, v9, v38
	v_mul_hi_u32 v54, v9, v11
	v_mul_lo_u32 v11, v9, v11
	v_add_co_u32 v39, vcc_lo, v39, v50
	v_add_co_ci_u32_e32 v50, vcc_lo, 0, v51, vcc_lo
	s_delay_alu instid0(VALU_DEP_2) | instskip(NEXT) | instid1(VALU_DEP_2)
	v_add_co_u32 v38, vcc_lo, v39, v38
	v_add_co_ci_u32_e32 v38, vcc_lo, v50, v53, vcc_lo
	v_add_co_ci_u32_e32 v39, vcc_lo, 0, v54, vcc_lo
	v_add_co_u32 v2, vcc_lo, v2, v52
	v_add_co_ci_u32_e32 v10, vcc_lo, v10, v52, vcc_lo
	s_delay_alu instid0(VALU_DEP_4) | instskip(NEXT) | instid1(VALU_DEP_4)
	v_add_co_u32 v11, vcc_lo, v38, v11
	v_add_co_ci_u32_e32 v38, vcc_lo, 0, v39, vcc_lo
	s_delay_alu instid0(VALU_DEP_4) | instskip(NEXT) | instid1(VALU_DEP_3)
	v_xor_b32_e32 v2, v2, v52
	v_add_co_u32 v39, vcc_lo, v8, v11
	s_delay_alu instid0(VALU_DEP_3) | instskip(SKIP_1) | instid1(VALU_DEP_3)
	v_add_co_ci_u32_e32 v50, vcc_lo, v9, v38, vcc_lo
	v_xor_b32_e32 v51, v10, v52
	v_mul_hi_u32 v53, v2, v39
	s_delay_alu instid0(VALU_DEP_3) | instskip(NEXT) | instid1(VALU_DEP_3)
	v_mad_u64_u32 v[8:9], null, v2, v50, 0
	v_mad_u64_u32 v[10:11], null, v51, v39, 0
	;; [unrolled: 1-line block ×3, first 2 shown]
	s_delay_alu instid0(VALU_DEP_3) | instskip(NEXT) | instid1(VALU_DEP_4)
	v_add_co_u32 v8, vcc_lo, v53, v8
	v_add_co_ci_u32_e32 v9, vcc_lo, 0, v9, vcc_lo
	s_delay_alu instid0(VALU_DEP_2) | instskip(NEXT) | instid1(VALU_DEP_2)
	v_add_co_u32 v8, vcc_lo, v8, v10
	v_add_co_ci_u32_e32 v8, vcc_lo, v9, v11, vcc_lo
	v_add_co_ci_u32_e32 v9, vcc_lo, 0, v39, vcc_lo
	s_delay_alu instid0(VALU_DEP_2) | instskip(NEXT) | instid1(VALU_DEP_2)
	v_add_co_u32 v10, vcc_lo, v8, v38
	v_add_co_ci_u32_e32 v11, vcc_lo, 0, v9, vcc_lo
	s_delay_alu instid0(VALU_DEP_2) | instskip(SKIP_1) | instid1(VALU_DEP_3)
	v_mul_lo_u32 v38, s17, v10
	v_mad_u64_u32 v[8:9], null, s16, v10, 0
	v_mul_lo_u32 v39, s16, v11
	s_delay_alu instid0(VALU_DEP_2) | instskip(NEXT) | instid1(VALU_DEP_2)
	v_sub_co_u32 v2, vcc_lo, v2, v8
	v_add3_u32 v9, v9, v39, v38
	s_delay_alu instid0(VALU_DEP_1) | instskip(NEXT) | instid1(VALU_DEP_1)
	v_sub_nc_u32_e32 v38, v51, v9
	v_subrev_co_ci_u32_e64 v8, s13, s17, v38, vcc_lo
	v_add_co_u32 v38, s13, v10, 2
	s_delay_alu instid0(VALU_DEP_1) | instskip(SKIP_3) | instid1(VALU_DEP_3)
	v_add_co_ci_u32_e64 v39, s13, 0, v11, s13
	v_sub_co_u32 v50, s13, v2, s16
	v_sub_co_ci_u32_e32 v9, vcc_lo, v51, v9, vcc_lo
	v_subrev_co_ci_u32_e64 v8, s13, 0, v8, s13
	v_cmp_le_u32_e32 vcc_lo, s16, v50
	s_delay_alu instid0(VALU_DEP_3) | instskip(SKIP_1) | instid1(VALU_DEP_4)
	v_cmp_eq_u32_e64 s13, s17, v9
	v_cndmask_b32_e64 v50, 0, -1, vcc_lo
	v_cmp_le_u32_e32 vcc_lo, s17, v8
	v_cndmask_b32_e64 v51, 0, -1, vcc_lo
	v_cmp_le_u32_e32 vcc_lo, s16, v2
	;; [unrolled: 2-line block ×3, first 2 shown]
	v_cndmask_b32_e64 v53, 0, -1, vcc_lo
	v_cmp_eq_u32_e32 vcc_lo, s17, v8
	s_delay_alu instid0(VALU_DEP_2) | instskip(SKIP_3) | instid1(VALU_DEP_3)
	v_cndmask_b32_e64 v2, v53, v2, s13
	v_cndmask_b32_e32 v8, v51, v50, vcc_lo
	v_add_co_u32 v50, vcc_lo, v10, 1
	v_add_co_ci_u32_e32 v51, vcc_lo, 0, v11, vcc_lo
	v_cmp_ne_u32_e32 vcc_lo, 0, v8
	s_delay_alu instid0(VALU_DEP_2) | instskip(SKIP_3) | instid1(VALU_DEP_3)
	v_dual_cndmask_b32 v8, v51, v39 :: v_dual_cndmask_b32 v9, v50, v38
	v_cmp_ne_u32_e32 vcc_lo, 0, v2
	v_xor_b32_e32 v2, s14, v52
	s_mov_b32 s14, s38
	v_dual_cndmask_b32 v8, v11, v8 :: v_dual_cndmask_b32 v9, v10, v9
	v_xor_b32_e32 v10, s15, v52
	s_delay_alu instid0(VALU_DEP_2) | instskip(NEXT) | instid1(VALU_DEP_2)
	v_xor_b32_e32 v9, v9, v2
	v_xor_b32_e32 v11, v8, v10
	s_delay_alu instid0(VALU_DEP_2) | instskip(NEXT) | instid1(VALU_DEP_2)
	v_sub_co_u32 v8, vcc_lo, v9, v2
	v_sub_co_ci_u32_e32 v9, vcc_lo, v11, v10, vcc_lo
                                        ; implicit-def: $vgpr2
.LBB2_54:                               ;   in Loop: Header=BB2_51 Depth=1
	s_and_not1_saveexec_b32 s13, s37
	s_cbranch_execz .LBB2_56
; %bb.55:                               ;   in Loop: Header=BB2_51 Depth=1
	v_cvt_f32_u32_e32 v8, s19
	s_delay_alu instid0(VALU_DEP_1) | instskip(SKIP_2) | instid1(VALU_DEP_1)
	v_rcp_iflag_f32_e32 v8, v8
	s_waitcnt_depctr 0xfff
	v_mul_f32_e32 v8, 0x4f7ffffe, v8
	v_cvt_u32_f32_e32 v8, v8
	s_delay_alu instid0(VALU_DEP_1) | instskip(NEXT) | instid1(VALU_DEP_1)
	v_mul_lo_u32 v9, s31, v8
	v_mul_hi_u32 v9, v8, v9
	s_delay_alu instid0(VALU_DEP_1) | instskip(NEXT) | instid1(VALU_DEP_1)
	v_add_nc_u32_e32 v8, v8, v9
	v_mul_hi_u32 v8, v2, v8
	s_delay_alu instid0(VALU_DEP_1) | instskip(NEXT) | instid1(VALU_DEP_1)
	v_mul_lo_u32 v9, v8, s19
	v_sub_nc_u32_e32 v2, v2, v9
	s_delay_alu instid0(VALU_DEP_1) | instskip(SKIP_1) | instid1(VALU_DEP_2)
	v_subrev_nc_u32_e32 v10, s19, v2
	v_cmp_le_u32_e32 vcc_lo, s19, v2
	v_dual_cndmask_b32 v2, v2, v10 :: v_dual_add_nc_u32 v9, 1, v8
	s_delay_alu instid0(VALU_DEP_1) | instskip(NEXT) | instid1(VALU_DEP_2)
	v_cndmask_b32_e32 v8, v8, v9, vcc_lo
	v_cmp_le_u32_e32 vcc_lo, s19, v2
	s_delay_alu instid0(VALU_DEP_2) | instskip(NEXT) | instid1(VALU_DEP_1)
	v_add_nc_u32_e32 v9, 1, v8
	v_cndmask_b32_e32 v2, v8, v9, vcc_lo
	s_delay_alu instid0(VALU_DEP_1)
	v_dual_mov_b32 v9, v3 :: v_dual_mov_b32 v8, v2
.LBB2_56:                               ;   in Loop: Header=BB2_51 Depth=1
	s_or_b32 exec_lo, exec_lo, s13
	s_delay_alu instid0(VALU_DEP_1) | instskip(NEXT) | instid1(VALU_DEP_2)
	v_add_co_u32 v2, vcc_lo, v8, 15
	v_add_co_ci_u32_e32 v39, vcc_lo, 0, v9, vcc_lo
	s_delay_alu instid0(VALU_DEP_2)
	v_and_b32_e32 v38, -16, v2
.LBB2_57:                               ;   in Loop: Header=BB2_51 Depth=1
	s_or_b32 exec_lo, exec_lo, s36
	s_delay_alu instid0(VALU_DEP_2) | instskip(NEXT) | instid1(VALU_DEP_2)
	v_mul_lo_u32 v2, v39, s26
	v_mul_lo_u32 v8, v38, s27
	v_mad_u64_u32 v[52:53], null, v38, s26, 0
	s_mov_b32 s16, 0
	v_mov_b32_e32 v119, 0
	s_delay_alu instid0(VALU_DEP_2) | instskip(NEXT) | instid1(VALU_DEP_3)
	v_add3_u32 v53, v53, v8, v2
	v_sub_co_u32 v8, vcc_lo, v48, v52
	s_delay_alu instid0(VALU_DEP_2) | instskip(NEXT) | instid1(VALU_DEP_1)
	v_sub_co_ci_u32_e32 v9, vcc_lo, v49, v53, vcc_lo
	v_cmp_lt_i64_e32 vcc_lo, v[38:39], v[8:9]
	v_cndmask_b32_e32 v8, v8, v38, vcc_lo
	v_add_co_u32 v116, vcc_lo, v36, v14
	v_add_co_ci_u32_e32 v117, vcc_lo, v37, v15, vcc_lo
	s_delay_alu instid0(VALU_DEP_3) | instskip(SKIP_1) | instid1(VALU_DEP_2)
	v_max_i32_e32 v118, 0, v8
	v_cmp_lt_i32_e32 vcc_lo, 0, v8
	v_add_nc_u32_e32 v2, 31, v118
	s_and_b32 s13, s30, vcc_lo
	s_delay_alu instid0(VALU_DEP_1) | instskip(NEXT) | instid1(VALU_DEP_1)
	v_lshrrev_b32_e32 v2, 1, v2
	v_dual_mov_b32 v2, 0 :: v_dual_and_b32 v9, 0x3ffffff0, v2
	s_delay_alu instid0(VALU_DEP_1)
	v_max_i32_e32 v50, s28, v9
	s_and_saveexec_b32 s15, s13
                                        ; implicit-def: $vgpr46 : SGPR spill to VGPR lane
	s_cbranch_execz .LBB2_1170
; %bb.58:                               ;   in Loop: Header=BB2_51 Depth=1
	v_mov_b32_e32 v119, 0
	s_mov_b32 s36, 1
	s_mov_b32 s17, -1
.LBB2_59:                               ;   Parent Loop BB2_51 Depth=1
                                        ; =>  This Loop Header: Depth=2
                                        ;       Child Loop BB2_68 Depth 3
                                        ;       Child Loop BB2_95 Depth 3
	;; [unrolled: 1-line block ×9, first 2 shown]
	s_and_saveexec_b32 s13, s0
	s_cbranch_execz .LBB2_62
; %bb.60:                               ;   in Loop: Header=BB2_59 Depth=2
	s_cbranch_execz .LBB2_61
; %bb.7967:
	s_getpc_b64 s[48:49]
.Lpost_getpc16:
	s_add_u32 s48, s48, (.LBB2_7426-.Lpost_getpc16)&4294967295
	s_addc_u32 s49, s49, (.LBB2_7426-.Lpost_getpc16)>>32
	s_setpc_b64 s[48:49]
.LBB2_61:                               ;   in Loop: Header=BB2_59 Depth=2
	ds_load_b64 v[8:9], v0
	s_waitcnt lgkmcnt(0)
	v_add_co_u32 v2, vcc_lo, v8, v116
	v_add_co_ci_u32_e32 v8, vcc_lo, v9, v117, vcc_lo
	v_ashrrev_i32_e32 v9, 31, v119
	s_delay_alu instid0(VALU_DEP_3) | instskip(NEXT) | instid1(VALU_DEP_3)
	v_add_co_u32 v2, vcc_lo, v2, v52
	v_add_co_ci_u32_e32 v10, vcc_lo, v8, v53, vcc_lo
	s_delay_alu instid0(VALU_DEP_2) | instskip(NEXT) | instid1(VALU_DEP_2)
	v_add_co_u32 v8, vcc_lo, v2, v119
	v_add_co_ci_u32_e32 v9, vcc_lo, v10, v9, vcc_lo
	v_mov_b32_e32 v2, v3
	ds_store_b64 v0, v[8:9]
	ds_store_b64 v0, v[2:3]
.LBB2_62:                               ;   in Loop: Header=BB2_59 Depth=2
	s_or_b32 exec_lo, exec_lo, s13
	v_and_b32_e32 v2, 8, v30
	s_mov_b32 s37, -1
	s_mov_b32 s13, exec_lo
	s_delay_alu instid0(VALU_DEP_1)
	v_cmpx_ne_u32_e32 0, v2
	s_cbranch_execz .LBB2_76
; %bb.63:                               ;   in Loop: Header=BB2_59 Depth=2
	v_add_co_u32 v10, vcc_lo, v28, 8
	v_add_co_ci_u32_e32 v11, vcc_lo, 0, v29, vcc_lo
	v_add_co_u32 v8, vcc_lo, v22, 2
	v_add_co_ci_u32_e32 v9, vcc_lo, 0, v23, vcc_lo
	v_mov_b32_e32 v2, 1
	s_mov_b32 s37, exec_lo
	s_delay_alu instid0(VALU_DEP_2)
	v_cmpx_lt_u64_e64 v[10:11], v[8:9]
	s_cbranch_execz .LBB2_75
; %bb.64:                               ;   in Loop: Header=BB2_59 Depth=2
	v_mov_b32_e32 v2, 0
	s_mov_b32 s38, 0
                                        ; implicit-def: $sgpr39
	s_branch .LBB2_68
.LBB2_65:                               ;   in Loop: Header=BB2_68 Depth=3
	s_or_b32 exec_lo, exec_lo, s43
	v_mov_b32_e32 v10, 0
	s_or_not1_b32 s42, s42, exec_lo
.LBB2_66:                               ;   in Loop: Header=BB2_68 Depth=3
	s_or_b32 exec_lo, exec_lo, s41
	s_delay_alu instid0(VALU_DEP_1) | instskip(SKIP_2) | instid1(SALU_CYCLE_1)
	v_mov_b32_e32 v2, v10
	s_and_not1_b32 vcc_lo, s39, exec_lo
	s_and_b32 s39, s42, exec_lo
	s_or_b32 s39, vcc_lo, s39
.LBB2_67:                               ;   in Loop: Header=BB2_68 Depth=3
	s_or_b32 exec_lo, exec_lo, s40
	s_waitcnt vmcnt(0) lgkmcnt(0)
	v_add_co_u32 v10, vcc_lo, v28, 8
	v_add_co_ci_u32_e32 v11, vcc_lo, 0, v29, vcc_lo
	s_xor_b32 s40, s39, -1
	s_delay_alu instid0(VALU_DEP_1) | instskip(SKIP_1) | instid1(SALU_CYCLE_1)
	v_cmp_ge_u64_e32 vcc_lo, v[10:11], v[8:9]
	s_or_b32 vcc_lo, s40, vcc_lo
	s_and_b32 vcc_lo, exec_lo, vcc_lo
	s_delay_alu instid0(SALU_CYCLE_1) | instskip(NEXT) | instid1(SALU_CYCLE_1)
	s_or_b32 s38, vcc_lo, s38
	s_and_not1_b32 exec_lo, exec_lo, s38
	s_cbranch_execz .LBB2_74
.LBB2_68:                               ;   Parent Loop BB2_51 Depth=1
                                        ;     Parent Loop BB2_59 Depth=2
                                        ; =>    This Inner Loop Header: Depth=3
	s_sleep 1
	flat_load_b64 v[28:29], v[20:21] glc
	v_and_b32_e32 v10, 64, v30
	s_and_not1_b32 s39, s39, exec_lo
	s_mov_b32 s40, exec_lo
	s_delay_alu instid0(VALU_DEP_1)
	v_cmpx_eq_u32_e32 0, v10
	s_cbranch_execz .LBB2_67
; %bb.69:                               ;   in Loop: Header=BB2_68 Depth=3
	v_add_nc_u32_e32 v10, 1, v2
	s_mov_b32 s42, -1
	s_mov_b32 s41, exec_lo
	v_cmpx_lt_i32_e32 0x270e, v2
	s_cbranch_execz .LBB2_66
; %bb.70:                               ;   in Loop: Header=BB2_68 Depth=3
	s_cbranch_execz .LBB2_71
; %bb.7969:
	s_getpc_b64 s[48:49]
.Lpost_getpc17:
	s_add_u32 s48, s48, (.LBB2_7448-.Lpost_getpc17)&4294967295
	s_addc_u32 s49, s49, (.LBB2_7448-.Lpost_getpc17)>>32
	s_setpc_b64 s[48:49]
.LBB2_71:                               ;   in Loop: Header=BB2_68 Depth=3
	ds_load_b64 v[10:11], v0
	s_mov_b32 s43, exec_lo
	s_waitcnt vmcnt(0) lgkmcnt(0)
	s_waitcnt_vscnt null, 0x0
	flat_load_b32 v2, v[10:11] glc
	s_waitcnt vmcnt(0) lgkmcnt(0)
	buffer_gl1_inv
	buffer_gl0_inv
	v_cmpx_ne_u32_e32 0, v2
	s_cbranch_execz .LBB2_65
; %bb.72:                               ;   in Loop: Header=BB2_68 Depth=3
	ds_store_b32 v0, v2
	s_cbranch_execz .LBB2_73
; %bb.7971:
	s_getpc_b64 s[48:49]
.Lpost_getpc18:
	s_add_u32 s48, s48, (.LBB2_7467-.Lpost_getpc18)&4294967295
	s_addc_u32 s49, s49, (.LBB2_7467-.Lpost_getpc18)>>32
	s_setpc_b64 s[48:49]
.LBB2_73:                               ;   in Loop: Header=BB2_68 Depth=3
	v_or_b32_e32 v30, 64, v30
	s_xor_b32 s42, exec_lo, -1
	s_branch .LBB2_65
.LBB2_74:                               ;   in Loop: Header=BB2_59 Depth=2
	s_or_b32 exec_lo, exec_lo, s38
	v_and_b32_e32 v2, 8, v30
.LBB2_75:                               ;   in Loop: Header=BB2_59 Depth=2
	s_or_b32 exec_lo, exec_lo, s37
	s_delay_alu instid0(VALU_DEP_1)
	v_cmp_eq_u32_e32 vcc_lo, 0, v2
	;;#ASMSTART
	s_wakeup
	;;#ASMEND
	s_or_not1_b32 s37, vcc_lo, exec_lo
.LBB2_76:                               ;   in Loop: Header=BB2_59 Depth=2
	s_or_b32 exec_lo, exec_lo, s13
	v_sub_nc_u32_e32 v2, v118, v119
	s_xor_b32 s13, s37, -1
	s_delay_alu instid0(VALU_DEP_1)
	v_min_i32_e32 v50, v50, v2
	s_and_saveexec_b32 s37, s13
	s_cbranch_execz .LBB2_86
; %bb.77:                               ;   in Loop: Header=BB2_59 Depth=2
	v_and_b32_e32 v2, 0x100, v30
	s_mov_b32 s13, -1
                                        ; implicit-def: $vgpr8_vgpr9
	s_delay_alu instid0(VALU_DEP_1)
	v_cmp_ne_u32_e32 vcc_lo, 0, v2
	v_and_b32_e32 v2, 7, v22
	s_and_saveexec_b32 s38, vcc_lo
	s_cbranch_execz .LBB2_81
; %bb.78:                               ;   in Loop: Header=BB2_59 Depth=2
	s_delay_alu instid0(VALU_DEP_1)
	v_mad_u64_u32 v[10:11], null, v2, 24, v[6:7]
	v_ashrrev_i32_e32 v51, 31, v50
	flat_load_b32 v8, v[10:11]
	flat_store_b64 v[10:11], v[50:51] offset:8
	s_waitcnt vmcnt(0) lgkmcnt(1)
	v_cmp_ne_u32_e32 vcc_lo, 1, v8
	v_cmp_eq_u32_e64 s13, 1, v8
                                        ; implicit-def: $vgpr8_vgpr9
	s_delay_alu instid0(VALU_DEP_1)
	s_and_saveexec_b32 s39, s13
	s_cbranch_execz .LBB2_80
; %bb.79:                               ;   in Loop: Header=BB2_59 Depth=2
	flat_load_b32 v8, v[10:11] offset:4 glc
	s_waitcnt vmcnt(0) lgkmcnt(0)
	v_ashrrev_i32_e32 v9, 31, v8
.LBB2_80:                               ;   in Loop: Header=BB2_59 Depth=2
	s_or_b32 exec_lo, exec_lo, s39
	s_delay_alu instid0(SALU_CYCLE_1)
	s_or_not1_b32 s13, vcc_lo, exec_lo
.LBB2_81:                               ;   in Loop: Header=BB2_59 Depth=2
	s_or_b32 exec_lo, exec_lo, s38
	s_and_saveexec_b32 vcc_lo, s13
; %bb.82:                               ;   in Loop: Header=BB2_59 Depth=2
	v_mad_i64_i32 v[8:9], null, v2, v68, 0
; %bb.83:                               ;   in Loop: Header=BB2_59 Depth=2
	s_or_b32 exec_lo, exec_lo, vcc_lo
	s_delay_alu instid0(VALU_DEP_1) | instskip(SKIP_1) | instid1(VALU_DEP_3)
	v_add_co_u32 v8, vcc_lo, v24, v8
	v_and_b32_e32 v2, 0x2000, v30
	v_add_co_ci_u32_e32 v9, vcc_lo, v25, v9, vcc_lo
	s_mov_b32 s13, exec_lo
	ds_store_b64 v0, v[8:9] offset:784
	v_cmpx_ne_u32_e32 0, v2
	s_cbranch_execz .LBB2_85
; %bb.84:                               ;   in Loop: Header=BB2_59 Depth=2
	ds_load_b64 v[8:9], v0 offset:584
	s_waitcnt lgkmcnt(0)
	v_add_co_u32 v8, vcc_lo, v8, 1
	v_add_co_ci_u32_e32 v9, vcc_lo, 0, v9, vcc_lo
	ds_store_b64 v0, v[8:9] offset:584
.LBB2_85:                               ;   in Loop: Header=BB2_59 Depth=2
	s_or_b32 exec_lo, exec_lo, s13
	v_add_co_u32 v22, vcc_lo, v22, 2
	v_add_co_ci_u32_e32 v23, vcc_lo, 0, v23, vcc_lo
.LBB2_86:                               ;   in Loop: Header=BB2_59 Depth=2
	s_or_b32 exec_lo, exec_lo, s37
	s_and_saveexec_b32 s13, s3
	s_cbranch_execz .LBB2_108
; %bb.87:                               ;   in Loop: Header=BB2_59 Depth=2
	s_and_saveexec_b32 vcc_lo, s4
	s_delay_alu instid0(SALU_CYCLE_1)
	s_xor_b32 s37, exec_lo, vcc_lo
	s_cbranch_execz .LBB2_105
; %bb.88:                               ;   in Loop: Header=BB2_59 Depth=2
	s_and_saveexec_b32 s38, s1
	s_cbranch_execz .LBB2_104
; %bb.89:                               ;   in Loop: Header=BB2_59 Depth=2
	s_mov_b32 s40, exec_lo
	s_mov_b32 s39, exec_lo
	v_mbcnt_lo_u32_b32 v2, s40, 0
	s_waitcnt lgkmcnt(0)
	s_waitcnt_vscnt null, 0x0
	buffer_gl1_inv
	buffer_gl0_inv
	v_cmpx_eq_u32_e32 0, v2
	s_cbranch_execz .LBB2_91
; %bb.90:                               ;   in Loop: Header=BB2_59 Depth=2
	s_bcnt1_i32_b32 vcc_lo, s40
	s_delay_alu instid0(SALU_CYCLE_1)
	v_mov_b32_e32 v2, vcc_lo
	ds_add_u64 v0, v[2:3]
	s_cbranch_execz .LBB2_91
; %bb.7973:
	s_getpc_b64 s[48:49]
.Lpost_getpc19:
	s_add_u32 s48, s48, (.LBB2_7493-.Lpost_getpc19)&4294967295
	s_addc_u32 s49, s49, (.LBB2_7493-.Lpost_getpc19)>>32
	s_setpc_b64 s[48:49]
.LBB2_91:                               ;   in Loop: Header=BB2_59 Depth=2
	s_or_b32 exec_lo, exec_lo, s39
	s_cbranch_execz .LBB2_92
; %bb.7975:
	s_getpc_b64 s[48:49]
.Lpost_getpc20:
	s_add_u32 s48, s48, (.LBB2_7473-.Lpost_getpc20)&4294967295
	s_addc_u32 s49, s49, (.LBB2_7473-.Lpost_getpc20)>>32
	s_setpc_b64 s[48:49]
.LBB2_92:                               ;   in Loop: Header=BB2_59 Depth=2
	ds_load_b64 v[8:9], v0
	v_add_co_u32 v12, vcc_lo, v12, v71
	v_add_co_ci_u32_e32 v13, vcc_lo, 0, v13, vcc_lo
	s_mov_b32 s39, exec_lo
	s_waitcnt lgkmcnt(0)
	s_delay_alu instid0(VALU_DEP_1)
	v_cmpx_lt_u64_e64 v[8:9], v[12:13]
	s_cbranch_execz .LBB2_103
; %bb.93:                               ;   in Loop: Header=BB2_59 Depth=2
	s_mov_b32 s40, 0
	s_mov_b32 s43, 0
                                        ; implicit-def: $sgpr41
                                        ; implicit-def: $sgpr42
	s_branch .LBB2_95
.LBB2_94:                               ;   in Loop: Header=BB2_95 Depth=3
	s_or_b32 exec_lo, exec_lo, s45
	s_delay_alu instid0(SALU_CYCLE_1) | instskip(NEXT) | instid1(SALU_CYCLE_1)
	s_and_b32 vcc_lo, exec_lo, vcc_lo
	s_or_b32 s40, vcc_lo, s40
	s_and_not1_b32 vcc_lo, s41, exec_lo
	s_and_b32 s41, s42, exec_lo
	s_delay_alu instid0(SALU_CYCLE_1)
	s_or_b32 s41, vcc_lo, s41
	s_and_not1_b32 exec_lo, exec_lo, s40
	s_cbranch_execz .LBB2_101
.LBB2_95:                               ;   Parent Loop BB2_51 Depth=1
                                        ;     Parent Loop BB2_59 Depth=2
                                        ; =>    This Inner Loop Header: Depth=3
	s_add_i32 s43, s43, 1
                                        ; implicit-def: $sgpr45
	s_delay_alu instid0(SALU_CYCLE_1) | instskip(SKIP_1) | instid1(SALU_CYCLE_1)
	s_cmpk_lg_i32 s43, 0x2710
	s_cselect_b32 s44, -1, 0
	s_and_b32 vcc_lo, exec_lo, s44
	s_cbranch_vccz .LBB2_99
.LBB2_96:                               ;   in Loop: Header=BB2_95 Depth=3
	s_and_not1_b32 s42, s42, exec_lo
	s_and_b32 s45, s45, exec_lo
	s_mov_b32 vcc_lo, -1
	s_or_b32 s42, s42, s45
	s_and_saveexec_b32 s45, s44
	s_cbranch_execz .LBB2_94
; %bb.97:                               ;   in Loop: Header=BB2_95 Depth=3
	s_sleep 1
	s_cbranch_execz .LBB2_98
; %bb.7977:
	s_getpc_b64 s[48:49]
.Lpost_getpc21:
	s_add_u32 s48, s48, (.LBB2_7521-.Lpost_getpc21)&4294967295
	s_addc_u32 s49, s49, (.LBB2_7521-.Lpost_getpc21)>>32
	s_setpc_b64 s[48:49]
.LBB2_98:                               ;   in Loop: Header=BB2_95 Depth=3
	ds_load_b64 v[8:9], v0
	s_and_not1_b32 s42, s42, exec_lo
	s_waitcnt lgkmcnt(0)
	v_cmp_ge_u64_e32 vcc_lo, v[8:9], v[12:13]
	s_or_not1_b32 vcc_lo, vcc_lo, exec_lo
	s_branch .LBB2_94
.LBB2_99:                               ;   in Loop: Header=BB2_95 Depth=3
	s_cbranch_execz .LBB2_100
; %bb.7979:
	s_getpc_b64 s[48:49]
.Lpost_getpc22:
	s_add_u32 s48, s48, (.LBB2_7529-.Lpost_getpc22)&4294967295
	s_addc_u32 s49, s49, (.LBB2_7529-.Lpost_getpc22)>>32
	s_setpc_b64 s[48:49]
.LBB2_100:                              ;   in Loop: Header=BB2_95 Depth=3
	ds_load_b64 v[8:9], v0
	s_and_not1_b32 s44, s44, exec_lo
	s_mov_b32 s43, 0
	s_mov_b32 s45, -1
	s_waitcnt lgkmcnt(0)
	flat_load_b32 v2, v[8:9] glc
	s_waitcnt vmcnt(0) lgkmcnt(0)
	buffer_gl1_inv
	buffer_gl0_inv
	v_cmp_eq_u32_e32 vcc_lo, 0, v2
	s_and_b32 vcc_lo, vcc_lo, exec_lo
	s_delay_alu instid0(SALU_CYCLE_1)
	s_or_b32 s44, s44, vcc_lo
	s_branch .LBB2_96
.LBB2_101:                              ;   in Loop: Header=BB2_59 Depth=2
	s_or_b32 exec_lo, exec_lo, s40
	s_and_saveexec_b32 vcc_lo, s41
	s_delay_alu instid0(SALU_CYCLE_1)
	s_xor_b32 vcc_lo, exec_lo, vcc_lo
	s_cbranch_execz .LBB2_103
; %bb.102:                              ;   in Loop: Header=BB2_59 Depth=2
	ds_store_b32 v0, v115
	s_cbranch_execz .LBB2_103
; %bb.7981:
	s_getpc_b64 s[48:49]
.Lpost_getpc23:
	s_add_u32 s48, s48, (.LBB2_7749-.Lpost_getpc23)&4294967295
	s_addc_u32 s49, s49, (.LBB2_7749-.Lpost_getpc23)>>32
	s_setpc_b64 s[48:49]
.LBB2_103:                              ;   in Loop: Header=BB2_59 Depth=2
	s_or_b32 exec_lo, exec_lo, s39
	;;#ASMSTART
	s_wakeup
	;;#ASMEND
.LBB2_104:                              ;   in Loop: Header=BB2_59 Depth=2
	s_or_b32 exec_lo, exec_lo, s38
.LBB2_105:                              ;   in Loop: Header=BB2_59 Depth=2
	s_and_not1_saveexec_b32 vcc_lo, s37
	s_cbranch_execz .LBB2_107
; %bb.106:                              ;   in Loop: Header=BB2_59 Depth=2
	s_waitcnt lgkmcnt(0)
	s_waitcnt_vscnt null, 0x0
	buffer_gl1_inv
	buffer_gl0_inv
	s_barrier
.LBB2_107:                              ;   in Loop: Header=BB2_59 Depth=2
	s_or_b32 exec_lo, exec_lo, vcc_lo
.LBB2_108:                              ;   in Loop: Header=BB2_59 Depth=2
	s_delay_alu instid0(SALU_CYCLE_1)
	s_or_b32 exec_lo, exec_lo, s13
	s_cbranch_execz .LBB2_109
; %bb.7983:
	s_getpc_b64 s[48:49]
.Lpost_getpc24:
	s_add_u32 s48, s48, (.LBB2_7424-.Lpost_getpc24)&4294967295
	s_addc_u32 s49, s49, (.LBB2_7424-.Lpost_getpc24)>>32
	s_setpc_b64 s[48:49]
.LBB2_109:                              ;   in Loop: Header=BB2_59 Depth=2
	ds_load_b32 v8, v0
	v_and_b32_e32 v2, 0x4000, v30
	s_xor_b32 s13, s2, -1
	s_delay_alu instid0(VALU_DEP_1) | instskip(SKIP_1) | instid1(SALU_CYCLE_1)
	v_cmp_ne_u32_e32 vcc_lo, 0, v2
	s_and_b32 vcc_lo, s13, vcc_lo
	s_and_saveexec_b32 s13, vcc_lo
	s_cbranch_execz .LBB2_131
; %bb.110:                              ;   in Loop: Header=BB2_59 Depth=2
	s_and_saveexec_b32 vcc_lo, s4
	s_delay_alu instid0(SALU_CYCLE_1)
	s_xor_b32 s37, exec_lo, vcc_lo
	s_cbranch_execz .LBB2_128
; %bb.111:                              ;   in Loop: Header=BB2_59 Depth=2
	s_and_saveexec_b32 s38, s1
	s_cbranch_execz .LBB2_127
; %bb.112:                              ;   in Loop: Header=BB2_59 Depth=2
	s_mov_b32 s40, exec_lo
	s_mov_b32 s39, exec_lo
	v_mbcnt_lo_u32_b32 v2, s40, 0
	s_waitcnt lgkmcnt(0)
	s_waitcnt_vscnt null, 0x0
	buffer_gl1_inv
	buffer_gl0_inv
	v_cmpx_eq_u32_e32 0, v2
	s_cbranch_execz .LBB2_114
; %bb.113:                              ;   in Loop: Header=BB2_59 Depth=2
	s_bcnt1_i32_b32 vcc_lo, s40
	s_delay_alu instid0(SALU_CYCLE_1)
	v_mov_b32_e32 v2, vcc_lo
	ds_add_u64 v0, v[2:3]
	s_cbranch_execz .LBB2_114
; %bb.7985:
	s_getpc_b64 s[48:49]
.Lpost_getpc25:
	s_add_u32 s48, s48, (.LBB2_7519-.Lpost_getpc25)&4294967295
	s_addc_u32 s49, s49, (.LBB2_7519-.Lpost_getpc25)>>32
	s_setpc_b64 s[48:49]
.LBB2_114:                              ;   in Loop: Header=BB2_59 Depth=2
	s_or_b32 exec_lo, exec_lo, s39
	s_cbranch_execz .LBB2_115
; %bb.7987:
	s_getpc_b64 s[48:49]
.Lpost_getpc26:
	s_add_u32 s48, s48, (.LBB2_7507-.Lpost_getpc26)&4294967295
	s_addc_u32 s49, s49, (.LBB2_7507-.Lpost_getpc26)>>32
	s_setpc_b64 s[48:49]
.LBB2_115:                              ;   in Loop: Header=BB2_59 Depth=2
	ds_load_b64 v[9:10], v0
	v_add_co_u32 v12, vcc_lo, v12, v71
	v_add_co_ci_u32_e32 v13, vcc_lo, 0, v13, vcc_lo
	s_mov_b32 s39, exec_lo
	s_waitcnt lgkmcnt(0)
	s_delay_alu instid0(VALU_DEP_1)
	v_cmpx_lt_u64_e64 v[9:10], v[12:13]
	s_cbranch_execz .LBB2_126
; %bb.116:                              ;   in Loop: Header=BB2_59 Depth=2
	s_mov_b32 s40, 0
	s_mov_b32 s43, 0
                                        ; implicit-def: $sgpr41
                                        ; implicit-def: $sgpr42
	s_branch .LBB2_118
.LBB2_117:                              ;   in Loop: Header=BB2_118 Depth=3
	s_or_b32 exec_lo, exec_lo, s45
	s_delay_alu instid0(SALU_CYCLE_1) | instskip(NEXT) | instid1(SALU_CYCLE_1)
	s_and_b32 vcc_lo, exec_lo, vcc_lo
	s_or_b32 s40, vcc_lo, s40
	s_and_not1_b32 vcc_lo, s41, exec_lo
	s_and_b32 s41, s42, exec_lo
	s_delay_alu instid0(SALU_CYCLE_1)
	s_or_b32 s41, vcc_lo, s41
	s_and_not1_b32 exec_lo, exec_lo, s40
	s_cbranch_execz .LBB2_124
.LBB2_118:                              ;   Parent Loop BB2_51 Depth=1
                                        ;     Parent Loop BB2_59 Depth=2
                                        ; =>    This Inner Loop Header: Depth=3
	s_add_i32 s43, s43, 1
                                        ; implicit-def: $sgpr45
	s_delay_alu instid0(SALU_CYCLE_1) | instskip(SKIP_1) | instid1(SALU_CYCLE_1)
	s_cmpk_lg_i32 s43, 0x2710
	s_cselect_b32 s44, -1, 0
	s_and_b32 vcc_lo, exec_lo, s44
	s_cbranch_vccz .LBB2_122
.LBB2_119:                              ;   in Loop: Header=BB2_118 Depth=3
	s_and_not1_b32 s42, s42, exec_lo
	s_and_b32 s45, s45, exec_lo
	s_mov_b32 vcc_lo, -1
	s_or_b32 s42, s42, s45
	s_and_saveexec_b32 s45, s44
	s_cbranch_execz .LBB2_117
; %bb.120:                              ;   in Loop: Header=BB2_118 Depth=3
	s_sleep 1
	s_cbranch_execz .LBB2_121
; %bb.7989:
	s_getpc_b64 s[48:49]
.Lpost_getpc27:
	s_add_u32 s48, s48, (.LBB2_7561-.Lpost_getpc27)&4294967295
	s_addc_u32 s49, s49, (.LBB2_7561-.Lpost_getpc27)>>32
	s_setpc_b64 s[48:49]
.LBB2_121:                              ;   in Loop: Header=BB2_118 Depth=3
	ds_load_b64 v[9:10], v0
	s_and_not1_b32 s42, s42, exec_lo
	s_waitcnt lgkmcnt(0)
	v_cmp_ge_u64_e32 vcc_lo, v[9:10], v[12:13]
	s_or_not1_b32 vcc_lo, vcc_lo, exec_lo
	s_branch .LBB2_117
.LBB2_122:                              ;   in Loop: Header=BB2_118 Depth=3
	s_cbranch_execz .LBB2_123
; %bb.7991:
	s_getpc_b64 s[48:49]
.Lpost_getpc28:
	s_add_u32 s48, s48, (.LBB2_7579-.Lpost_getpc28)&4294967295
	s_addc_u32 s49, s49, (.LBB2_7579-.Lpost_getpc28)>>32
	s_setpc_b64 s[48:49]
.LBB2_123:                              ;   in Loop: Header=BB2_118 Depth=3
	ds_load_b64 v[9:10], v0
	s_and_not1_b32 s44, s44, exec_lo
	s_mov_b32 s43, 0
	s_mov_b32 s45, -1
	s_waitcnt lgkmcnt(0)
	flat_load_b32 v2, v[9:10] glc
	s_waitcnt vmcnt(0) lgkmcnt(0)
	buffer_gl1_inv
	buffer_gl0_inv
	v_cmp_eq_u32_e32 vcc_lo, 0, v2
	s_and_b32 vcc_lo, vcc_lo, exec_lo
	s_delay_alu instid0(SALU_CYCLE_1)
	s_or_b32 s44, s44, vcc_lo
	s_branch .LBB2_119
.LBB2_124:                              ;   in Loop: Header=BB2_59 Depth=2
	s_or_b32 exec_lo, exec_lo, s40
	s_and_saveexec_b32 vcc_lo, s41
	s_delay_alu instid0(SALU_CYCLE_1)
	s_xor_b32 vcc_lo, exec_lo, vcc_lo
	s_cbranch_execz .LBB2_126
; %bb.125:                              ;   in Loop: Header=BB2_59 Depth=2
	ds_store_b32 v0, v115
	s_cbranch_execz .LBB2_126
; %bb.7993:
	s_getpc_b64 s[48:49]
.Lpost_getpc29:
	s_add_u32 s48, s48, (.LBB2_7801-.Lpost_getpc29)&4294967295
	s_addc_u32 s49, s49, (.LBB2_7801-.Lpost_getpc29)>>32
	s_setpc_b64 s[48:49]
.LBB2_126:                              ;   in Loop: Header=BB2_59 Depth=2
	s_or_b32 exec_lo, exec_lo, s39
	;;#ASMSTART
	s_wakeup
	;;#ASMEND
.LBB2_127:                              ;   in Loop: Header=BB2_59 Depth=2
	s_or_b32 exec_lo, exec_lo, s38
.LBB2_128:                              ;   in Loop: Header=BB2_59 Depth=2
	s_and_not1_saveexec_b32 vcc_lo, s37
	s_cbranch_execz .LBB2_130
; %bb.129:                              ;   in Loop: Header=BB2_59 Depth=2
	s_waitcnt lgkmcnt(0)
	s_waitcnt_vscnt null, 0x0
	buffer_gl1_inv
	buffer_gl0_inv
	s_barrier
.LBB2_130:                              ;   in Loop: Header=BB2_59 Depth=2
	s_or_b32 exec_lo, exec_lo, vcc_lo
.LBB2_131:                              ;   in Loop: Header=BB2_59 Depth=2
	s_delay_alu instid0(SALU_CYCLE_1)
	s_or_b32 exec_lo, exec_lo, s13
	s_cbranch_execz .LBB2_132
; %bb.7995:
	s_getpc_b64 s[48:49]
.Lpost_getpc30:
	s_add_u32 s48, s48, (.LBB2_7450-.Lpost_getpc30)&4294967295
	s_addc_u32 s49, s49, (.LBB2_7450-.Lpost_getpc30)>>32
	s_setpc_b64 s[48:49]
.LBB2_132:                              ;   in Loop: Header=BB2_59 Depth=2
	ds_load_b64 v[9:10], v0
	v_mov_b32_e32 v51, 0
	s_waitcnt lgkmcnt(0)
	v_cmp_eq_u64_e32 vcc_lo, 0, v[9:10]
	s_or_b32 s13, vcc_lo, vcc_lo
	s_delay_alu instid0(SALU_CYCLE_1)
	s_and_b32 vcc_lo, exec_lo, s13
	s_cbranch_vccnz .LBB2_1116
; %bb.133:                              ;   in Loop: Header=BB2_59 Depth=2
	v_writelane_b32 v46, s36, 0
	s_mov_b32 s13, -1
	v_writelane_b32 v46, s31, 1
	v_writelane_b32 v46, s30, 2
	;; [unrolled: 1-line block ×5, first 2 shown]
	s_and_saveexec_b32 s14, s5
	s_cbranch_execz .LBB2_135
; %bb.134:                              ;   in Loop: Header=BB2_59 Depth=2
	ds_load_b32 v2, v0 offset:720
	s_waitcnt lgkmcnt(0)
	v_and_b32_e32 v2, 15, v2
	s_delay_alu instid0(VALU_DEP_1)
	v_cmp_eq_u32_e32 vcc_lo, 0, v2
	s_or_not1_b32 s13, vcc_lo, exec_lo
.LBB2_135:                              ;   in Loop: Header=BB2_59 Depth=2
	s_or_b32 exec_lo, exec_lo, s14
	s_and_saveexec_b32 s14, s6
	s_cbranch_execz .LBB2_137
; %bb.136:                              ;   in Loop: Header=BB2_59 Depth=2
	ds_load_b32 v2, v0 offset:784
	s_waitcnt lgkmcnt(0)
	v_and_b32_e32 v2, 15, v2
	s_delay_alu instid0(VALU_DEP_1) | instskip(SKIP_3) | instid1(SALU_CYCLE_1)
	v_cmp_eq_u32_e32 vcc_lo, 0, v2
	s_and_b32 vcc_lo, s13, vcc_lo
	s_and_not1_b32 s13, s13, exec_lo
	s_and_b32 vcc_lo, vcc_lo, exec_lo
	s_or_b32 s13, s13, vcc_lo
.LBB2_137:                              ;   in Loop: Header=BB2_59 Depth=2
	s_or_b32 exec_lo, exec_lo, s14
	v_cmp_eq_u32_e32 vcc_lo, 0, v8
	s_xor_b32 s13, s13, -1
	v_mov_b32_e32 v10, v80
	v_cndmask_b32_e64 v2, 0, 1, s13
	;;#ASMSTART
	;;#ASMEND
	v_dual_cndmask_b32 v51, 0, v50 :: v_dual_mov_b32 v64, 0
	s_delay_alu instid0(VALU_DEP_2) | instskip(SKIP_1) | instid1(VALU_DEP_2)
	v_cmp_ne_u32_e32 vcc_lo, 0, v2
	s_mov_b32 s13, -1
	v_dual_mov_b32 v130, v0 :: v_dual_mov_b32 v65, v51
	s_cbranch_vccnz .LBB2_939
; %bb.138:                              ;   in Loop: Header=BB2_59 Depth=2
	v_ashrrev_i32_e32 v2, 31, v51
	s_mov_b32 s14, exec_lo
	s_delay_alu instid0(VALU_DEP_1) | instskip(NEXT) | instid1(VALU_DEP_1)
	v_lshrrev_b32_e32 v2, 22, v2
	v_add_nc_u32_e32 v2, v51, v2
	s_delay_alu instid0(VALU_DEP_1) | instskip(NEXT) | instid1(VALU_DEP_1)
	v_ashrrev_i32_e32 v128, 10, v2
	v_sub_nc_u32_e32 v2, v128, v80
	s_delay_alu instid0(VALU_DEP_1)
	v_cmpx_lt_i32_e32 0, v2
	s_cbranch_execz .LBB2_664
; %bb.139:                              ;   in Loop: Header=BB2_59 Depth=2
	s_cbranch_execz .LBB2_140
; %bb.7997:
	s_getpc_b64 s[48:49]
.Lpost_getpc31:
	s_add_u32 s48, s48, (.LBB2_7533-.Lpost_getpc31)&4294967295
	s_addc_u32 s49, s49, (.LBB2_7533-.Lpost_getpc31)>>32
	s_setpc_b64 s[48:49]
.LBB2_140:                              ;   in Loop: Header=BB2_59 Depth=2
	ds_load_b64 v[54:55], v0
	v_dual_mov_b32 v65, v35 :: v_dual_mov_b32 v64, v34
	s_waitcnt lgkmcnt(0)
	v_readfirstlane_b32 s13, v54
	v_and_b32_e32 v129, 0xff, v54
	s_delay_alu instid0(VALU_DEP_2) | instskip(SKIP_2) | instid1(SALU_CYCLE_1)
	s_and_b32 vcc_lo, s13, 3
	s_bfe_u32 s34, s13, 0x50002
	s_clz_i32_u32 s30, vcc_lo
	s_min_u32 s30, s30, 32
	s_delay_alu instid0(SALU_CYCLE_1) | instskip(SKIP_2) | instid1(SALU_CYCLE_1)
	s_sub_i32 s31, s30, 29
	s_sub_i32 s30, 30, s30
	s_lshl_b32 s31, s13, s31
	s_and_b32 s31, s31, 3
	s_cmp_eq_u32 s34, 0
	s_cselect_b32 s30, s30, s34
	s_cselect_b32 vcc_lo, s31, vcc_lo
	s_lshl_b32 s13, s13, 24
	s_lshl_b32 s30, s30, 23
	s_and_b32 s13, s13, 0x80000000
	s_add_i32 s30, s30, 0x37800000
	s_lshl_b32 vcc_lo, vcc_lo, 21
	s_or_b32 s13, s13, s30
	s_mov_b32 s30, 0
	s_or_b32 s31, s13, vcc_lo
	s_branch .LBB2_144
.LBB2_141:                              ;   in Loop: Header=BB2_144 Depth=3
	s_or_b32 exec_lo, exec_lo, s13
	s_delay_alu instid0(VALU_DEP_1) | instskip(NEXT) | instid1(VALU_DEP_2)
	v_lshrrev_b32_e32 v183, 21, v183
	v_min_i32_e32 v40, 31, v182
	v_cmp_gt_i32_e32 vcc_lo, 32, v182
	v_lshrrev_b32_e32 v11, 24, v11
	s_delay_alu instid0(VALU_DEP_3) | instskip(NEXT) | instid1(VALU_DEP_2)
	v_dual_cndmask_b32 v183, 3, v183 :: v_dual_lshlrev_b32 v40, 2, v40
	v_and_b32_e32 v11, 0x80, v11
	s_delay_alu instid0(VALU_DEP_2) | instskip(NEXT) | instid1(VALU_DEP_3)
	v_and_b32_e32 v40, 0xfc, v40
	v_and_b32_e32 v41, 3, v183
	v_or_b32_e32 v182, v182, v183
	s_delay_alu instid0(VALU_DEP_2) | instskip(NEXT) | instid1(VALU_DEP_2)
	v_or3_b32 v11, v11, v40, v41
	v_cmp_ne_u32_e32 vcc_lo, 0, v182
	s_delay_alu instid0(VALU_DEP_2) | instskip(NEXT) | instid1(VALU_DEP_1)
	v_lshlrev_b32_e32 v11, 8, v11
	v_cndmask_b32_e32 v182, 0, v11, vcc_lo
.LBB2_142:                              ;   in Loop: Header=BB2_144 Depth=3
	s_or_b32 exec_lo, exec_lo, s35
.LBB2_143:                              ;   in Loop: Header=BB2_144 Depth=3
	s_delay_alu instid0(SALU_CYCLE_1)
	s_or_b32 exec_lo, exec_lo, s34
	v_or_b32_e32 v11, v145, v144
	v_and_b32_e32 v132, 0xff, v132
	v_lshlrev_b32_e32 v131, 8, v131
	v_and_b32_e32 v144, 0xff, v148
	v_lshlrev_b32_e32 v145, 8, v147
	v_lshlrev_b32_e32 v11, 16, v11
	v_or_b32_e32 v147, v161, v160
	v_lshlrev_b32_e32 v133, 24, v133
	v_lshlrev_b32_e32 v132, 16, v132
	v_perm_b32 v130, v131, v130, 0xc0c0500
	v_lshlrev_b32_e32 v148, 24, v149
	v_lshlrev_b32_e32 v144, 16, v144
	v_perm_b32 v145, v145, v146, 0xc0c0500
	v_or3_b32 v131, v135, v134, v11
	v_lshlrev_b32_e32 v11, 16, v147
	v_or_b32_e32 v9, v9, v167
	v_or3_b32 v130, v133, v132, v130
	v_or3_b32 v132, v148, v144, v145
	v_and_b32_e32 v134, 0xff, v164
	v_or3_b32 v133, v151, v150, v11
	v_lshlrev_b32_e32 v11, 8, v163
	v_and_b32_e32 v135, 0xff, v178
	v_lshlrev_b32_e32 v144, 8, v177
	v_or_b32_e32 v145, v182, v181
	v_sub_nc_u32_e32 v2, v2, v71
	v_lshlrev_b32_e32 v9, 16, v9
	v_lshlrev_b32_e32 v8, 24, v8
	;; [unrolled: 1-line block ×3, first 2 shown]
	v_perm_b32 v11, v11, v162, 0xc0c0500
	v_lshlrev_b32_e32 v10, 24, v10
	v_lshlrev_b32_e32 v135, 16, v135
	v_perm_b32 v144, v144, v176, 0xc0c0500
	v_lshlrev_b32_e32 v145, 16, v145
	v_cmp_gt_i32_e32 vcc_lo, 1, v2
	v_add_co_u32 v64, s13, v64, v84
	s_delay_alu instid0(VALU_DEP_1)
	v_add_co_ci_u32_e64 v65, s13, v65, v85, s13
	v_or3_b32 v9, v166, v165, v9
	v_or3_b32 v8, v8, v134, v11
	;; [unrolled: 1-line block ×4, first 2 shown]
	s_or_b32 s30, vcc_lo, s30
	s_clause 0x1
	global_store_b128 v[66:67], v[130:133], off glc slc dlc
	global_store_b128 v[66:67], v[8:11], off offset:512 glc slc dlc
	s_and_not1_b32 exec_lo, exec_lo, s30
	s_cbranch_execz .LBB2_663
.LBB2_144:                              ;   Parent Loop BB2_51 Depth=1
                                        ;     Parent Loop BB2_59 Depth=2
                                        ; =>    This Inner Loop Header: Depth=3
	v_cmp_gt_i16_e64 vcc_lo, 0x80, v129
	s_delay_alu instid0(VALU_DEP_1)
	s_and_b32 vcc_lo, exec_lo, vcc_lo
	s_cbranch_vccnz .LBB2_148
; %bb.145:                              ;   in Loop: Header=BB2_144 Depth=3
	v_cmp_eq_u16_e64 vcc_lo, 0x80, v129
	s_mov_b32 s13, -1
                                        ; implicit-def: $sgpr34
	s_delay_alu instid0(VALU_DEP_1)
	s_and_b32 vcc_lo, exec_lo, vcc_lo
	s_cbranch_vccz .LBB2_147
; %bb.146:                              ;   in Loop: Header=BB2_144 Depth=3
	s_mov_b32 s13, 0
	s_mov_b32 s34, 0x7f800001
.LBB2_147:                              ;   in Loop: Header=BB2_144 Depth=3
	s_mov_b32 vcc_lo, 0
	s_branch .LBB2_149
.LBB2_148:                              ;   in Loop: Header=BB2_144 Depth=3
	s_mov_b32 vcc_lo, -1
	s_mov_b32 s13, 0
                                        ; implicit-def: $sgpr34
.LBB2_149:                              ;   in Loop: Header=BB2_144 Depth=3
	s_and_b32 vcc_lo, exec_lo, vcc_lo
	s_cbranch_vccz .LBB2_151
; %bb.150:                              ;   in Loop: Header=BB2_144 Depth=3
	v_cmp_ne_u16_e64 s13, 0, v129
	s_mov_b32 s34, 0
.LBB2_151:                              ;   in Loop: Header=BB2_144 Depth=3
	s_delay_alu instid0(VALU_DEP_1)
	s_and_not1_b32 vcc_lo, exec_lo, s13
	s_cbranch_vccnz .LBB2_153
; %bb.152:                              ;   in Loop: Header=BB2_144 Depth=3
	s_mov_b32 s34, s31
.LBB2_153:                              ;   in Loop: Header=BB2_144 Depth=3
	v_add_co_u32 v66, vcc_lo, v54, v64
	v_add_co_ci_u32_e32 v67, vcc_lo, v55, v65, vcc_lo
	s_mov_b32 s13, 0
	s_mov_b32 s36, exec_lo
                                        ; implicit-def: $sgpr35
	global_load_b128 v[8:11], v[66:67], off slc dlc
	s_waitcnt vmcnt(0)
	v_and_b32_e32 v131, 0xff, v8
	s_delay_alu instid0(VALU_DEP_1)
	v_cmpx_lt_i16_e64 0x7f, v131
	s_xor_b32 s36, exec_lo, s36
	s_cbranch_execnz .LBB2_535
; %bb.154:                              ;   in Loop: Header=BB2_144 Depth=3
	s_or_saveexec_b32 s36, s36
	v_mov_b32_e32 v130, s35
	s_xor_b32 exec_lo, exec_lo, s36
	s_cbranch_execnz .LBB2_538
.LBB2_155:                              ;   in Loop: Header=BB2_144 Depth=3
	s_or_b32 exec_lo, exec_lo, s36
	s_and_saveexec_b32 s35, s13
	s_cbranch_execz .LBB2_157
.LBB2_156:                              ;   in Loop: Header=BB2_144 Depth=3
	v_bfe_u32 v133, v8, 2, 5
	v_lshlrev_b32_e32 v134, 24, v8
	s_delay_alu instid0(VALU_DEP_2) | instskip(SKIP_1) | instid1(VALU_DEP_1)
	v_cmp_eq_u32_e32 vcc_lo, 0, v133
	v_and_b32_e32 v130, 3, v8
	v_clz_i32_u32_e32 v131, v130
	s_delay_alu instid0(VALU_DEP_1) | instskip(NEXT) | instid1(VALU_DEP_1)
	v_min_u32_e32 v131, 32, v131
	v_subrev_nc_u32_e32 v132, 29, v131
	v_sub_nc_u32_e32 v131, 30, v131
	s_delay_alu instid0(VALU_DEP_1) | instskip(NEXT) | instid1(VALU_DEP_1)
	v_dual_cndmask_b32 v131, v133, v131 :: v_dual_lshlrev_b32 v132, v132, v8
	v_and_b32_e32 v132, 3, v132
	s_delay_alu instid0(VALU_DEP_2) | instskip(NEXT) | instid1(VALU_DEP_2)
	v_lshl_add_u32 v131, v131, 23, 0x37800000
	v_cndmask_b32_e32 v130, v130, v132, vcc_lo
	v_and_b32_e32 v132, 0x80000000, v134
	s_delay_alu instid0(VALU_DEP_2) | instskip(NEXT) | instid1(VALU_DEP_1)
	v_lshlrev_b32_e32 v130, 21, v130
	v_or3_b32 v130, v132, v131, v130
.LBB2_157:                              ;   in Loop: Header=BB2_144 Depth=3
	s_or_b32 exec_lo, exec_lo, s35
	s_delay_alu instid0(VALU_DEP_1) | instskip(NEXT) | instid1(VALU_DEP_1)
	v_mul_f32_e32 v131, s34, v130
	v_and_b32_e32 v130, 0x7f800000, v131
	s_delay_alu instid0(VALU_DEP_1)
	v_cmp_ne_u32_e32 vcc_lo, 0x7f800000, v130
	v_mov_b32_e32 v130, 0x80
	s_and_saveexec_b32 s35, vcc_lo
	s_cbranch_execz .LBB2_165
; %bb.158:                              ;   in Loop: Header=BB2_144 Depth=3
	v_mov_b32_e32 v130, 0
	s_mov_b32 s36, exec_lo
	v_cmpx_ne_u32_e32 0, v131
	s_cbranch_execz .LBB2_164
; %bb.159:                              ;   in Loop: Header=BB2_144 Depth=3
	v_bfe_u32 v130, v131, 23, 8
	s_delay_alu instid0(VALU_DEP_1) | instskip(SKIP_1) | instid1(VALU_DEP_2)
	v_sub_nc_u32_e32 v133, 0x70, v130
	v_cmp_gt_u32_e32 vcc_lo, 0x71, v130
	v_dual_cndmask_b32 v133, 0, v133 :: v_dual_and_b32 v132, 0x7fffff, v131
	s_delay_alu instid0(VALU_DEP_1) | instskip(SKIP_2) | instid1(VALU_DEP_4)
	v_or_b32_e32 v134, 0x800000, v132
	v_cmp_eq_u32_e32 vcc_lo, 0, v130
	v_add_nc_u32_e32 v130, 0xffffff91, v130
	v_cndmask_b32_e64 v133, v133, 0x6f, vcc_lo
	s_delay_alu instid0(VALU_DEP_2) | instskip(SKIP_1) | instid1(VALU_DEP_3)
	v_cndmask_b32_e64 v130, v130, 0xffffff92, vcc_lo
	v_cndmask_b32_e32 v132, v134, v132, vcc_lo
	v_lshl_add_u32 v134, 0x200000, v133, -1
	v_lshlrev_b32_e64 v145, v133, 0x100000
	s_delay_alu instid0(VALU_DEP_3) | instskip(SKIP_1) | instid1(VALU_DEP_4)
	v_lshrrev_b32_e32 v135, v133, v132
	v_add_nc_u32_e32 v133, v133, v130
	v_and_b32_e32 v132, v134, v132
	s_delay_alu instid0(VALU_DEP_3) | instskip(NEXT) | instid1(VALU_DEP_2)
	v_bfe_u32 v144, v135, 21, 1
	v_cmp_eq_u32_e64 s13, v132, v145
	s_delay_alu instid0(VALU_DEP_2) | instskip(NEXT) | instid1(VALU_DEP_1)
	v_add_nc_u32_e32 v134, -1, v144
	v_cndmask_b32_e64 v132, 0, v134, s13
	v_lshrrev_b32_e32 v134, 23, v135
	s_mov_b32 s13, exec_lo
	s_delay_alu instid0(VALU_DEP_2) | instskip(NEXT) | instid1(VALU_DEP_2)
	v_add_nc_u32_e32 v132, v132, v135
	v_xor_b32_e32 v134, 1, v134
	s_delay_alu instid0(VALU_DEP_2) | instskip(NEXT) | instid1(VALU_DEP_1)
	v_and_b32_e32 v130, 0x1fffff, v132
	v_add_nc_u32_e32 v132, v130, v135
                                        ; implicit-def: $vgpr130
	s_delay_alu instid0(VALU_DEP_3)
	v_cmpx_ne_u32_e64 v133, v134
	s_xor_b32 s13, exec_lo, s13
; %bb.160:                              ;   in Loop: Header=BB2_144 Depth=3
	s_delay_alu instid0(VALU_DEP_2) | instskip(SKIP_2) | instid1(VALU_DEP_2)
	v_cmp_lt_u32_e32 vcc_lo, 0xffffff, v132
	v_sub_nc_u32_e32 v130, v133, v134
	v_cndmask_b32_e64 v133, 0, 1, vcc_lo
	v_add_co_ci_u32_e32 v130, vcc_lo, 0, v130, vcc_lo
	s_delay_alu instid0(VALU_DEP_2)
	v_lshrrev_b32_e32 v132, v133, v132
; %bb.161:                              ;   in Loop: Header=BB2_144 Depth=3
	s_and_not1_saveexec_b32 s13, s13
; %bb.162:                              ;   in Loop: Header=BB2_144 Depth=3
	s_delay_alu instid0(VALU_DEP_1)
	v_bfe_u32 v130, v132, 23, 1
; %bb.163:                              ;   in Loop: Header=BB2_144 Depth=3
	s_or_b32 exec_lo, exec_lo, s13
	v_lshrrev_b32_e32 v132, 21, v132
	s_delay_alu instid0(VALU_DEP_2) | instskip(SKIP_2) | instid1(VALU_DEP_2)
	v_cmp_gt_i32_e32 vcc_lo, 32, v130
	v_lshrrev_b32_e32 v131, 24, v131
	v_min_i32_e32 v133, 31, v130
	v_dual_cndmask_b32 v132, 3, v132 :: v_dual_and_b32 v131, 0x80, v131
	s_delay_alu instid0(VALU_DEP_1) | instskip(SKIP_1) | instid1(VALU_DEP_2)
	v_or_b32_e32 v130, v130, v132
	v_and_b32_e32 v134, 3, v132
	v_cmp_ne_u32_e32 vcc_lo, 0, v130
	v_lshlrev_b32_e32 v133, 2, v133
	s_delay_alu instid0(VALU_DEP_1) | instskip(NEXT) | instid1(VALU_DEP_1)
	v_or3_b32 v131, v133, v131, v134
	v_cndmask_b32_e32 v130, 0, v131, vcc_lo
.LBB2_164:                              ;   in Loop: Header=BB2_144 Depth=3
	s_or_b32 exec_lo, exec_lo, s36
.LBB2_165:                              ;   in Loop: Header=BB2_144 Depth=3
	s_delay_alu instid0(SALU_CYCLE_1) | instskip(SKIP_3) | instid1(VALU_DEP_1)
	s_or_b32 exec_lo, exec_lo, s35
	v_lshrrev_b16 v131, 8, v8
	s_mov_b32 s13, 0
	s_mov_b32 s36, exec_lo
                                        ; implicit-def: $sgpr35
	v_cmpx_lt_i16_e64 0x7f, v131
	s_xor_b32 s36, exec_lo, s36
	s_cbranch_execnz .LBB2_539
; %bb.166:                              ;   in Loop: Header=BB2_144 Depth=3
	s_or_saveexec_b32 s36, s36
	v_mov_b32_e32 v132, s35
	s_xor_b32 exec_lo, exec_lo, s36
	s_cbranch_execnz .LBB2_542
.LBB2_167:                              ;   in Loop: Header=BB2_144 Depth=3
	s_or_b32 exec_lo, exec_lo, s36
	s_and_saveexec_b32 s35, s13
	s_cbranch_execz .LBB2_169
.LBB2_168:                              ;   in Loop: Header=BB2_144 Depth=3
	v_and_b32_e32 v132, 0xffff, v131
	v_lshlrev_b32_e32 v131, 24, v131
	s_delay_alu instid0(VALU_DEP_2) | instskip(NEXT) | instid1(VALU_DEP_2)
	v_and_b32_e32 v133, 3, v132
	v_and_b32_e32 v131, 0x80000000, v131
	s_delay_alu instid0(VALU_DEP_2) | instskip(NEXT) | instid1(VALU_DEP_1)
	v_clz_i32_u32_e32 v134, v133
	v_min_u32_e32 v134, 32, v134
	s_delay_alu instid0(VALU_DEP_1) | instskip(SKIP_1) | instid1(VALU_DEP_2)
	v_subrev_nc_u32_e32 v135, 29, v134
	v_sub_nc_u32_e32 v134, 30, v134
	v_lshlrev_b32_e32 v135, v135, v132
	v_bfe_u32 v132, v132, 2, 5
	s_delay_alu instid0(VALU_DEP_2) | instskip(NEXT) | instid1(VALU_DEP_2)
	v_and_b32_e32 v135, 3, v135
	v_cmp_eq_u32_e32 vcc_lo, 0, v132
	s_delay_alu instid0(VALU_DEP_2) | instskip(NEXT) | instid1(VALU_DEP_1)
	v_dual_cndmask_b32 v132, v132, v134 :: v_dual_cndmask_b32 v133, v133, v135
	v_lshl_add_u32 v132, v132, 23, 0x37800000
	s_delay_alu instid0(VALU_DEP_2) | instskip(NEXT) | instid1(VALU_DEP_1)
	v_lshlrev_b32_e32 v133, 21, v133
	v_or3_b32 v132, v131, v132, v133
.LBB2_169:                              ;   in Loop: Header=BB2_144 Depth=3
	s_or_b32 exec_lo, exec_lo, s35
	s_delay_alu instid0(VALU_DEP_1) | instskip(NEXT) | instid1(VALU_DEP_1)
	v_mul_f32_e32 v132, s34, v132
	v_and_b32_e32 v131, 0x7f800000, v132
	s_delay_alu instid0(VALU_DEP_1)
	v_cmp_ne_u32_e32 vcc_lo, 0x7f800000, v131
	v_mov_b32_e32 v131, 0x80
	s_and_saveexec_b32 s35, vcc_lo
	s_cbranch_execz .LBB2_177
; %bb.170:                              ;   in Loop: Header=BB2_144 Depth=3
	v_mov_b32_e32 v131, 0
	s_mov_b32 s36, exec_lo
	v_cmpx_ne_u32_e32 0, v132
	s_cbranch_execz .LBB2_176
; %bb.171:                              ;   in Loop: Header=BB2_144 Depth=3
	v_bfe_u32 v131, v132, 23, 8
	s_delay_alu instid0(VALU_DEP_1) | instskip(SKIP_1) | instid1(VALU_DEP_2)
	v_sub_nc_u32_e32 v134, 0x70, v131
	v_cmp_gt_u32_e32 vcc_lo, 0x71, v131
	v_dual_cndmask_b32 v134, 0, v134 :: v_dual_and_b32 v133, 0x7fffff, v132
	s_delay_alu instid0(VALU_DEP_1) | instskip(SKIP_2) | instid1(VALU_DEP_4)
	v_or_b32_e32 v135, 0x800000, v133
	v_cmp_eq_u32_e32 vcc_lo, 0, v131
	v_add_nc_u32_e32 v131, 0xffffff91, v131
	v_cndmask_b32_e64 v134, v134, 0x6f, vcc_lo
	s_delay_alu instid0(VALU_DEP_2) | instskip(SKIP_1) | instid1(VALU_DEP_3)
	v_cndmask_b32_e64 v131, v131, 0xffffff92, vcc_lo
	v_cndmask_b32_e32 v133, v135, v133, vcc_lo
	v_lshl_add_u32 v135, 0x200000, v134, -1
	v_lshlrev_b32_e64 v146, v134, 0x100000
	s_delay_alu instid0(VALU_DEP_3) | instskip(SKIP_1) | instid1(VALU_DEP_4)
	v_lshrrev_b32_e32 v144, v134, v133
	v_add_nc_u32_e32 v134, v134, v131
	v_and_b32_e32 v133, v135, v133
	s_delay_alu instid0(VALU_DEP_3) | instskip(NEXT) | instid1(VALU_DEP_2)
	v_bfe_u32 v145, v144, 21, 1
	v_cmp_eq_u32_e64 s13, v133, v146
	s_delay_alu instid0(VALU_DEP_2) | instskip(NEXT) | instid1(VALU_DEP_1)
	v_add_nc_u32_e32 v135, -1, v145
	v_cndmask_b32_e64 v133, 0, v135, s13
	v_lshrrev_b32_e32 v135, 23, v144
	s_mov_b32 s13, exec_lo
	s_delay_alu instid0(VALU_DEP_2) | instskip(NEXT) | instid1(VALU_DEP_2)
	v_add_nc_u32_e32 v133, v133, v144
	v_xor_b32_e32 v135, 1, v135
	s_delay_alu instid0(VALU_DEP_2) | instskip(NEXT) | instid1(VALU_DEP_1)
	v_and_b32_e32 v131, 0x1fffff, v133
	v_add_nc_u32_e32 v133, v131, v144
                                        ; implicit-def: $vgpr131
	s_delay_alu instid0(VALU_DEP_3)
	v_cmpx_ne_u32_e64 v134, v135
	s_xor_b32 s13, exec_lo, s13
; %bb.172:                              ;   in Loop: Header=BB2_144 Depth=3
	s_delay_alu instid0(VALU_DEP_2) | instskip(SKIP_2) | instid1(VALU_DEP_2)
	v_cmp_lt_u32_e32 vcc_lo, 0xffffff, v133
	v_sub_nc_u32_e32 v131, v134, v135
	v_cndmask_b32_e64 v134, 0, 1, vcc_lo
	v_add_co_ci_u32_e32 v131, vcc_lo, 0, v131, vcc_lo
	s_delay_alu instid0(VALU_DEP_2)
	v_lshrrev_b32_e32 v133, v134, v133
; %bb.173:                              ;   in Loop: Header=BB2_144 Depth=3
	s_and_not1_saveexec_b32 s13, s13
; %bb.174:                              ;   in Loop: Header=BB2_144 Depth=3
	s_delay_alu instid0(VALU_DEP_1)
	v_bfe_u32 v131, v133, 23, 1
; %bb.175:                              ;   in Loop: Header=BB2_144 Depth=3
	s_or_b32 exec_lo, exec_lo, s13
	v_lshrrev_b32_e32 v133, 21, v133
	s_delay_alu instid0(VALU_DEP_2) | instskip(SKIP_2) | instid1(VALU_DEP_2)
	v_cmp_gt_i32_e32 vcc_lo, 32, v131
	v_lshrrev_b32_e32 v132, 24, v132
	v_min_i32_e32 v134, 31, v131
	v_dual_cndmask_b32 v133, 3, v133 :: v_dual_and_b32 v132, 0x80, v132
	s_delay_alu instid0(VALU_DEP_1) | instskip(SKIP_1) | instid1(VALU_DEP_2)
	v_or_b32_e32 v131, v131, v133
	v_and_b32_e32 v135, 3, v133
	v_cmp_ne_u32_e32 vcc_lo, 0, v131
	v_lshlrev_b32_e32 v134, 2, v134
	s_delay_alu instid0(VALU_DEP_1) | instskip(NEXT) | instid1(VALU_DEP_1)
	v_or3_b32 v132, v134, v132, v135
	v_cndmask_b32_e32 v131, 0, v132, vcc_lo
.LBB2_176:                              ;   in Loop: Header=BB2_144 Depth=3
	s_or_b32 exec_lo, exec_lo, s36
.LBB2_177:                              ;   in Loop: Header=BB2_144 Depth=3
	s_delay_alu instid0(SALU_CYCLE_1) | instskip(SKIP_3) | instid1(VALU_DEP_1)
	s_or_b32 exec_lo, exec_lo, s35
	v_lshrrev_b32_e32 v132, 16, v8
	s_mov_b32 s13, 0
	s_mov_b32 s36, exec_lo
                                        ; implicit-def: $sgpr35
	v_and_b32_e32 v134, 0xff, v132
	s_delay_alu instid0(VALU_DEP_1)
	v_cmpx_lt_i16_e64 0x7f, v134
	s_xor_b32 s36, exec_lo, s36
	s_cbranch_execnz .LBB2_543
; %bb.178:                              ;   in Loop: Header=BB2_144 Depth=3
	s_or_saveexec_b32 s36, s36
	v_mov_b32_e32 v133, s35
	s_xor_b32 exec_lo, exec_lo, s36
	s_cbranch_execnz .LBB2_546
.LBB2_179:                              ;   in Loop: Header=BB2_144 Depth=3
	s_or_b32 exec_lo, exec_lo, s36
	s_and_saveexec_b32 s35, s13
	s_cbranch_execz .LBB2_181
.LBB2_180:                              ;   in Loop: Header=BB2_144 Depth=3
	v_bfe_u32 v133, v8, 16, 2
	v_lshlrev_b32_e32 v144, 8, v8
	s_delay_alu instid0(VALU_DEP_2) | instskip(NEXT) | instid1(VALU_DEP_1)
	v_clz_i32_u32_e32 v134, v133
	v_min_u32_e32 v134, 32, v134
	s_delay_alu instid0(VALU_DEP_1) | instskip(SKIP_1) | instid1(VALU_DEP_2)
	v_subrev_nc_u32_e32 v135, 29, v134
	v_sub_nc_u32_e32 v134, 30, v134
	v_lshlrev_b32_e32 v132, v135, v132
	v_bfe_u32 v135, v8, 18, 5
	s_delay_alu instid0(VALU_DEP_2) | instskip(NEXT) | instid1(VALU_DEP_2)
	v_and_b32_e32 v132, 3, v132
	v_cmp_eq_u32_e32 vcc_lo, 0, v135
	v_cndmask_b32_e32 v134, v135, v134, vcc_lo
	s_delay_alu instid0(VALU_DEP_3) | instskip(SKIP_1) | instid1(VALU_DEP_3)
	v_cndmask_b32_e32 v132, v133, v132, vcc_lo
	v_and_b32_e32 v133, 0x80000000, v144
	v_lshl_add_u32 v134, v134, 23, 0x37800000
	s_delay_alu instid0(VALU_DEP_3) | instskip(NEXT) | instid1(VALU_DEP_1)
	v_lshlrev_b32_e32 v132, 21, v132
	v_or3_b32 v133, v133, v134, v132
.LBB2_181:                              ;   in Loop: Header=BB2_144 Depth=3
	s_or_b32 exec_lo, exec_lo, s35
	s_delay_alu instid0(VALU_DEP_1) | instskip(NEXT) | instid1(VALU_DEP_1)
	v_mul_f32_e32 v133, s34, v133
	v_and_b32_e32 v132, 0x7f800000, v133
	s_delay_alu instid0(VALU_DEP_1)
	v_cmp_ne_u32_e32 vcc_lo, 0x7f800000, v132
	v_mov_b32_e32 v132, 0x80
	s_and_saveexec_b32 s35, vcc_lo
	s_cbranch_execz .LBB2_189
; %bb.182:                              ;   in Loop: Header=BB2_144 Depth=3
	v_mov_b32_e32 v132, 0
	s_mov_b32 s36, exec_lo
	v_cmpx_ne_u32_e32 0, v133
	s_cbranch_execz .LBB2_188
; %bb.183:                              ;   in Loop: Header=BB2_144 Depth=3
	v_bfe_u32 v132, v133, 23, 8
	s_delay_alu instid0(VALU_DEP_1) | instskip(SKIP_1) | instid1(VALU_DEP_2)
	v_sub_nc_u32_e32 v135, 0x70, v132
	v_cmp_gt_u32_e32 vcc_lo, 0x71, v132
	v_dual_cndmask_b32 v135, 0, v135 :: v_dual_and_b32 v134, 0x7fffff, v133
	s_delay_alu instid0(VALU_DEP_1) | instskip(SKIP_2) | instid1(VALU_DEP_4)
	v_or_b32_e32 v144, 0x800000, v134
	v_cmp_eq_u32_e32 vcc_lo, 0, v132
	v_add_nc_u32_e32 v132, 0xffffff91, v132
	v_cndmask_b32_e64 v135, v135, 0x6f, vcc_lo
	s_delay_alu instid0(VALU_DEP_2) | instskip(SKIP_1) | instid1(VALU_DEP_3)
	v_cndmask_b32_e64 v132, v132, 0xffffff92, vcc_lo
	v_cndmask_b32_e32 v134, v144, v134, vcc_lo
	v_lshl_add_u32 v144, 0x200000, v135, -1
	v_lshlrev_b32_e64 v147, v135, 0x100000
	s_delay_alu instid0(VALU_DEP_3) | instskip(SKIP_1) | instid1(VALU_DEP_4)
	v_lshrrev_b32_e32 v145, v135, v134
	v_add_nc_u32_e32 v135, v135, v132
	v_and_b32_e32 v134, v144, v134
	s_delay_alu instid0(VALU_DEP_3) | instskip(NEXT) | instid1(VALU_DEP_2)
	v_bfe_u32 v146, v145, 21, 1
	v_cmp_eq_u32_e64 s13, v134, v147
	s_delay_alu instid0(VALU_DEP_2) | instskip(NEXT) | instid1(VALU_DEP_1)
	v_add_nc_u32_e32 v144, -1, v146
	v_cndmask_b32_e64 v134, 0, v144, s13
	v_lshrrev_b32_e32 v144, 23, v145
	s_mov_b32 s13, exec_lo
	s_delay_alu instid0(VALU_DEP_2) | instskip(NEXT) | instid1(VALU_DEP_2)
	v_add_nc_u32_e32 v134, v134, v145
	v_xor_b32_e32 v144, 1, v144
	s_delay_alu instid0(VALU_DEP_2) | instskip(NEXT) | instid1(VALU_DEP_1)
	v_and_b32_e32 v132, 0x1fffff, v134
	v_add_nc_u32_e32 v134, v132, v145
                                        ; implicit-def: $vgpr132
	s_delay_alu instid0(VALU_DEP_3)
	v_cmpx_ne_u32_e64 v135, v144
	s_xor_b32 s13, exec_lo, s13
; %bb.184:                              ;   in Loop: Header=BB2_144 Depth=3
	s_delay_alu instid0(VALU_DEP_2) | instskip(SKIP_2) | instid1(VALU_DEP_2)
	v_cmp_lt_u32_e32 vcc_lo, 0xffffff, v134
	v_sub_nc_u32_e32 v132, v135, v144
	v_cndmask_b32_e64 v135, 0, 1, vcc_lo
	v_add_co_ci_u32_e32 v132, vcc_lo, 0, v132, vcc_lo
	s_delay_alu instid0(VALU_DEP_2)
	v_lshrrev_b32_e32 v134, v135, v134
; %bb.185:                              ;   in Loop: Header=BB2_144 Depth=3
	s_and_not1_saveexec_b32 s13, s13
; %bb.186:                              ;   in Loop: Header=BB2_144 Depth=3
	s_delay_alu instid0(VALU_DEP_1)
	v_bfe_u32 v132, v134, 23, 1
; %bb.187:                              ;   in Loop: Header=BB2_144 Depth=3
	s_or_b32 exec_lo, exec_lo, s13
	v_lshrrev_b32_e32 v134, 21, v134
	s_delay_alu instid0(VALU_DEP_2) | instskip(SKIP_2) | instid1(VALU_DEP_2)
	v_cmp_gt_i32_e32 vcc_lo, 32, v132
	v_lshrrev_b32_e32 v133, 24, v133
	v_min_i32_e32 v135, 31, v132
	v_dual_cndmask_b32 v134, 3, v134 :: v_dual_and_b32 v133, 0x80, v133
	s_delay_alu instid0(VALU_DEP_1) | instskip(SKIP_1) | instid1(VALU_DEP_2)
	v_or_b32_e32 v132, v132, v134
	v_and_b32_e32 v144, 3, v134
	v_cmp_ne_u32_e32 vcc_lo, 0, v132
	v_lshlrev_b32_e32 v135, 2, v135
	s_delay_alu instid0(VALU_DEP_1) | instskip(NEXT) | instid1(VALU_DEP_1)
	v_or3_b32 v133, v135, v133, v144
	v_cndmask_b32_e32 v132, 0, v133, vcc_lo
.LBB2_188:                              ;   in Loop: Header=BB2_144 Depth=3
	s_or_b32 exec_lo, exec_lo, s36
.LBB2_189:                              ;   in Loop: Header=BB2_144 Depth=3
	s_delay_alu instid0(SALU_CYCLE_1) | instskip(SKIP_3) | instid1(VALU_DEP_1)
	s_or_b32 exec_lo, exec_lo, s35
	v_lshrrev_b32_e32 v133, 24, v8
	s_mov_b32 s13, 0
	s_mov_b32 s36, exec_lo
                                        ; implicit-def: $sgpr35
	v_cmpx_lt_i16_e64 0x7f, v133
	s_xor_b32 s36, exec_lo, s36
	s_cbranch_execnz .LBB2_547
; %bb.190:                              ;   in Loop: Header=BB2_144 Depth=3
	s_or_saveexec_b32 s36, s36
	v_mov_b32_e32 v134, s35
	s_xor_b32 exec_lo, exec_lo, s36
	s_cbranch_execnz .LBB2_550
.LBB2_191:                              ;   in Loop: Header=BB2_144 Depth=3
	s_or_b32 exec_lo, exec_lo, s36
	s_and_saveexec_b32 s35, s13
	s_cbranch_execz .LBB2_193
.LBB2_192:                              ;   in Loop: Header=BB2_144 Depth=3
	v_bfe_u32 v134, v8, 24, 2
	s_delay_alu instid0(VALU_DEP_1) | instskip(NEXT) | instid1(VALU_DEP_1)
	v_clz_i32_u32_e32 v135, v134
	v_min_u32_e32 v135, 32, v135
	s_delay_alu instid0(VALU_DEP_1) | instskip(SKIP_1) | instid1(VALU_DEP_2)
	v_subrev_nc_u32_e32 v144, 29, v135
	v_sub_nc_u32_e32 v135, 30, v135
	v_lshlrev_b32_e32 v133, v144, v133
	v_bfe_u32 v144, v8, 26, 5
	v_and_b32_e32 v8, 0x80000000, v8
	s_delay_alu instid0(VALU_DEP_3) | instskip(NEXT) | instid1(VALU_DEP_3)
	v_and_b32_e32 v133, 3, v133
	v_cmp_eq_u32_e32 vcc_lo, 0, v144
	v_cndmask_b32_e32 v135, v144, v135, vcc_lo
	s_delay_alu instid0(VALU_DEP_3) | instskip(NEXT) | instid1(VALU_DEP_2)
	v_cndmask_b32_e32 v133, v134, v133, vcc_lo
	v_lshl_add_u32 v134, v135, 23, 0x37800000
	s_delay_alu instid0(VALU_DEP_2) | instskip(NEXT) | instid1(VALU_DEP_1)
	v_lshlrev_b32_e32 v133, 21, v133
	v_or3_b32 v134, v8, v134, v133
.LBB2_193:                              ;   in Loop: Header=BB2_144 Depth=3
	s_or_b32 exec_lo, exec_lo, s35
	s_delay_alu instid0(VALU_DEP_1) | instskip(NEXT) | instid1(VALU_DEP_1)
	v_mul_f32_e32 v8, s34, v134
	v_and_b32_e32 v133, 0x7f800000, v8
	s_delay_alu instid0(VALU_DEP_1)
	v_cmp_ne_u32_e32 vcc_lo, 0x7f800000, v133
	v_mov_b32_e32 v133, 0x80
	s_and_saveexec_b32 s35, vcc_lo
	s_cbranch_execz .LBB2_201
; %bb.194:                              ;   in Loop: Header=BB2_144 Depth=3
	v_mov_b32_e32 v133, 0
	s_mov_b32 s36, exec_lo
	v_cmpx_ne_u32_e32 0, v8
	s_cbranch_execz .LBB2_200
; %bb.195:                              ;   in Loop: Header=BB2_144 Depth=3
	v_bfe_u32 v133, v8, 23, 8
	s_delay_alu instid0(VALU_DEP_1) | instskip(SKIP_1) | instid1(VALU_DEP_2)
	v_sub_nc_u32_e32 v135, 0x70, v133
	v_cmp_gt_u32_e32 vcc_lo, 0x71, v133
	v_dual_cndmask_b32 v135, 0, v135 :: v_dual_and_b32 v134, 0x7fffff, v8
	s_delay_alu instid0(VALU_DEP_1) | instskip(SKIP_2) | instid1(VALU_DEP_4)
	v_or_b32_e32 v144, 0x800000, v134
	v_cmp_eq_u32_e32 vcc_lo, 0, v133
	v_add_nc_u32_e32 v133, 0xffffff91, v133
	v_cndmask_b32_e64 v135, v135, 0x6f, vcc_lo
	s_delay_alu instid0(VALU_DEP_4) | instskip(NEXT) | instid1(VALU_DEP_3)
	v_cndmask_b32_e32 v134, v144, v134, vcc_lo
	v_cndmask_b32_e64 v133, v133, 0xffffff92, vcc_lo
	s_delay_alu instid0(VALU_DEP_3) | instskip(NEXT) | instid1(VALU_DEP_3)
	v_lshl_add_u32 v144, 0x200000, v135, -1
	v_lshrrev_b32_e32 v145, v135, v134
	v_lshlrev_b32_e64 v147, v135, 0x100000
	s_delay_alu instid0(VALU_DEP_4) | instskip(NEXT) | instid1(VALU_DEP_4)
	v_add_nc_u32_e32 v135, v135, v133
	v_and_b32_e32 v134, v144, v134
	s_delay_alu instid0(VALU_DEP_4) | instskip(NEXT) | instid1(VALU_DEP_2)
	v_bfe_u32 v146, v145, 21, 1
	v_cmp_eq_u32_e64 s13, v134, v147
	s_delay_alu instid0(VALU_DEP_2) | instskip(NEXT) | instid1(VALU_DEP_1)
	v_add_nc_u32_e32 v144, -1, v146
	v_cndmask_b32_e64 v134, 0, v144, s13
	v_lshrrev_b32_e32 v144, 23, v145
	s_mov_b32 s13, exec_lo
	s_delay_alu instid0(VALU_DEP_2) | instskip(NEXT) | instid1(VALU_DEP_2)
	v_add_nc_u32_e32 v134, v134, v145
	v_xor_b32_e32 v144, 1, v144
	s_delay_alu instid0(VALU_DEP_2) | instskip(NEXT) | instid1(VALU_DEP_1)
	v_and_b32_e32 v133, 0x1fffff, v134
	v_add_nc_u32_e32 v134, v133, v145
                                        ; implicit-def: $vgpr133
	s_delay_alu instid0(VALU_DEP_3)
	v_cmpx_ne_u32_e64 v135, v144
	s_xor_b32 s13, exec_lo, s13
; %bb.196:                              ;   in Loop: Header=BB2_144 Depth=3
	s_delay_alu instid0(VALU_DEP_2) | instskip(SKIP_2) | instid1(VALU_DEP_2)
	v_cmp_lt_u32_e32 vcc_lo, 0xffffff, v134
	v_sub_nc_u32_e32 v133, v135, v144
	v_cndmask_b32_e64 v135, 0, 1, vcc_lo
	v_add_co_ci_u32_e32 v133, vcc_lo, 0, v133, vcc_lo
	s_delay_alu instid0(VALU_DEP_2)
	v_lshrrev_b32_e32 v134, v135, v134
; %bb.197:                              ;   in Loop: Header=BB2_144 Depth=3
	s_and_not1_saveexec_b32 s13, s13
; %bb.198:                              ;   in Loop: Header=BB2_144 Depth=3
	s_delay_alu instid0(VALU_DEP_1)
	v_bfe_u32 v133, v134, 23, 1
; %bb.199:                              ;   in Loop: Header=BB2_144 Depth=3
	s_or_b32 exec_lo, exec_lo, s13
	v_lshrrev_b32_e32 v134, 21, v134
	s_delay_alu instid0(VALU_DEP_2) | instskip(SKIP_2) | instid1(VALU_DEP_2)
	v_cmp_gt_i32_e32 vcc_lo, 32, v133
	v_min_i32_e32 v135, 31, v133
	v_lshrrev_b32_e32 v8, 24, v8
	v_dual_cndmask_b32 v134, 3, v134 :: v_dual_lshlrev_b32 v135, 2, v135
	s_delay_alu instid0(VALU_DEP_2) | instskip(NEXT) | instid1(VALU_DEP_2)
	v_and_b32_e32 v8, 0x80, v8
	v_or_b32_e32 v133, v133, v134
	s_delay_alu instid0(VALU_DEP_1) | instskip(SKIP_1) | instid1(VALU_DEP_1)
	v_cmp_ne_u32_e32 vcc_lo, 0, v133
	v_and_b32_e32 v144, 3, v134
	v_or3_b32 v8, v135, v8, v144
	s_delay_alu instid0(VALU_DEP_1)
	v_cndmask_b32_e32 v133, 0, v8, vcc_lo
.LBB2_200:                              ;   in Loop: Header=BB2_144 Depth=3
	s_or_b32 exec_lo, exec_lo, s36
.LBB2_201:                              ;   in Loop: Header=BB2_144 Depth=3
	s_delay_alu instid0(SALU_CYCLE_1) | instskip(SKIP_3) | instid1(VALU_DEP_1)
	s_or_b32 exec_lo, exec_lo, s35
	v_and_b32_e32 v134, 0xff, v9
	s_mov_b32 s13, 0
	s_mov_b32 s36, exec_lo
                                        ; implicit-def: $sgpr35
	v_cmpx_lt_i16_e64 0x7f, v134
	s_xor_b32 s36, exec_lo, s36
	s_cbranch_execnz .LBB2_551
; %bb.202:                              ;   in Loop: Header=BB2_144 Depth=3
	s_or_saveexec_b32 s36, s36
	v_mov_b32_e32 v8, s35
	s_xor_b32 exec_lo, exec_lo, s36
	s_cbranch_execnz .LBB2_554
.LBB2_203:                              ;   in Loop: Header=BB2_144 Depth=3
	s_or_b32 exec_lo, exec_lo, s36
	s_and_saveexec_b32 s35, s13
	s_cbranch_execz .LBB2_205
.LBB2_204:                              ;   in Loop: Header=BB2_144 Depth=3
	v_and_b32_e32 v8, 3, v9
	v_bfe_u32 v144, v9, 2, 5
	s_delay_alu instid0(VALU_DEP_2) | instskip(NEXT) | instid1(VALU_DEP_2)
	v_clz_i32_u32_e32 v134, v8
	v_cmp_eq_u32_e32 vcc_lo, 0, v144
	s_delay_alu instid0(VALU_DEP_2) | instskip(NEXT) | instid1(VALU_DEP_1)
	v_min_u32_e32 v134, 32, v134
	v_subrev_nc_u32_e32 v135, 29, v134
	v_sub_nc_u32_e32 v134, 30, v134
	s_delay_alu instid0(VALU_DEP_1) | instskip(NEXT) | instid1(VALU_DEP_1)
	v_dual_cndmask_b32 v134, v144, v134 :: v_dual_lshlrev_b32 v135, v135, v9
	v_and_b32_e32 v135, 3, v135
	v_lshlrev_b32_e32 v145, 24, v9
	s_delay_alu instid0(VALU_DEP_3) | instskip(NEXT) | instid1(VALU_DEP_2)
	v_lshl_add_u32 v134, v134, 23, 0x37800000
	v_dual_cndmask_b32 v8, v8, v135 :: v_dual_and_b32 v135, 0x80000000, v145
	s_delay_alu instid0(VALU_DEP_1) | instskip(NEXT) | instid1(VALU_DEP_1)
	v_lshlrev_b32_e32 v8, 21, v8
	v_or3_b32 v8, v135, v134, v8
.LBB2_205:                              ;   in Loop: Header=BB2_144 Depth=3
	s_or_b32 exec_lo, exec_lo, s35
	s_delay_alu instid0(VALU_DEP_1) | instskip(NEXT) | instid1(VALU_DEP_1)
	v_mul_f32_e32 v8, s34, v8
	v_and_b32_e32 v134, 0x7f800000, v8
	s_delay_alu instid0(VALU_DEP_1)
	v_cmp_ne_u32_e32 vcc_lo, 0x7f800000, v134
	v_mov_b32_e32 v134, 0x80
	s_and_saveexec_b32 s35, vcc_lo
	s_cbranch_execz .LBB2_213
; %bb.206:                              ;   in Loop: Header=BB2_144 Depth=3
	v_mov_b32_e32 v134, 0
	s_mov_b32 s36, exec_lo
	v_cmpx_ne_u32_e32 0, v8
	s_cbranch_execz .LBB2_212
; %bb.207:                              ;   in Loop: Header=BB2_144 Depth=3
	v_bfe_u32 v134, v8, 23, 8
	v_and_b32_e32 v135, 0x7fffff, v8
	s_delay_alu instid0(VALU_DEP_2) | instskip(SKIP_1) | instid1(VALU_DEP_3)
	v_sub_nc_u32_e32 v144, 0x70, v134
	v_cmp_gt_u32_e32 vcc_lo, 0x71, v134
	v_or_b32_e32 v145, 0x800000, v135
	s_delay_alu instid0(VALU_DEP_3) | instskip(SKIP_1) | instid1(VALU_DEP_3)
	v_cndmask_b32_e32 v144, 0, v144, vcc_lo
	v_cmp_eq_u32_e32 vcc_lo, 0, v134
	v_dual_cndmask_b32 v135, v145, v135 :: v_dual_add_nc_u32 v134, 0xffffff91, v134
	s_delay_alu instid0(VALU_DEP_3) | instskip(NEXT) | instid1(VALU_DEP_2)
	v_cndmask_b32_e64 v144, v144, 0x6f, vcc_lo
	v_cndmask_b32_e64 v134, v134, 0xffffff92, vcc_lo
	s_delay_alu instid0(VALU_DEP_2) | instskip(SKIP_2) | instid1(VALU_DEP_4)
	v_lshrrev_b32_e32 v146, v144, v135
	v_lshl_add_u32 v145, 0x200000, v144, -1
	v_lshlrev_b32_e64 v148, v144, 0x100000
	v_add_nc_u32_e32 v144, v144, v134
	s_delay_alu instid0(VALU_DEP_4) | instskip(NEXT) | instid1(VALU_DEP_4)
	v_bfe_u32 v147, v146, 21, 1
	v_and_b32_e32 v135, v145, v135
	s_delay_alu instid0(VALU_DEP_2) | instskip(NEXT) | instid1(VALU_DEP_2)
	v_add_nc_u32_e32 v145, -1, v147
	v_cmp_eq_u32_e64 s13, v135, v148
	s_delay_alu instid0(VALU_DEP_1) | instskip(SKIP_2) | instid1(VALU_DEP_2)
	v_cndmask_b32_e64 v135, 0, v145, s13
	v_lshrrev_b32_e32 v145, 23, v146
	s_mov_b32 s13, exec_lo
	v_add_nc_u32_e32 v135, v135, v146
	s_delay_alu instid0(VALU_DEP_2) | instskip(NEXT) | instid1(VALU_DEP_2)
	v_xor_b32_e32 v145, 1, v145
	v_and_b32_e32 v134, 0x1fffff, v135
	s_delay_alu instid0(VALU_DEP_1) | instskip(NEXT) | instid1(VALU_DEP_3)
	v_add_nc_u32_e32 v135, v134, v146
                                        ; implicit-def: $vgpr134
	v_cmpx_ne_u32_e64 v144, v145
	s_xor_b32 s13, exec_lo, s13
; %bb.208:                              ;   in Loop: Header=BB2_144 Depth=3
	s_delay_alu instid0(VALU_DEP_2) | instskip(SKIP_2) | instid1(VALU_DEP_2)
	v_cmp_lt_u32_e32 vcc_lo, 0xffffff, v135
	v_sub_nc_u32_e32 v134, v144, v145
	v_cndmask_b32_e64 v144, 0, 1, vcc_lo
	v_add_co_ci_u32_e32 v134, vcc_lo, 0, v134, vcc_lo
	s_delay_alu instid0(VALU_DEP_2)
	v_lshrrev_b32_e32 v135, v144, v135
; %bb.209:                              ;   in Loop: Header=BB2_144 Depth=3
	s_and_not1_saveexec_b32 s13, s13
; %bb.210:                              ;   in Loop: Header=BB2_144 Depth=3
	s_delay_alu instid0(VALU_DEP_1)
	v_bfe_u32 v134, v135, 23, 1
; %bb.211:                              ;   in Loop: Header=BB2_144 Depth=3
	s_or_b32 exec_lo, exec_lo, s13
	v_lshrrev_b32_e32 v135, 21, v135
	s_delay_alu instid0(VALU_DEP_2) | instskip(SKIP_2) | instid1(VALU_DEP_2)
	v_cmp_gt_i32_e32 vcc_lo, 32, v134
	v_min_i32_e32 v144, 31, v134
	v_lshrrev_b32_e32 v8, 24, v8
	v_dual_cndmask_b32 v135, 3, v135 :: v_dual_lshlrev_b32 v144, 2, v144
	s_delay_alu instid0(VALU_DEP_2) | instskip(NEXT) | instid1(VALU_DEP_2)
	v_and_b32_e32 v8, 0x80, v8
	v_or_b32_e32 v134, v134, v135
	s_delay_alu instid0(VALU_DEP_3) | instskip(NEXT) | instid1(VALU_DEP_2)
	v_and_b32_e32 v144, 0xfc, v144
	v_cmp_ne_u32_e32 vcc_lo, 0, v134
	v_and_b32_e32 v145, 3, v135
	s_delay_alu instid0(VALU_DEP_1) | instskip(NEXT) | instid1(VALU_DEP_1)
	v_or3_b32 v8, v144, v8, v145
	v_cndmask_b32_e32 v134, 0, v8, vcc_lo
.LBB2_212:                              ;   in Loop: Header=BB2_144 Depth=3
	s_or_b32 exec_lo, exec_lo, s36
.LBB2_213:                              ;   in Loop: Header=BB2_144 Depth=3
	s_delay_alu instid0(SALU_CYCLE_1) | instskip(SKIP_3) | instid1(VALU_DEP_1)
	s_or_b32 exec_lo, exec_lo, s35
	v_lshrrev_b16 v8, 8, v9
	s_mov_b32 s13, 0
	s_mov_b32 s36, exec_lo
                                        ; implicit-def: $sgpr35
	v_cmpx_lt_i16_e32 0x7f, v8
	s_xor_b32 s36, exec_lo, s36
	s_cbranch_execnz .LBB2_555
; %bb.214:                              ;   in Loop: Header=BB2_144 Depth=3
	s_or_saveexec_b32 s36, s36
	v_mov_b32_e32 v135, s35
	s_xor_b32 exec_lo, exec_lo, s36
	s_cbranch_execnz .LBB2_558
.LBB2_215:                              ;   in Loop: Header=BB2_144 Depth=3
	s_or_b32 exec_lo, exec_lo, s36
	s_and_saveexec_b32 s35, s13
	s_cbranch_execz .LBB2_217
.LBB2_216:                              ;   in Loop: Header=BB2_144 Depth=3
	v_and_b32_e32 v135, 0xffff, v8
	v_lshlrev_b32_e32 v8, 24, v8
	s_delay_alu instid0(VALU_DEP_2) | instskip(NEXT) | instid1(VALU_DEP_2)
	v_and_b32_e32 v144, 3, v135
	v_and_b32_e32 v8, 0x80000000, v8
	s_delay_alu instid0(VALU_DEP_2) | instskip(NEXT) | instid1(VALU_DEP_1)
	v_clz_i32_u32_e32 v145, v144
	v_min_u32_e32 v145, 32, v145
	s_delay_alu instid0(VALU_DEP_1) | instskip(SKIP_1) | instid1(VALU_DEP_2)
	v_subrev_nc_u32_e32 v146, 29, v145
	v_sub_nc_u32_e32 v145, 30, v145
	v_lshlrev_b32_e32 v146, v146, v135
	v_bfe_u32 v135, v135, 2, 5
	s_delay_alu instid0(VALU_DEP_2) | instskip(NEXT) | instid1(VALU_DEP_2)
	v_and_b32_e32 v146, 3, v146
	v_cmp_eq_u32_e32 vcc_lo, 0, v135
	s_delay_alu instid0(VALU_DEP_2) | instskip(NEXT) | instid1(VALU_DEP_1)
	v_dual_cndmask_b32 v135, v135, v145 :: v_dual_cndmask_b32 v144, v144, v146
	v_lshl_add_u32 v135, v135, 23, 0x37800000
	s_delay_alu instid0(VALU_DEP_2) | instskip(NEXT) | instid1(VALU_DEP_1)
	v_lshlrev_b32_e32 v144, 21, v144
	v_or3_b32 v135, v8, v135, v144
.LBB2_217:                              ;   in Loop: Header=BB2_144 Depth=3
	s_or_b32 exec_lo, exec_lo, s35
	s_delay_alu instid0(VALU_DEP_1) | instskip(NEXT) | instid1(VALU_DEP_1)
	v_mul_f32_e32 v8, s34, v135
	v_and_b32_e32 v135, 0x7f800000, v8
	s_delay_alu instid0(VALU_DEP_1)
	v_cmp_ne_u32_e32 vcc_lo, 0x7f800000, v135
	v_mov_b32_e32 v135, 0x8000
	s_and_saveexec_b32 s35, vcc_lo
	s_cbranch_execz .LBB2_225
; %bb.218:                              ;   in Loop: Header=BB2_144 Depth=3
	v_mov_b32_e32 v135, 0
	s_mov_b32 s36, exec_lo
	v_cmpx_ne_u32_e32 0, v8
	s_cbranch_execz .LBB2_224
; %bb.219:                              ;   in Loop: Header=BB2_144 Depth=3
	v_bfe_u32 v135, v8, 23, 8
	s_delay_alu instid0(VALU_DEP_1) | instskip(SKIP_1) | instid1(VALU_DEP_2)
	v_sub_nc_u32_e32 v145, 0x70, v135
	v_cmp_gt_u32_e32 vcc_lo, 0x71, v135
	v_dual_cndmask_b32 v145, 0, v145 :: v_dual_and_b32 v144, 0x7fffff, v8
	s_delay_alu instid0(VALU_DEP_1) | instskip(SKIP_2) | instid1(VALU_DEP_4)
	v_or_b32_e32 v146, 0x800000, v144
	v_cmp_eq_u32_e32 vcc_lo, 0, v135
	v_add_nc_u32_e32 v135, 0xffffff91, v135
	v_cndmask_b32_e64 v145, v145, 0x6f, vcc_lo
	s_delay_alu instid0(VALU_DEP_4) | instskip(NEXT) | instid1(VALU_DEP_3)
	v_cndmask_b32_e32 v144, v146, v144, vcc_lo
	v_cndmask_b32_e64 v135, v135, 0xffffff92, vcc_lo
	s_delay_alu instid0(VALU_DEP_3) | instskip(NEXT) | instid1(VALU_DEP_3)
	v_lshl_add_u32 v146, 0x200000, v145, -1
	v_lshrrev_b32_e32 v147, v145, v144
	v_lshlrev_b32_e64 v149, v145, 0x100000
	s_delay_alu instid0(VALU_DEP_4) | instskip(NEXT) | instid1(VALU_DEP_4)
	v_add_nc_u32_e32 v145, v145, v135
	v_and_b32_e32 v144, v146, v144
	s_delay_alu instid0(VALU_DEP_4) | instskip(NEXT) | instid1(VALU_DEP_2)
	v_bfe_u32 v148, v147, 21, 1
	v_cmp_eq_u32_e64 s13, v144, v149
	s_delay_alu instid0(VALU_DEP_2) | instskip(NEXT) | instid1(VALU_DEP_1)
	v_add_nc_u32_e32 v146, -1, v148
	v_cndmask_b32_e64 v144, 0, v146, s13
	v_lshrrev_b32_e32 v146, 23, v147
	s_mov_b32 s13, exec_lo
	s_delay_alu instid0(VALU_DEP_2) | instskip(NEXT) | instid1(VALU_DEP_2)
	v_add_nc_u32_e32 v144, v144, v147
	v_xor_b32_e32 v146, 1, v146
	s_delay_alu instid0(VALU_DEP_2) | instskip(NEXT) | instid1(VALU_DEP_1)
	v_and_b32_e32 v135, 0x1fffff, v144
	v_add_nc_u32_e32 v144, v135, v147
                                        ; implicit-def: $vgpr135
	s_delay_alu instid0(VALU_DEP_3)
	v_cmpx_ne_u32_e64 v145, v146
	s_xor_b32 s13, exec_lo, s13
; %bb.220:                              ;   in Loop: Header=BB2_144 Depth=3
	s_delay_alu instid0(VALU_DEP_2) | instskip(SKIP_2) | instid1(VALU_DEP_2)
	v_cmp_lt_u32_e32 vcc_lo, 0xffffff, v144
	v_sub_nc_u32_e32 v135, v145, v146
	v_cndmask_b32_e64 v145, 0, 1, vcc_lo
	v_add_co_ci_u32_e32 v135, vcc_lo, 0, v135, vcc_lo
	s_delay_alu instid0(VALU_DEP_2)
	v_lshrrev_b32_e32 v144, v145, v144
; %bb.221:                              ;   in Loop: Header=BB2_144 Depth=3
	s_and_not1_saveexec_b32 s13, s13
; %bb.222:                              ;   in Loop: Header=BB2_144 Depth=3
	s_delay_alu instid0(VALU_DEP_1)
	v_bfe_u32 v135, v144, 23, 1
; %bb.223:                              ;   in Loop: Header=BB2_144 Depth=3
	s_or_b32 exec_lo, exec_lo, s13
	v_lshrrev_b32_e32 v144, 21, v144
	s_delay_alu instid0(VALU_DEP_2) | instskip(SKIP_2) | instid1(VALU_DEP_3)
	v_min_i32_e32 v145, 31, v135
	v_cmp_gt_i32_e32 vcc_lo, 32, v135
	v_lshrrev_b32_e32 v8, 24, v8
	v_dual_cndmask_b32 v144, 3, v144 :: v_dual_lshlrev_b32 v145, 2, v145
	s_delay_alu instid0(VALU_DEP_2) | instskip(NEXT) | instid1(VALU_DEP_2)
	v_and_b32_e32 v8, 0x80, v8
	v_and_b32_e32 v145, 0xfc, v145
	s_delay_alu instid0(VALU_DEP_3) | instskip(SKIP_1) | instid1(VALU_DEP_2)
	v_and_b32_e32 v146, 3, v144
	v_or_b32_e32 v135, v135, v144
	v_or3_b32 v8, v8, v145, v146
	s_delay_alu instid0(VALU_DEP_2) | instskip(NEXT) | instid1(VALU_DEP_2)
	v_cmp_ne_u32_e32 vcc_lo, 0, v135
	v_lshlrev_b32_e32 v8, 8, v8
	s_delay_alu instid0(VALU_DEP_1)
	v_cndmask_b32_e32 v135, 0, v8, vcc_lo
.LBB2_224:                              ;   in Loop: Header=BB2_144 Depth=3
	s_or_b32 exec_lo, exec_lo, s36
.LBB2_225:                              ;   in Loop: Header=BB2_144 Depth=3
	s_delay_alu instid0(SALU_CYCLE_1) | instskip(SKIP_3) | instid1(VALU_DEP_1)
	s_or_b32 exec_lo, exec_lo, s35
	v_lshrrev_b32_e32 v8, 16, v9
	s_mov_b32 s13, 0
	s_mov_b32 s36, exec_lo
                                        ; implicit-def: $sgpr35
	v_and_b32_e32 v145, 0xff, v8
	s_delay_alu instid0(VALU_DEP_1)
	v_cmpx_lt_i16_e64 0x7f, v145
	s_xor_b32 s36, exec_lo, s36
	s_cbranch_execnz .LBB2_559
; %bb.226:                              ;   in Loop: Header=BB2_144 Depth=3
	s_or_saveexec_b32 s36, s36
	v_mov_b32_e32 v144, s35
	s_xor_b32 exec_lo, exec_lo, s36
	s_cbranch_execnz .LBB2_562
.LBB2_227:                              ;   in Loop: Header=BB2_144 Depth=3
	s_or_b32 exec_lo, exec_lo, s36
	s_and_saveexec_b32 s35, s13
	s_cbranch_execz .LBB2_229
.LBB2_228:                              ;   in Loop: Header=BB2_144 Depth=3
	v_bfe_u32 v144, v9, 16, 2
	s_delay_alu instid0(VALU_DEP_1) | instskip(NEXT) | instid1(VALU_DEP_1)
	v_clz_i32_u32_e32 v145, v144
	v_min_u32_e32 v145, 32, v145
	s_delay_alu instid0(VALU_DEP_1) | instskip(SKIP_1) | instid1(VALU_DEP_2)
	v_subrev_nc_u32_e32 v146, 29, v145
	v_sub_nc_u32_e32 v145, 30, v145
	v_lshlrev_b32_e32 v8, v146, v8
	v_bfe_u32 v146, v9, 18, 5
	s_delay_alu instid0(VALU_DEP_1) | instskip(NEXT) | instid1(VALU_DEP_3)
	v_cmp_eq_u32_e32 vcc_lo, 0, v146
	v_dual_cndmask_b32 v145, v146, v145 :: v_dual_and_b32 v8, 3, v8
	s_delay_alu instid0(VALU_DEP_1) | instskip(NEXT) | instid1(VALU_DEP_2)
	v_dual_cndmask_b32 v8, v144, v8 :: v_dual_lshlrev_b32 v147, 8, v9
	v_lshl_add_u32 v145, v145, 23, 0x37800000
	s_delay_alu instid0(VALU_DEP_2) | instskip(NEXT) | instid1(VALU_DEP_3)
	v_and_b32_e32 v144, 0x80000000, v147
	v_lshlrev_b32_e32 v8, 21, v8
	s_delay_alu instid0(VALU_DEP_1)
	v_or3_b32 v144, v144, v145, v8
.LBB2_229:                              ;   in Loop: Header=BB2_144 Depth=3
	s_or_b32 exec_lo, exec_lo, s35
	s_delay_alu instid0(VALU_DEP_1) | instskip(NEXT) | instid1(VALU_DEP_1)
	v_mul_f32_e32 v8, s34, v144
	v_and_b32_e32 v144, 0x7f800000, v8
	s_delay_alu instid0(VALU_DEP_1)
	v_cmp_ne_u32_e32 vcc_lo, 0x7f800000, v144
	v_mov_b32_e32 v144, 0x80
	s_and_saveexec_b32 s35, vcc_lo
	s_cbranch_execz .LBB2_237
; %bb.230:                              ;   in Loop: Header=BB2_144 Depth=3
	v_mov_b32_e32 v144, 0
	s_mov_b32 s36, exec_lo
	v_cmpx_ne_u32_e32 0, v8
	s_cbranch_execz .LBB2_236
; %bb.231:                              ;   in Loop: Header=BB2_144 Depth=3
	v_bfe_u32 v144, v8, 23, 8
	s_delay_alu instid0(VALU_DEP_1) | instskip(SKIP_1) | instid1(VALU_DEP_2)
	v_sub_nc_u32_e32 v146, 0x70, v144
	v_cmp_gt_u32_e32 vcc_lo, 0x71, v144
	v_dual_cndmask_b32 v146, 0, v146 :: v_dual_and_b32 v145, 0x7fffff, v8
	s_delay_alu instid0(VALU_DEP_1) | instskip(SKIP_2) | instid1(VALU_DEP_4)
	v_or_b32_e32 v147, 0x800000, v145
	v_cmp_eq_u32_e32 vcc_lo, 0, v144
	v_add_nc_u32_e32 v144, 0xffffff91, v144
	v_cndmask_b32_e64 v146, v146, 0x6f, vcc_lo
	s_delay_alu instid0(VALU_DEP_4) | instskip(NEXT) | instid1(VALU_DEP_3)
	v_cndmask_b32_e32 v145, v147, v145, vcc_lo
	v_cndmask_b32_e64 v144, v144, 0xffffff92, vcc_lo
	s_delay_alu instid0(VALU_DEP_3) | instskip(NEXT) | instid1(VALU_DEP_3)
	v_lshl_add_u32 v147, 0x200000, v146, -1
	v_lshrrev_b32_e32 v148, v146, v145
	v_lshlrev_b32_e64 v150, v146, 0x100000
	s_delay_alu instid0(VALU_DEP_4) | instskip(NEXT) | instid1(VALU_DEP_4)
	v_add_nc_u32_e32 v146, v146, v144
	v_and_b32_e32 v145, v147, v145
	s_delay_alu instid0(VALU_DEP_4) | instskip(NEXT) | instid1(VALU_DEP_2)
	v_bfe_u32 v149, v148, 21, 1
	v_cmp_eq_u32_e64 s13, v145, v150
	s_delay_alu instid0(VALU_DEP_2) | instskip(NEXT) | instid1(VALU_DEP_1)
	v_add_nc_u32_e32 v147, -1, v149
	v_cndmask_b32_e64 v145, 0, v147, s13
	v_lshrrev_b32_e32 v147, 23, v148
	s_mov_b32 s13, exec_lo
	s_delay_alu instid0(VALU_DEP_2) | instskip(NEXT) | instid1(VALU_DEP_2)
	v_add_nc_u32_e32 v145, v145, v148
	v_xor_b32_e32 v147, 1, v147
	s_delay_alu instid0(VALU_DEP_2) | instskip(NEXT) | instid1(VALU_DEP_1)
	v_and_b32_e32 v144, 0x1fffff, v145
	v_add_nc_u32_e32 v145, v144, v148
                                        ; implicit-def: $vgpr144
	s_delay_alu instid0(VALU_DEP_3)
	v_cmpx_ne_u32_e64 v146, v147
	s_xor_b32 s13, exec_lo, s13
; %bb.232:                              ;   in Loop: Header=BB2_144 Depth=3
	s_delay_alu instid0(VALU_DEP_2) | instskip(SKIP_2) | instid1(VALU_DEP_2)
	v_cmp_lt_u32_e32 vcc_lo, 0xffffff, v145
	v_sub_nc_u32_e32 v144, v146, v147
	v_cndmask_b32_e64 v146, 0, 1, vcc_lo
	v_add_co_ci_u32_e32 v144, vcc_lo, 0, v144, vcc_lo
	s_delay_alu instid0(VALU_DEP_2)
	v_lshrrev_b32_e32 v145, v146, v145
; %bb.233:                              ;   in Loop: Header=BB2_144 Depth=3
	s_and_not1_saveexec_b32 s13, s13
; %bb.234:                              ;   in Loop: Header=BB2_144 Depth=3
	s_delay_alu instid0(VALU_DEP_1)
	v_bfe_u32 v144, v145, 23, 1
; %bb.235:                              ;   in Loop: Header=BB2_144 Depth=3
	s_or_b32 exec_lo, exec_lo, s13
	v_lshrrev_b32_e32 v145, 21, v145
	s_delay_alu instid0(VALU_DEP_2) | instskip(SKIP_2) | instid1(VALU_DEP_2)
	v_cmp_gt_i32_e32 vcc_lo, 32, v144
	v_min_i32_e32 v146, 31, v144
	v_lshrrev_b32_e32 v8, 24, v8
	v_dual_cndmask_b32 v145, 3, v145 :: v_dual_lshlrev_b32 v146, 2, v146
	s_delay_alu instid0(VALU_DEP_2) | instskip(NEXT) | instid1(VALU_DEP_2)
	v_and_b32_e32 v8, 0x80, v8
	v_or_b32_e32 v144, v144, v145
	s_delay_alu instid0(VALU_DEP_3) | instskip(NEXT) | instid1(VALU_DEP_2)
	v_and_b32_e32 v146, 0xfc, v146
	v_cmp_ne_u32_e32 vcc_lo, 0, v144
	v_and_b32_e32 v147, 3, v145
	s_delay_alu instid0(VALU_DEP_1) | instskip(NEXT) | instid1(VALU_DEP_1)
	v_or3_b32 v8, v146, v8, v147
	v_cndmask_b32_e32 v144, 0, v8, vcc_lo
.LBB2_236:                              ;   in Loop: Header=BB2_144 Depth=3
	s_or_b32 exec_lo, exec_lo, s36
.LBB2_237:                              ;   in Loop: Header=BB2_144 Depth=3
	s_delay_alu instid0(SALU_CYCLE_1) | instskip(SKIP_3) | instid1(VALU_DEP_1)
	s_or_b32 exec_lo, exec_lo, s35
	v_lshrrev_b32_e32 v8, 24, v9
	s_mov_b32 s13, 0
	s_mov_b32 s36, exec_lo
                                        ; implicit-def: $sgpr35
	v_cmpx_lt_i16_e32 0x7f, v8
	s_xor_b32 s36, exec_lo, s36
	s_cbranch_execnz .LBB2_563
; %bb.238:                              ;   in Loop: Header=BB2_144 Depth=3
	s_or_saveexec_b32 s36, s36
	v_mov_b32_e32 v145, s35
	s_xor_b32 exec_lo, exec_lo, s36
	s_cbranch_execnz .LBB2_566
.LBB2_239:                              ;   in Loop: Header=BB2_144 Depth=3
	s_or_b32 exec_lo, exec_lo, s36
	s_and_saveexec_b32 s35, s13
	s_cbranch_execz .LBB2_241
.LBB2_240:                              ;   in Loop: Header=BB2_144 Depth=3
	v_bfe_u32 v145, v9, 24, 2
	s_delay_alu instid0(VALU_DEP_1) | instskip(NEXT) | instid1(VALU_DEP_1)
	v_clz_i32_u32_e32 v146, v145
	v_min_u32_e32 v146, 32, v146
	s_delay_alu instid0(VALU_DEP_1) | instskip(SKIP_1) | instid1(VALU_DEP_2)
	v_subrev_nc_u32_e32 v147, 29, v146
	v_sub_nc_u32_e32 v146, 30, v146
	v_lshlrev_b32_e32 v8, v147, v8
	v_bfe_u32 v147, v9, 26, 5
	v_and_b32_e32 v9, 0x80000000, v9
	s_delay_alu instid0(VALU_DEP_3) | instskip(NEXT) | instid1(VALU_DEP_3)
	v_and_b32_e32 v8, 3, v8
	v_cmp_eq_u32_e32 vcc_lo, 0, v147
	v_cndmask_b32_e32 v146, v147, v146, vcc_lo
	s_delay_alu instid0(VALU_DEP_3) | instskip(NEXT) | instid1(VALU_DEP_2)
	v_cndmask_b32_e32 v8, v145, v8, vcc_lo
	v_lshl_add_u32 v145, v146, 23, 0x37800000
	s_delay_alu instid0(VALU_DEP_2) | instskip(NEXT) | instid1(VALU_DEP_1)
	v_lshlrev_b32_e32 v8, 21, v8
	v_or3_b32 v145, v9, v145, v8
.LBB2_241:                              ;   in Loop: Header=BB2_144 Depth=3
	s_or_b32 exec_lo, exec_lo, s35
	s_delay_alu instid0(VALU_DEP_1) | instskip(SKIP_1) | instid1(VALU_DEP_1)
	v_dual_mul_f32 v8, s34, v145 :: v_dual_mov_b32 v145, 0x8000
	s_mov_b32 s35, exec_lo
	v_and_b32_e32 v9, 0x7f800000, v8
	s_delay_alu instid0(VALU_DEP_1)
	v_cmpx_ne_u32_e32 0x7f800000, v9
	s_cbranch_execz .LBB2_249
; %bb.242:                              ;   in Loop: Header=BB2_144 Depth=3
	v_mov_b32_e32 v145, 0
	s_mov_b32 s36, exec_lo
	v_cmpx_ne_u32_e32 0, v8
	s_cbranch_execz .LBB2_248
; %bb.243:                              ;   in Loop: Header=BB2_144 Depth=3
	v_bfe_u32 v9, v8, 23, 8
	s_delay_alu instid0(VALU_DEP_1) | instskip(SKIP_1) | instid1(VALU_DEP_2)
	v_sub_nc_u32_e32 v146, 0x70, v9
	v_cmp_gt_u32_e32 vcc_lo, 0x71, v9
	v_dual_cndmask_b32 v146, 0, v146 :: v_dual_and_b32 v145, 0x7fffff, v8
	s_delay_alu instid0(VALU_DEP_1) | instskip(SKIP_2) | instid1(VALU_DEP_4)
	v_or_b32_e32 v147, 0x800000, v145
	v_cmp_eq_u32_e32 vcc_lo, 0, v9
	v_add_nc_u32_e32 v9, 0xffffff91, v9
	v_cndmask_b32_e64 v146, v146, 0x6f, vcc_lo
	s_delay_alu instid0(VALU_DEP_4) | instskip(NEXT) | instid1(VALU_DEP_3)
	v_cndmask_b32_e32 v145, v147, v145, vcc_lo
	v_cndmask_b32_e64 v9, v9, 0xffffff92, vcc_lo
	s_delay_alu instid0(VALU_DEP_3) | instskip(NEXT) | instid1(VALU_DEP_3)
	v_lshl_add_u32 v147, 0x200000, v146, -1
	v_lshrrev_b32_e32 v148, v146, v145
	v_lshlrev_b32_e64 v150, v146, 0x100000
	s_delay_alu instid0(VALU_DEP_4) | instskip(NEXT) | instid1(VALU_DEP_4)
	v_add_nc_u32_e32 v146, v146, v9
	v_and_b32_e32 v145, v147, v145
	s_delay_alu instid0(VALU_DEP_4) | instskip(NEXT) | instid1(VALU_DEP_2)
	v_bfe_u32 v149, v148, 21, 1
	v_cmp_eq_u32_e64 s13, v145, v150
	s_delay_alu instid0(VALU_DEP_2) | instskip(NEXT) | instid1(VALU_DEP_1)
	v_add_nc_u32_e32 v147, -1, v149
	v_cndmask_b32_e64 v145, 0, v147, s13
	v_lshrrev_b32_e32 v147, 23, v148
	s_mov_b32 s13, exec_lo
	s_delay_alu instid0(VALU_DEP_2) | instskip(NEXT) | instid1(VALU_DEP_2)
	v_add_nc_u32_e32 v145, v145, v148
	v_xor_b32_e32 v147, 1, v147
	s_delay_alu instid0(VALU_DEP_2) | instskip(NEXT) | instid1(VALU_DEP_1)
	v_and_b32_e32 v9, 0x1fffff, v145
	v_add_nc_u32_e32 v145, v9, v148
                                        ; implicit-def: $vgpr9
	s_delay_alu instid0(VALU_DEP_3)
	v_cmpx_ne_u32_e64 v146, v147
	s_xor_b32 s13, exec_lo, s13
; %bb.244:                              ;   in Loop: Header=BB2_144 Depth=3
	s_delay_alu instid0(VALU_DEP_2) | instskip(SKIP_2) | instid1(VALU_DEP_2)
	v_cmp_lt_u32_e32 vcc_lo, 0xffffff, v145
	v_sub_nc_u32_e32 v9, v146, v147
	v_cndmask_b32_e64 v146, 0, 1, vcc_lo
	v_add_co_ci_u32_e32 v9, vcc_lo, 0, v9, vcc_lo
	s_delay_alu instid0(VALU_DEP_2)
	v_lshrrev_b32_e32 v145, v146, v145
; %bb.245:                              ;   in Loop: Header=BB2_144 Depth=3
	s_and_not1_saveexec_b32 s13, s13
; %bb.246:                              ;   in Loop: Header=BB2_144 Depth=3
	s_delay_alu instid0(VALU_DEP_1)
	v_bfe_u32 v9, v145, 23, 1
; %bb.247:                              ;   in Loop: Header=BB2_144 Depth=3
	s_or_b32 exec_lo, exec_lo, s13
	v_lshrrev_b32_e32 v145, 21, v145
	s_delay_alu instid0(VALU_DEP_2) | instskip(SKIP_2) | instid1(VALU_DEP_2)
	v_cmp_gt_i32_e32 vcc_lo, 32, v9
	v_min_i32_e32 v146, 31, v9
	v_lshrrev_b32_e32 v8, 24, v8
	v_dual_cndmask_b32 v145, 3, v145 :: v_dual_lshlrev_b32 v146, 2, v146
	s_delay_alu instid0(VALU_DEP_2) | instskip(NEXT) | instid1(VALU_DEP_2)
	v_and_b32_e32 v8, 0x80, v8
	v_or_b32_e32 v9, v9, v145
	v_and_b32_e32 v147, 3, v145
	s_delay_alu instid0(VALU_DEP_2) | instskip(SKIP_1) | instid1(VALU_DEP_1)
	v_cmp_ne_u32_e32 vcc_lo, 0, v9
	v_and_b32_e32 v146, 0xfc, v146
	v_or3_b32 v8, v8, v146, v147
	s_delay_alu instid0(VALU_DEP_1) | instskip(NEXT) | instid1(VALU_DEP_1)
	v_lshlrev_b32_e32 v8, 8, v8
	v_cndmask_b32_e32 v145, 0, v8, vcc_lo
.LBB2_248:                              ;   in Loop: Header=BB2_144 Depth=3
	s_or_b32 exec_lo, exec_lo, s36
.LBB2_249:                              ;   in Loop: Header=BB2_144 Depth=3
	s_delay_alu instid0(SALU_CYCLE_1) | instskip(SKIP_3) | instid1(VALU_DEP_1)
	s_or_b32 exec_lo, exec_lo, s35
	v_and_b32_e32 v9, 0xff, v10
	s_mov_b32 s13, 0
	s_mov_b32 s36, exec_lo
                                        ; implicit-def: $sgpr35
	v_cmpx_lt_i16_e32 0x7f, v9
	s_xor_b32 s36, exec_lo, s36
	s_cbranch_execnz .LBB2_567
; %bb.250:                              ;   in Loop: Header=BB2_144 Depth=3
	s_or_saveexec_b32 s36, s36
	v_mov_b32_e32 v8, s35
	s_xor_b32 exec_lo, exec_lo, s36
	s_cbranch_execnz .LBB2_570
.LBB2_251:                              ;   in Loop: Header=BB2_144 Depth=3
	s_or_b32 exec_lo, exec_lo, s36
	s_and_saveexec_b32 s35, s13
	s_cbranch_execz .LBB2_253
.LBB2_252:                              ;   in Loop: Header=BB2_144 Depth=3
	v_bfe_u32 v147, v10, 2, 5
	v_lshlrev_b32_e32 v148, 24, v10
	s_delay_alu instid0(VALU_DEP_2) | instskip(SKIP_1) | instid1(VALU_DEP_1)
	v_cmp_eq_u32_e32 vcc_lo, 0, v147
	v_and_b32_e32 v8, 3, v10
	v_clz_i32_u32_e32 v9, v8
	s_delay_alu instid0(VALU_DEP_1) | instskip(NEXT) | instid1(VALU_DEP_1)
	v_min_u32_e32 v9, 32, v9
	v_subrev_nc_u32_e32 v146, 29, v9
	v_sub_nc_u32_e32 v9, 30, v9
	s_delay_alu instid0(VALU_DEP_1) | instskip(NEXT) | instid1(VALU_DEP_1)
	v_dual_cndmask_b32 v9, v147, v9 :: v_dual_lshlrev_b32 v146, v146, v10
	v_and_b32_e32 v146, 3, v146
	s_delay_alu instid0(VALU_DEP_2) | instskip(NEXT) | instid1(VALU_DEP_2)
	v_lshl_add_u32 v9, v9, 23, 0x37800000
	v_cndmask_b32_e32 v8, v8, v146, vcc_lo
	v_and_b32_e32 v146, 0x80000000, v148
	s_delay_alu instid0(VALU_DEP_2) | instskip(NEXT) | instid1(VALU_DEP_1)
	v_lshlrev_b32_e32 v8, 21, v8
	v_or3_b32 v8, v146, v9, v8
.LBB2_253:                              ;   in Loop: Header=BB2_144 Depth=3
	s_or_b32 exec_lo, exec_lo, s35
	s_delay_alu instid0(VALU_DEP_1) | instskip(SKIP_2) | instid1(VALU_DEP_2)
	v_mul_f32_e32 v8, s34, v8
	v_mov_b32_e32 v146, 0x80
	s_mov_b32 s35, exec_lo
	v_and_b32_e32 v9, 0x7f800000, v8
	s_delay_alu instid0(VALU_DEP_1)
	v_cmpx_ne_u32_e32 0x7f800000, v9
	s_cbranch_execz .LBB2_261
; %bb.254:                              ;   in Loop: Header=BB2_144 Depth=3
	v_mov_b32_e32 v146, 0
	s_mov_b32 s36, exec_lo
	v_cmpx_ne_u32_e32 0, v8
	s_cbranch_execz .LBB2_260
; %bb.255:                              ;   in Loop: Header=BB2_144 Depth=3
	v_bfe_u32 v9, v8, 23, 8
	s_delay_alu instid0(VALU_DEP_1) | instskip(SKIP_1) | instid1(VALU_DEP_2)
	v_sub_nc_u32_e32 v147, 0x70, v9
	v_cmp_gt_u32_e32 vcc_lo, 0x71, v9
	v_dual_cndmask_b32 v147, 0, v147 :: v_dual_and_b32 v146, 0x7fffff, v8
	s_delay_alu instid0(VALU_DEP_1) | instskip(SKIP_2) | instid1(VALU_DEP_4)
	v_or_b32_e32 v148, 0x800000, v146
	v_cmp_eq_u32_e32 vcc_lo, 0, v9
	v_add_nc_u32_e32 v9, 0xffffff91, v9
	v_cndmask_b32_e64 v147, v147, 0x6f, vcc_lo
	s_delay_alu instid0(VALU_DEP_4) | instskip(NEXT) | instid1(VALU_DEP_3)
	v_cndmask_b32_e32 v146, v148, v146, vcc_lo
	v_cndmask_b32_e64 v9, v9, 0xffffff92, vcc_lo
	s_delay_alu instid0(VALU_DEP_3) | instskip(NEXT) | instid1(VALU_DEP_3)
	v_lshl_add_u32 v148, 0x200000, v147, -1
	v_lshrrev_b32_e32 v149, v147, v146
	v_lshlrev_b32_e64 v151, v147, 0x100000
	s_delay_alu instid0(VALU_DEP_4) | instskip(NEXT) | instid1(VALU_DEP_4)
	v_add_nc_u32_e32 v147, v147, v9
	v_and_b32_e32 v146, v148, v146
	s_delay_alu instid0(VALU_DEP_4) | instskip(NEXT) | instid1(VALU_DEP_2)
	v_bfe_u32 v150, v149, 21, 1
	v_cmp_eq_u32_e64 s13, v146, v151
	s_delay_alu instid0(VALU_DEP_2) | instskip(NEXT) | instid1(VALU_DEP_1)
	v_add_nc_u32_e32 v148, -1, v150
	v_cndmask_b32_e64 v146, 0, v148, s13
	v_lshrrev_b32_e32 v148, 23, v149
	s_mov_b32 s13, exec_lo
	s_delay_alu instid0(VALU_DEP_2) | instskip(NEXT) | instid1(VALU_DEP_2)
	v_add_nc_u32_e32 v146, v146, v149
	v_xor_b32_e32 v148, 1, v148
	s_delay_alu instid0(VALU_DEP_2) | instskip(NEXT) | instid1(VALU_DEP_1)
	v_and_b32_e32 v9, 0x1fffff, v146
	v_add_nc_u32_e32 v146, v9, v149
                                        ; implicit-def: $vgpr9
	s_delay_alu instid0(VALU_DEP_3)
	v_cmpx_ne_u32_e64 v147, v148
	s_xor_b32 s13, exec_lo, s13
; %bb.256:                              ;   in Loop: Header=BB2_144 Depth=3
	s_delay_alu instid0(VALU_DEP_2) | instskip(SKIP_2) | instid1(VALU_DEP_2)
	v_cmp_lt_u32_e32 vcc_lo, 0xffffff, v146
	v_sub_nc_u32_e32 v9, v147, v148
	v_cndmask_b32_e64 v147, 0, 1, vcc_lo
	v_add_co_ci_u32_e32 v9, vcc_lo, 0, v9, vcc_lo
	s_delay_alu instid0(VALU_DEP_2)
	v_lshrrev_b32_e32 v146, v147, v146
; %bb.257:                              ;   in Loop: Header=BB2_144 Depth=3
	s_and_not1_saveexec_b32 s13, s13
; %bb.258:                              ;   in Loop: Header=BB2_144 Depth=3
	s_delay_alu instid0(VALU_DEP_1)
	v_bfe_u32 v9, v146, 23, 1
; %bb.259:                              ;   in Loop: Header=BB2_144 Depth=3
	s_or_b32 exec_lo, exec_lo, s13
	v_lshrrev_b32_e32 v146, 21, v146
	s_delay_alu instid0(VALU_DEP_2) | instskip(SKIP_2) | instid1(VALU_DEP_4)
	v_cmp_gt_i32_e32 vcc_lo, 32, v9
	v_lshrrev_b32_e32 v8, 24, v8
	v_min_i32_e32 v147, 31, v9
	v_cndmask_b32_e32 v146, 3, v146, vcc_lo
	s_delay_alu instid0(VALU_DEP_3) | instskip(NEXT) | instid1(VALU_DEP_3)
	v_and_b32_e32 v8, 0x80, v8
	v_lshlrev_b32_e32 v147, 2, v147
	s_delay_alu instid0(VALU_DEP_3) | instskip(SKIP_1) | instid1(VALU_DEP_2)
	v_and_b32_e32 v148, 3, v146
	v_or_b32_e32 v9, v9, v146
	v_or3_b32 v8, v147, v8, v148
	s_delay_alu instid0(VALU_DEP_2) | instskip(NEXT) | instid1(VALU_DEP_2)
	v_cmp_ne_u32_e32 vcc_lo, 0, v9
	v_cndmask_b32_e32 v146, 0, v8, vcc_lo
.LBB2_260:                              ;   in Loop: Header=BB2_144 Depth=3
	s_or_b32 exec_lo, exec_lo, s36
.LBB2_261:                              ;   in Loop: Header=BB2_144 Depth=3
	s_delay_alu instid0(SALU_CYCLE_1) | instskip(SKIP_3) | instid1(VALU_DEP_1)
	s_or_b32 exec_lo, exec_lo, s35
	v_lshrrev_b16 v8, 8, v10
	s_mov_b32 s13, 0
	s_mov_b32 s36, exec_lo
                                        ; implicit-def: $sgpr35
	v_cmpx_lt_i16_e32 0x7f, v8
	s_xor_b32 s36, exec_lo, s36
	s_cbranch_execnz .LBB2_571
; %bb.262:                              ;   in Loop: Header=BB2_144 Depth=3
	s_or_saveexec_b32 s36, s36
	v_mov_b32_e32 v9, s35
	s_xor_b32 exec_lo, exec_lo, s36
	s_cbranch_execnz .LBB2_574
.LBB2_263:                              ;   in Loop: Header=BB2_144 Depth=3
	s_or_b32 exec_lo, exec_lo, s36
	s_and_saveexec_b32 s35, s13
	s_cbranch_execz .LBB2_265
.LBB2_264:                              ;   in Loop: Header=BB2_144 Depth=3
	v_and_b32_e32 v9, 0xffff, v8
	s_delay_alu instid0(VALU_DEP_1) | instskip(NEXT) | instid1(VALU_DEP_1)
	v_and_b32_e32 v147, 3, v9
	v_clz_i32_u32_e32 v148, v147
	s_delay_alu instid0(VALU_DEP_1) | instskip(NEXT) | instid1(VALU_DEP_1)
	v_min_u32_e32 v148, 32, v148
	v_subrev_nc_u32_e32 v149, 29, v148
	v_sub_nc_u32_e32 v148, 30, v148
	s_delay_alu instid0(VALU_DEP_2) | instskip(SKIP_1) | instid1(VALU_DEP_2)
	v_lshlrev_b32_e32 v149, v149, v9
	v_bfe_u32 v9, v9, 2, 5
	v_and_b32_e32 v149, 3, v149
	s_delay_alu instid0(VALU_DEP_2) | instskip(NEXT) | instid1(VALU_DEP_2)
	v_cmp_eq_u32_e32 vcc_lo, 0, v9
	v_dual_cndmask_b32 v147, v147, v149 :: v_dual_lshlrev_b32 v8, 24, v8
	v_cndmask_b32_e32 v9, v9, v148, vcc_lo
	s_delay_alu instid0(VALU_DEP_2) | instskip(NEXT) | instid1(VALU_DEP_3)
	v_and_b32_e32 v8, 0x80000000, v8
	v_lshlrev_b32_e32 v147, 21, v147
	s_delay_alu instid0(VALU_DEP_3) | instskip(NEXT) | instid1(VALU_DEP_1)
	v_lshl_add_u32 v9, v9, 23, 0x37800000
	v_or3_b32 v9, v8, v9, v147
.LBB2_265:                              ;   in Loop: Header=BB2_144 Depth=3
	s_or_b32 exec_lo, exec_lo, s35
	s_delay_alu instid0(VALU_DEP_1) | instskip(SKIP_1) | instid1(VALU_DEP_1)
	v_dual_mul_f32 v8, s34, v9 :: v_dual_mov_b32 v147, 0x80
	s_mov_b32 s35, exec_lo
	v_and_b32_e32 v9, 0x7f800000, v8
	s_delay_alu instid0(VALU_DEP_1)
	v_cmpx_ne_u32_e32 0x7f800000, v9
	s_cbranch_execz .LBB2_273
; %bb.266:                              ;   in Loop: Header=BB2_144 Depth=3
	v_mov_b32_e32 v147, 0
	s_mov_b32 s36, exec_lo
	v_cmpx_ne_u32_e32 0, v8
	s_cbranch_execz .LBB2_272
; %bb.267:                              ;   in Loop: Header=BB2_144 Depth=3
	v_bfe_u32 v9, v8, 23, 8
	v_and_b32_e32 v147, 0x7fffff, v8
	s_delay_alu instid0(VALU_DEP_2) | instskip(SKIP_1) | instid1(VALU_DEP_3)
	v_sub_nc_u32_e32 v148, 0x70, v9
	v_cmp_gt_u32_e32 vcc_lo, 0x71, v9
	v_or_b32_e32 v149, 0x800000, v147
	s_delay_alu instid0(VALU_DEP_3) | instskip(SKIP_2) | instid1(VALU_DEP_4)
	v_cndmask_b32_e32 v148, 0, v148, vcc_lo
	v_cmp_eq_u32_e32 vcc_lo, 0, v9
	v_add_nc_u32_e32 v9, 0xffffff91, v9
	v_cndmask_b32_e32 v147, v149, v147, vcc_lo
	s_delay_alu instid0(VALU_DEP_4) | instskip(NEXT) | instid1(VALU_DEP_3)
	v_cndmask_b32_e64 v148, v148, 0x6f, vcc_lo
	v_cndmask_b32_e64 v9, v9, 0xffffff92, vcc_lo
	s_delay_alu instid0(VALU_DEP_2) | instskip(SKIP_2) | instid1(VALU_DEP_4)
	v_lshrrev_b32_e32 v150, v148, v147
	v_lshl_add_u32 v149, 0x200000, v148, -1
	v_lshlrev_b32_e64 v160, v148, 0x100000
	v_add_nc_u32_e32 v148, v148, v9
	s_delay_alu instid0(VALU_DEP_4) | instskip(NEXT) | instid1(VALU_DEP_4)
	v_bfe_u32 v151, v150, 21, 1
	v_and_b32_e32 v147, v149, v147
	s_delay_alu instid0(VALU_DEP_2) | instskip(NEXT) | instid1(VALU_DEP_2)
	v_add_nc_u32_e32 v149, -1, v151
	v_cmp_eq_u32_e64 s13, v147, v160
	s_delay_alu instid0(VALU_DEP_1) | instskip(SKIP_2) | instid1(VALU_DEP_2)
	v_cndmask_b32_e64 v147, 0, v149, s13
	v_lshrrev_b32_e32 v149, 23, v150
	s_mov_b32 s13, exec_lo
	v_add_nc_u32_e32 v147, v147, v150
	s_delay_alu instid0(VALU_DEP_2) | instskip(NEXT) | instid1(VALU_DEP_2)
	v_xor_b32_e32 v149, 1, v149
	v_and_b32_e32 v9, 0x1fffff, v147
	s_delay_alu instid0(VALU_DEP_1) | instskip(NEXT) | instid1(VALU_DEP_3)
	v_add_nc_u32_e32 v147, v9, v150
                                        ; implicit-def: $vgpr9
	v_cmpx_ne_u32_e64 v148, v149
	s_xor_b32 s13, exec_lo, s13
; %bb.268:                              ;   in Loop: Header=BB2_144 Depth=3
	s_delay_alu instid0(VALU_DEP_2) | instskip(SKIP_2) | instid1(VALU_DEP_2)
	v_cmp_lt_u32_e32 vcc_lo, 0xffffff, v147
	v_sub_nc_u32_e32 v9, v148, v149
	v_cndmask_b32_e64 v148, 0, 1, vcc_lo
	v_add_co_ci_u32_e32 v9, vcc_lo, 0, v9, vcc_lo
	s_delay_alu instid0(VALU_DEP_2)
	v_lshrrev_b32_e32 v147, v148, v147
; %bb.269:                              ;   in Loop: Header=BB2_144 Depth=3
	s_and_not1_saveexec_b32 s13, s13
; %bb.270:                              ;   in Loop: Header=BB2_144 Depth=3
	s_delay_alu instid0(VALU_DEP_1)
	v_bfe_u32 v9, v147, 23, 1
; %bb.271:                              ;   in Loop: Header=BB2_144 Depth=3
	s_or_b32 exec_lo, exec_lo, s13
	v_lshrrev_b32_e32 v147, 21, v147
	s_delay_alu instid0(VALU_DEP_2) | instskip(SKIP_2) | instid1(VALU_DEP_2)
	v_cmp_gt_i32_e32 vcc_lo, 32, v9
	v_lshrrev_b32_e32 v8, 24, v8
	v_min_i32_e32 v148, 31, v9
	v_dual_cndmask_b32 v147, 3, v147 :: v_dual_and_b32 v8, 0x80, v8
	s_delay_alu instid0(VALU_DEP_2) | instskip(NEXT) | instid1(VALU_DEP_2)
	v_lshlrev_b32_e32 v148, 2, v148
	v_and_b32_e32 v149, 3, v147
	v_or_b32_e32 v9, v9, v147
	s_delay_alu instid0(VALU_DEP_2) | instskip(NEXT) | instid1(VALU_DEP_2)
	v_or3_b32 v8, v148, v8, v149
	v_cmp_ne_u32_e32 vcc_lo, 0, v9
	s_delay_alu instid0(VALU_DEP_2)
	v_cndmask_b32_e32 v147, 0, v8, vcc_lo
.LBB2_272:                              ;   in Loop: Header=BB2_144 Depth=3
	s_or_b32 exec_lo, exec_lo, s36
.LBB2_273:                              ;   in Loop: Header=BB2_144 Depth=3
	s_delay_alu instid0(SALU_CYCLE_1) | instskip(SKIP_3) | instid1(VALU_DEP_1)
	s_or_b32 exec_lo, exec_lo, s35
	v_lshrrev_b32_e32 v8, 16, v10
	s_mov_b32 s13, 0
	s_mov_b32 s36, exec_lo
                                        ; implicit-def: $sgpr35
	v_and_b32_e32 v148, 0xff, v8
	s_delay_alu instid0(VALU_DEP_1)
	v_cmpx_lt_i16_e64 0x7f, v148
	s_xor_b32 s36, exec_lo, s36
	s_cbranch_execnz .LBB2_575
; %bb.274:                              ;   in Loop: Header=BB2_144 Depth=3
	s_or_saveexec_b32 s36, s36
	v_mov_b32_e32 v9, s35
	s_xor_b32 exec_lo, exec_lo, s36
	s_cbranch_execnz .LBB2_578
.LBB2_275:                              ;   in Loop: Header=BB2_144 Depth=3
	s_or_b32 exec_lo, exec_lo, s36
	s_and_saveexec_b32 s35, s13
	s_cbranch_execz .LBB2_277
.LBB2_276:                              ;   in Loop: Header=BB2_144 Depth=3
	v_bfe_u32 v9, v10, 16, 2
	v_lshlrev_b32_e32 v150, 8, v10
	s_delay_alu instid0(VALU_DEP_2) | instskip(NEXT) | instid1(VALU_DEP_1)
	v_clz_i32_u32_e32 v148, v9
	v_min_u32_e32 v148, 32, v148
	s_delay_alu instid0(VALU_DEP_1) | instskip(SKIP_1) | instid1(VALU_DEP_2)
	v_subrev_nc_u32_e32 v149, 29, v148
	v_sub_nc_u32_e32 v148, 30, v148
	v_lshlrev_b32_e32 v8, v149, v8
	v_bfe_u32 v149, v10, 18, 5
	s_delay_alu instid0(VALU_DEP_2) | instskip(NEXT) | instid1(VALU_DEP_2)
	v_and_b32_e32 v8, 3, v8
	v_cmp_eq_u32_e32 vcc_lo, 0, v149
	v_cndmask_b32_e32 v148, v149, v148, vcc_lo
	s_delay_alu instid0(VALU_DEP_3) | instskip(NEXT) | instid1(VALU_DEP_2)
	v_dual_cndmask_b32 v8, v9, v8 :: v_dual_and_b32 v9, 0x80000000, v150
	v_lshl_add_u32 v148, v148, 23, 0x37800000
	s_delay_alu instid0(VALU_DEP_2) | instskip(NEXT) | instid1(VALU_DEP_1)
	v_lshlrev_b32_e32 v8, 21, v8
	v_or3_b32 v9, v9, v148, v8
.LBB2_277:                              ;   in Loop: Header=BB2_144 Depth=3
	s_or_b32 exec_lo, exec_lo, s35
	s_delay_alu instid0(VALU_DEP_1) | instskip(SKIP_2) | instid1(VALU_DEP_2)
	v_mul_f32_e32 v8, s34, v9
	v_mov_b32_e32 v148, 0x80
	s_mov_b32 s35, exec_lo
	v_and_b32_e32 v9, 0x7f800000, v8
	s_delay_alu instid0(VALU_DEP_1)
	v_cmpx_ne_u32_e32 0x7f800000, v9
	s_cbranch_execz .LBB2_285
; %bb.278:                              ;   in Loop: Header=BB2_144 Depth=3
	v_mov_b32_e32 v148, 0
	s_mov_b32 s36, exec_lo
	v_cmpx_ne_u32_e32 0, v8
	s_cbranch_execz .LBB2_284
; %bb.279:                              ;   in Loop: Header=BB2_144 Depth=3
	v_bfe_u32 v9, v8, 23, 8
	s_delay_alu instid0(VALU_DEP_1) | instskip(SKIP_1) | instid1(VALU_DEP_2)
	v_sub_nc_u32_e32 v149, 0x70, v9
	v_cmp_gt_u32_e32 vcc_lo, 0x71, v9
	v_dual_cndmask_b32 v149, 0, v149 :: v_dual_and_b32 v148, 0x7fffff, v8
	s_delay_alu instid0(VALU_DEP_1) | instskip(SKIP_2) | instid1(VALU_DEP_4)
	v_or_b32_e32 v150, 0x800000, v148
	v_cmp_eq_u32_e32 vcc_lo, 0, v9
	v_add_nc_u32_e32 v9, 0xffffff91, v9
	v_cndmask_b32_e64 v149, v149, 0x6f, vcc_lo
	s_delay_alu instid0(VALU_DEP_4) | instskip(NEXT) | instid1(VALU_DEP_3)
	v_cndmask_b32_e32 v148, v150, v148, vcc_lo
	v_cndmask_b32_e64 v9, v9, 0xffffff92, vcc_lo
	s_delay_alu instid0(VALU_DEP_3) | instskip(NEXT) | instid1(VALU_DEP_3)
	v_lshl_add_u32 v150, 0x200000, v149, -1
	v_lshrrev_b32_e32 v151, v149, v148
	v_lshlrev_b32_e64 v161, v149, 0x100000
	s_delay_alu instid0(VALU_DEP_4) | instskip(NEXT) | instid1(VALU_DEP_4)
	v_add_nc_u32_e32 v149, v149, v9
	v_and_b32_e32 v148, v150, v148
	s_delay_alu instid0(VALU_DEP_4) | instskip(NEXT) | instid1(VALU_DEP_2)
	v_bfe_u32 v160, v151, 21, 1
	v_cmp_eq_u32_e64 s13, v148, v161
	s_delay_alu instid0(VALU_DEP_2) | instskip(NEXT) | instid1(VALU_DEP_1)
	v_add_nc_u32_e32 v150, -1, v160
	v_cndmask_b32_e64 v148, 0, v150, s13
	v_lshrrev_b32_e32 v150, 23, v151
	s_mov_b32 s13, exec_lo
	s_delay_alu instid0(VALU_DEP_2) | instskip(NEXT) | instid1(VALU_DEP_2)
	v_add_nc_u32_e32 v148, v148, v151
	v_xor_b32_e32 v150, 1, v150
	s_delay_alu instid0(VALU_DEP_2) | instskip(NEXT) | instid1(VALU_DEP_1)
	v_and_b32_e32 v9, 0x1fffff, v148
	v_add_nc_u32_e32 v148, v9, v151
                                        ; implicit-def: $vgpr9
	s_delay_alu instid0(VALU_DEP_3)
	v_cmpx_ne_u32_e64 v149, v150
	s_xor_b32 s13, exec_lo, s13
; %bb.280:                              ;   in Loop: Header=BB2_144 Depth=3
	s_delay_alu instid0(VALU_DEP_2) | instskip(SKIP_2) | instid1(VALU_DEP_2)
	v_cmp_lt_u32_e32 vcc_lo, 0xffffff, v148
	v_sub_nc_u32_e32 v9, v149, v150
	v_cndmask_b32_e64 v149, 0, 1, vcc_lo
	v_add_co_ci_u32_e32 v9, vcc_lo, 0, v9, vcc_lo
	s_delay_alu instid0(VALU_DEP_2)
	v_lshrrev_b32_e32 v148, v149, v148
; %bb.281:                              ;   in Loop: Header=BB2_144 Depth=3
	s_and_not1_saveexec_b32 s13, s13
; %bb.282:                              ;   in Loop: Header=BB2_144 Depth=3
	s_delay_alu instid0(VALU_DEP_1)
	v_bfe_u32 v9, v148, 23, 1
; %bb.283:                              ;   in Loop: Header=BB2_144 Depth=3
	s_or_b32 exec_lo, exec_lo, s13
	v_lshrrev_b32_e32 v148, 21, v148
	s_delay_alu instid0(VALU_DEP_2) | instskip(SKIP_2) | instid1(VALU_DEP_4)
	v_cmp_gt_i32_e32 vcc_lo, 32, v9
	v_lshrrev_b32_e32 v8, 24, v8
	v_min_i32_e32 v149, 31, v9
	v_cndmask_b32_e32 v148, 3, v148, vcc_lo
	s_delay_alu instid0(VALU_DEP_3) | instskip(NEXT) | instid1(VALU_DEP_3)
	v_and_b32_e32 v8, 0x80, v8
	v_lshlrev_b32_e32 v149, 2, v149
	s_delay_alu instid0(VALU_DEP_3) | instskip(SKIP_1) | instid1(VALU_DEP_2)
	v_and_b32_e32 v150, 3, v148
	v_or_b32_e32 v9, v9, v148
	v_or3_b32 v8, v149, v8, v150
	s_delay_alu instid0(VALU_DEP_2) | instskip(NEXT) | instid1(VALU_DEP_2)
	v_cmp_ne_u32_e32 vcc_lo, 0, v9
	v_cndmask_b32_e32 v148, 0, v8, vcc_lo
.LBB2_284:                              ;   in Loop: Header=BB2_144 Depth=3
	s_or_b32 exec_lo, exec_lo, s36
.LBB2_285:                              ;   in Loop: Header=BB2_144 Depth=3
	s_delay_alu instid0(SALU_CYCLE_1) | instskip(SKIP_3) | instid1(VALU_DEP_1)
	s_or_b32 exec_lo, exec_lo, s35
	v_lshrrev_b32_e32 v8, 24, v10
	s_mov_b32 s13, 0
	s_mov_b32 s36, exec_lo
                                        ; implicit-def: $sgpr35
	v_cmpx_lt_i16_e32 0x7f, v8
	s_xor_b32 s36, exec_lo, s36
	s_cbranch_execnz .LBB2_579
; %bb.286:                              ;   in Loop: Header=BB2_144 Depth=3
	s_or_saveexec_b32 s36, s36
	v_mov_b32_e32 v9, s35
	s_xor_b32 exec_lo, exec_lo, s36
	s_cbranch_execnz .LBB2_582
.LBB2_287:                              ;   in Loop: Header=BB2_144 Depth=3
	s_or_b32 exec_lo, exec_lo, s36
	s_and_saveexec_b32 s35, s13
	s_cbranch_execz .LBB2_289
.LBB2_288:                              ;   in Loop: Header=BB2_144 Depth=3
	v_bfe_u32 v9, v10, 24, 2
	s_delay_alu instid0(VALU_DEP_1) | instskip(NEXT) | instid1(VALU_DEP_1)
	v_clz_i32_u32_e32 v149, v9
	v_min_u32_e32 v149, 32, v149
	s_delay_alu instid0(VALU_DEP_1) | instskip(SKIP_1) | instid1(VALU_DEP_2)
	v_subrev_nc_u32_e32 v150, 29, v149
	v_sub_nc_u32_e32 v149, 30, v149
	v_lshlrev_b32_e32 v8, v150, v8
	v_bfe_u32 v150, v10, 26, 5
	s_delay_alu instid0(VALU_DEP_1) | instskip(NEXT) | instid1(VALU_DEP_3)
	v_cmp_eq_u32_e32 vcc_lo, 0, v150
	v_dual_cndmask_b32 v149, v150, v149 :: v_dual_and_b32 v8, 3, v8
	s_delay_alu instid0(VALU_DEP_1) | instskip(NEXT) | instid1(VALU_DEP_2)
	v_dual_cndmask_b32 v8, v9, v8 :: v_dual_and_b32 v9, 0x80000000, v10
	v_lshl_add_u32 v10, v149, 23, 0x37800000
	s_delay_alu instid0(VALU_DEP_2) | instskip(NEXT) | instid1(VALU_DEP_1)
	v_lshlrev_b32_e32 v8, 21, v8
	v_or3_b32 v9, v9, v10, v8
.LBB2_289:                              ;   in Loop: Header=BB2_144 Depth=3
	s_or_b32 exec_lo, exec_lo, s35
	s_delay_alu instid0(VALU_DEP_1) | instskip(SKIP_1) | instid1(VALU_DEP_1)
	v_dual_mul_f32 v8, s34, v9 :: v_dual_mov_b32 v149, 0x80
	s_mov_b32 s35, exec_lo
	v_and_b32_e32 v9, 0x7f800000, v8
	s_delay_alu instid0(VALU_DEP_1)
	v_cmpx_ne_u32_e32 0x7f800000, v9
	s_cbranch_execz .LBB2_297
; %bb.290:                              ;   in Loop: Header=BB2_144 Depth=3
	v_mov_b32_e32 v149, 0
	s_mov_b32 s36, exec_lo
	v_cmpx_ne_u32_e32 0, v8
	s_cbranch_execz .LBB2_296
; %bb.291:                              ;   in Loop: Header=BB2_144 Depth=3
	v_bfe_u32 v9, v8, 23, 8
	s_delay_alu instid0(VALU_DEP_1) | instskip(SKIP_1) | instid1(VALU_DEP_2)
	v_sub_nc_u32_e32 v149, 0x70, v9
	v_cmp_gt_u32_e32 vcc_lo, 0x71, v9
	v_dual_cndmask_b32 v149, 0, v149 :: v_dual_and_b32 v10, 0x7fffff, v8
	s_delay_alu instid0(VALU_DEP_1) | instskip(SKIP_2) | instid1(VALU_DEP_4)
	v_or_b32_e32 v150, 0x800000, v10
	v_cmp_eq_u32_e32 vcc_lo, 0, v9
	v_add_nc_u32_e32 v9, 0xffffff91, v9
	v_cndmask_b32_e64 v149, v149, 0x6f, vcc_lo
	s_delay_alu instid0(VALU_DEP_4) | instskip(NEXT) | instid1(VALU_DEP_3)
	v_cndmask_b32_e32 v10, v150, v10, vcc_lo
	v_cndmask_b32_e64 v9, v9, 0xffffff92, vcc_lo
	s_delay_alu instid0(VALU_DEP_3) | instskip(NEXT) | instid1(VALU_DEP_3)
	v_lshl_add_u32 v150, 0x200000, v149, -1
	v_lshrrev_b32_e32 v151, v149, v10
	v_lshlrev_b32_e64 v161, v149, 0x100000
	s_delay_alu instid0(VALU_DEP_4) | instskip(NEXT) | instid1(VALU_DEP_4)
	v_add_nc_u32_e32 v149, v149, v9
	v_and_b32_e32 v10, v150, v10
	s_delay_alu instid0(VALU_DEP_4) | instskip(NEXT) | instid1(VALU_DEP_2)
	v_bfe_u32 v160, v151, 21, 1
	v_cmp_eq_u32_e64 s13, v10, v161
	s_delay_alu instid0(VALU_DEP_2) | instskip(NEXT) | instid1(VALU_DEP_1)
	v_add_nc_u32_e32 v150, -1, v160
	v_cndmask_b32_e64 v10, 0, v150, s13
	v_lshrrev_b32_e32 v150, 23, v151
	s_mov_b32 s13, exec_lo
	s_delay_alu instid0(VALU_DEP_2) | instskip(NEXT) | instid1(VALU_DEP_2)
	v_add_nc_u32_e32 v10, v10, v151
	v_xor_b32_e32 v150, 1, v150
	s_delay_alu instid0(VALU_DEP_2) | instskip(NEXT) | instid1(VALU_DEP_1)
	v_and_b32_e32 v9, 0x1fffff, v10
	v_add_nc_u32_e32 v10, v9, v151
                                        ; implicit-def: $vgpr9
	s_delay_alu instid0(VALU_DEP_3)
	v_cmpx_ne_u32_e64 v149, v150
	s_xor_b32 s13, exec_lo, s13
; %bb.292:                              ;   in Loop: Header=BB2_144 Depth=3
	s_delay_alu instid0(VALU_DEP_2) | instskip(SKIP_2) | instid1(VALU_DEP_2)
	v_cmp_lt_u32_e32 vcc_lo, 0xffffff, v10
	v_sub_nc_u32_e32 v9, v149, v150
	v_cndmask_b32_e64 v149, 0, 1, vcc_lo
	v_add_co_ci_u32_e32 v9, vcc_lo, 0, v9, vcc_lo
	s_delay_alu instid0(VALU_DEP_2)
	v_lshrrev_b32_e32 v10, v149, v10
; %bb.293:                              ;   in Loop: Header=BB2_144 Depth=3
	s_and_not1_saveexec_b32 s13, s13
; %bb.294:                              ;   in Loop: Header=BB2_144 Depth=3
	s_delay_alu instid0(VALU_DEP_1)
	v_bfe_u32 v9, v10, 23, 1
; %bb.295:                              ;   in Loop: Header=BB2_144 Depth=3
	s_or_b32 exec_lo, exec_lo, s13
	v_lshrrev_b32_e32 v10, 21, v10
	s_delay_alu instid0(VALU_DEP_2) | instskip(SKIP_2) | instid1(VALU_DEP_2)
	v_cmp_gt_i32_e32 vcc_lo, 32, v9
	v_min_i32_e32 v149, 31, v9
	v_lshrrev_b32_e32 v8, 24, v8
	v_dual_cndmask_b32 v10, 3, v10 :: v_dual_lshlrev_b32 v149, 2, v149
	s_delay_alu instid0(VALU_DEP_2) | instskip(NEXT) | instid1(VALU_DEP_2)
	v_and_b32_e32 v8, 0x80, v8
	v_or_b32_e32 v9, v9, v10
	s_delay_alu instid0(VALU_DEP_1) | instskip(SKIP_1) | instid1(VALU_DEP_1)
	v_cmp_ne_u32_e32 vcc_lo, 0, v9
	v_and_b32_e32 v150, 3, v10
	v_or3_b32 v8, v149, v8, v150
	s_delay_alu instid0(VALU_DEP_1)
	v_cndmask_b32_e32 v149, 0, v8, vcc_lo
.LBB2_296:                              ;   in Loop: Header=BB2_144 Depth=3
	s_or_b32 exec_lo, exec_lo, s36
.LBB2_297:                              ;   in Loop: Header=BB2_144 Depth=3
	s_delay_alu instid0(SALU_CYCLE_1) | instskip(SKIP_3) | instid1(VALU_DEP_1)
	s_or_b32 exec_lo, exec_lo, s35
	v_and_b32_e32 v9, 0xff, v11
	s_mov_b32 s13, 0
	s_mov_b32 s36, exec_lo
                                        ; implicit-def: $sgpr35
	v_cmpx_lt_i16_e32 0x7f, v9
	s_xor_b32 s36, exec_lo, s36
	s_cbranch_execnz .LBB2_583
; %bb.298:                              ;   in Loop: Header=BB2_144 Depth=3
	s_or_saveexec_b32 s36, s36
	v_mov_b32_e32 v8, s35
	s_xor_b32 exec_lo, exec_lo, s36
	s_cbranch_execnz .LBB2_586
.LBB2_299:                              ;   in Loop: Header=BB2_144 Depth=3
	s_or_b32 exec_lo, exec_lo, s36
	s_and_saveexec_b32 s35, s13
	s_cbranch_execz .LBB2_301
.LBB2_300:                              ;   in Loop: Header=BB2_144 Depth=3
	v_bfe_u32 v150, v11, 2, 5
	s_delay_alu instid0(VALU_DEP_1) | instskip(SKIP_1) | instid1(VALU_DEP_1)
	v_cmp_eq_u32_e32 vcc_lo, 0, v150
	v_and_b32_e32 v8, 3, v11
	v_clz_i32_u32_e32 v9, v8
	s_delay_alu instid0(VALU_DEP_1) | instskip(NEXT) | instid1(VALU_DEP_1)
	v_min_u32_e32 v9, 32, v9
	v_subrev_nc_u32_e32 v10, 29, v9
	v_sub_nc_u32_e32 v9, 30, v9
	s_delay_alu instid0(VALU_DEP_2) | instskip(NEXT) | instid1(VALU_DEP_1)
	v_lshlrev_b32_e32 v10, v10, v11
	v_dual_cndmask_b32 v9, v150, v9 :: v_dual_and_b32 v10, 3, v10
	v_lshlrev_b32_e32 v151, 24, v11
	s_delay_alu instid0(VALU_DEP_2) | instskip(NEXT) | instid1(VALU_DEP_3)
	v_lshl_add_u32 v9, v9, 23, 0x37800000
	v_cndmask_b32_e32 v8, v8, v10, vcc_lo
	s_delay_alu instid0(VALU_DEP_3) | instskip(NEXT) | instid1(VALU_DEP_2)
	v_and_b32_e32 v10, 0x80000000, v151
	v_lshlrev_b32_e32 v8, 21, v8
	s_delay_alu instid0(VALU_DEP_1)
	v_or3_b32 v8, v10, v9, v8
.LBB2_301:                              ;   in Loop: Header=BB2_144 Depth=3
	s_or_b32 exec_lo, exec_lo, s35
	s_delay_alu instid0(VALU_DEP_1) | instskip(SKIP_2) | instid1(VALU_DEP_2)
	v_mul_f32_e32 v8, s34, v8
	v_mov_b32_e32 v150, 0x80
	s_mov_b32 s35, exec_lo
	v_and_b32_e32 v9, 0x7f800000, v8
	s_delay_alu instid0(VALU_DEP_1)
	v_cmpx_ne_u32_e32 0x7f800000, v9
	s_cbranch_execz .LBB2_309
; %bb.302:                              ;   in Loop: Header=BB2_144 Depth=3
	v_mov_b32_e32 v150, 0
	s_mov_b32 s36, exec_lo
	v_cmpx_ne_u32_e32 0, v8
	s_cbranch_execz .LBB2_308
; %bb.303:                              ;   in Loop: Header=BB2_144 Depth=3
	v_bfe_u32 v9, v8, 23, 8
	v_and_b32_e32 v10, 0x7fffff, v8
	s_delay_alu instid0(VALU_DEP_2) | instskip(SKIP_1) | instid1(VALU_DEP_3)
	v_sub_nc_u32_e32 v150, 0x70, v9
	v_cmp_gt_u32_e32 vcc_lo, 0x71, v9
	v_or_b32_e32 v151, 0x800000, v10
	s_delay_alu instid0(VALU_DEP_3) | instskip(SKIP_2) | instid1(VALU_DEP_3)
	v_cndmask_b32_e32 v150, 0, v150, vcc_lo
	v_cmp_eq_u32_e32 vcc_lo, 0, v9
	v_add_nc_u32_e32 v9, 0xffffff91, v9
	v_cndmask_b32_e64 v150, v150, 0x6f, vcc_lo
	v_cndmask_b32_e32 v10, v151, v10, vcc_lo
	s_delay_alu instid0(VALU_DEP_3) | instskip(NEXT) | instid1(VALU_DEP_3)
	v_cndmask_b32_e64 v9, v9, 0xffffff92, vcc_lo
	v_lshl_add_u32 v151, 0x200000, v150, -1
	s_delay_alu instid0(VALU_DEP_3) | instskip(SKIP_1) | instid1(VALU_DEP_4)
	v_lshrrev_b32_e32 v160, v150, v10
	v_lshlrev_b32_e64 v162, v150, 0x100000
	v_add_nc_u32_e32 v150, v150, v9
	s_delay_alu instid0(VALU_DEP_4) | instskip(NEXT) | instid1(VALU_DEP_4)
	v_and_b32_e32 v10, v151, v10
	v_bfe_u32 v161, v160, 21, 1
	s_delay_alu instid0(VALU_DEP_2) | instskip(NEXT) | instid1(VALU_DEP_2)
	v_cmp_eq_u32_e64 s13, v10, v162
	v_add_nc_u32_e32 v151, -1, v161
	s_delay_alu instid0(VALU_DEP_1) | instskip(SKIP_2) | instid1(VALU_DEP_2)
	v_cndmask_b32_e64 v10, 0, v151, s13
	v_lshrrev_b32_e32 v151, 23, v160
	s_mov_b32 s13, exec_lo
	v_add_nc_u32_e32 v10, v10, v160
	s_delay_alu instid0(VALU_DEP_2) | instskip(NEXT) | instid1(VALU_DEP_2)
	v_xor_b32_e32 v151, 1, v151
	v_and_b32_e32 v9, 0x1fffff, v10
	s_delay_alu instid0(VALU_DEP_1) | instskip(NEXT) | instid1(VALU_DEP_3)
	v_add_nc_u32_e32 v10, v9, v160
                                        ; implicit-def: $vgpr9
	v_cmpx_ne_u32_e64 v150, v151
	s_xor_b32 s13, exec_lo, s13
; %bb.304:                              ;   in Loop: Header=BB2_144 Depth=3
	s_delay_alu instid0(VALU_DEP_2) | instskip(SKIP_2) | instid1(VALU_DEP_2)
	v_cmp_lt_u32_e32 vcc_lo, 0xffffff, v10
	v_sub_nc_u32_e32 v9, v150, v151
	v_cndmask_b32_e64 v150, 0, 1, vcc_lo
	v_add_co_ci_u32_e32 v9, vcc_lo, 0, v9, vcc_lo
	s_delay_alu instid0(VALU_DEP_2)
	v_lshrrev_b32_e32 v10, v150, v10
; %bb.305:                              ;   in Loop: Header=BB2_144 Depth=3
	s_and_not1_saveexec_b32 s13, s13
; %bb.306:                              ;   in Loop: Header=BB2_144 Depth=3
	s_delay_alu instid0(VALU_DEP_1)
	v_bfe_u32 v9, v10, 23, 1
; %bb.307:                              ;   in Loop: Header=BB2_144 Depth=3
	s_or_b32 exec_lo, exec_lo, s13
	v_lshrrev_b32_e32 v10, 21, v10
	s_delay_alu instid0(VALU_DEP_2) | instskip(SKIP_2) | instid1(VALU_DEP_4)
	v_cmp_gt_i32_e32 vcc_lo, 32, v9
	v_min_i32_e32 v150, 31, v9
	v_lshrrev_b32_e32 v8, 24, v8
	v_cndmask_b32_e32 v10, 3, v10, vcc_lo
	s_delay_alu instid0(VALU_DEP_3) | instskip(NEXT) | instid1(VALU_DEP_3)
	v_lshlrev_b32_e32 v150, 2, v150
	v_and_b32_e32 v8, 0x80, v8
	s_delay_alu instid0(VALU_DEP_3) | instskip(NEXT) | instid1(VALU_DEP_3)
	v_or_b32_e32 v9, v9, v10
	v_and_b32_e32 v150, 0xfc, v150
	s_delay_alu instid0(VALU_DEP_2) | instskip(SKIP_1) | instid1(VALU_DEP_1)
	v_cmp_ne_u32_e32 vcc_lo, 0, v9
	v_and_b32_e32 v151, 3, v10
	v_or3_b32 v8, v150, v8, v151
	s_delay_alu instid0(VALU_DEP_1)
	v_cndmask_b32_e32 v150, 0, v8, vcc_lo
.LBB2_308:                              ;   in Loop: Header=BB2_144 Depth=3
	s_or_b32 exec_lo, exec_lo, s36
.LBB2_309:                              ;   in Loop: Header=BB2_144 Depth=3
	s_delay_alu instid0(SALU_CYCLE_1) | instskip(SKIP_3) | instid1(VALU_DEP_1)
	s_or_b32 exec_lo, exec_lo, s35
	v_lshrrev_b16 v8, 8, v11
	s_mov_b32 s13, 0
	s_mov_b32 s36, exec_lo
                                        ; implicit-def: $sgpr35
	v_cmpx_lt_i16_e32 0x7f, v8
	s_xor_b32 s36, exec_lo, s36
	s_cbranch_execnz .LBB2_587
; %bb.310:                              ;   in Loop: Header=BB2_144 Depth=3
	s_or_saveexec_b32 s36, s36
	v_mov_b32_e32 v9, s35
	s_xor_b32 exec_lo, exec_lo, s36
	s_cbranch_execnz .LBB2_590
.LBB2_311:                              ;   in Loop: Header=BB2_144 Depth=3
	s_or_b32 exec_lo, exec_lo, s36
	s_and_saveexec_b32 s35, s13
	s_cbranch_execz .LBB2_313
.LBB2_312:                              ;   in Loop: Header=BB2_144 Depth=3
	v_and_b32_e32 v9, 0xffff, v8
	v_lshlrev_b32_e32 v8, 24, v8
	s_delay_alu instid0(VALU_DEP_2) | instskip(NEXT) | instid1(VALU_DEP_2)
	v_and_b32_e32 v10, 3, v9
	v_and_b32_e32 v8, 0x80000000, v8
	s_delay_alu instid0(VALU_DEP_2) | instskip(NEXT) | instid1(VALU_DEP_1)
	v_clz_i32_u32_e32 v151, v10
	v_min_u32_e32 v151, 32, v151
	s_delay_alu instid0(VALU_DEP_1) | instskip(SKIP_1) | instid1(VALU_DEP_2)
	v_subrev_nc_u32_e32 v160, 29, v151
	v_sub_nc_u32_e32 v151, 30, v151
	v_lshlrev_b32_e32 v160, v160, v9
	v_bfe_u32 v9, v9, 2, 5
	s_delay_alu instid0(VALU_DEP_2) | instskip(NEXT) | instid1(VALU_DEP_2)
	v_and_b32_e32 v160, 3, v160
	v_cmp_eq_u32_e32 vcc_lo, 0, v9
	s_delay_alu instid0(VALU_DEP_2) | instskip(NEXT) | instid1(VALU_DEP_1)
	v_dual_cndmask_b32 v9, v9, v151 :: v_dual_cndmask_b32 v10, v10, v160
	v_lshl_add_u32 v9, v9, 23, 0x37800000
	s_delay_alu instid0(VALU_DEP_2) | instskip(NEXT) | instid1(VALU_DEP_1)
	v_lshlrev_b32_e32 v10, 21, v10
	v_or3_b32 v9, v8, v9, v10
.LBB2_313:                              ;   in Loop: Header=BB2_144 Depth=3
	s_or_b32 exec_lo, exec_lo, s35
	s_delay_alu instid0(VALU_DEP_1) | instskip(SKIP_1) | instid1(VALU_DEP_1)
	v_dual_mul_f32 v8, s34, v9 :: v_dual_mov_b32 v151, 0x8000
	s_mov_b32 s35, exec_lo
	v_and_b32_e32 v9, 0x7f800000, v8
	s_delay_alu instid0(VALU_DEP_1)
	v_cmpx_ne_u32_e32 0x7f800000, v9
	s_cbranch_execz .LBB2_321
; %bb.314:                              ;   in Loop: Header=BB2_144 Depth=3
	v_mov_b32_e32 v151, 0
	s_mov_b32 s36, exec_lo
	v_cmpx_ne_u32_e32 0, v8
	s_cbranch_execz .LBB2_320
; %bb.315:                              ;   in Loop: Header=BB2_144 Depth=3
	v_bfe_u32 v9, v8, 23, 8
	s_delay_alu instid0(VALU_DEP_1) | instskip(SKIP_1) | instid1(VALU_DEP_2)
	v_sub_nc_u32_e32 v151, 0x70, v9
	v_cmp_gt_u32_e32 vcc_lo, 0x71, v9
	v_dual_cndmask_b32 v151, 0, v151 :: v_dual_and_b32 v10, 0x7fffff, v8
	s_delay_alu instid0(VALU_DEP_1) | instskip(SKIP_2) | instid1(VALU_DEP_4)
	v_or_b32_e32 v160, 0x800000, v10
	v_cmp_eq_u32_e32 vcc_lo, 0, v9
	v_add_nc_u32_e32 v9, 0xffffff91, v9
	v_cndmask_b32_e64 v151, v151, 0x6f, vcc_lo
	s_delay_alu instid0(VALU_DEP_4) | instskip(NEXT) | instid1(VALU_DEP_3)
	v_cndmask_b32_e32 v10, v160, v10, vcc_lo
	v_cndmask_b32_e64 v9, v9, 0xffffff92, vcc_lo
	s_delay_alu instid0(VALU_DEP_3) | instskip(NEXT) | instid1(VALU_DEP_3)
	v_lshl_add_u32 v160, 0x200000, v151, -1
	v_lshrrev_b32_e32 v161, v151, v10
	v_lshlrev_b32_e64 v163, v151, 0x100000
	s_delay_alu instid0(VALU_DEP_4) | instskip(NEXT) | instid1(VALU_DEP_4)
	v_add_nc_u32_e32 v151, v151, v9
	v_and_b32_e32 v10, v160, v10
	s_delay_alu instid0(VALU_DEP_4) | instskip(NEXT) | instid1(VALU_DEP_2)
	v_bfe_u32 v162, v161, 21, 1
	v_cmp_eq_u32_e64 s13, v10, v163
	s_delay_alu instid0(VALU_DEP_2) | instskip(NEXT) | instid1(VALU_DEP_1)
	v_add_nc_u32_e32 v160, -1, v162
	v_cndmask_b32_e64 v10, 0, v160, s13
	v_lshrrev_b32_e32 v160, 23, v161
	s_mov_b32 s13, exec_lo
	s_delay_alu instid0(VALU_DEP_2) | instskip(NEXT) | instid1(VALU_DEP_2)
	v_add_nc_u32_e32 v10, v10, v161
	v_xor_b32_e32 v160, 1, v160
	s_delay_alu instid0(VALU_DEP_2) | instskip(NEXT) | instid1(VALU_DEP_1)
	v_and_b32_e32 v9, 0x1fffff, v10
	v_add_nc_u32_e32 v10, v9, v161
                                        ; implicit-def: $vgpr9
	s_delay_alu instid0(VALU_DEP_3)
	v_cmpx_ne_u32_e64 v151, v160
	s_xor_b32 s13, exec_lo, s13
; %bb.316:                              ;   in Loop: Header=BB2_144 Depth=3
	s_delay_alu instid0(VALU_DEP_2) | instskip(SKIP_2) | instid1(VALU_DEP_2)
	v_cmp_lt_u32_e32 vcc_lo, 0xffffff, v10
	v_sub_nc_u32_e32 v9, v151, v160
	v_cndmask_b32_e64 v151, 0, 1, vcc_lo
	v_add_co_ci_u32_e32 v9, vcc_lo, 0, v9, vcc_lo
	s_delay_alu instid0(VALU_DEP_2)
	v_lshrrev_b32_e32 v10, v151, v10
; %bb.317:                              ;   in Loop: Header=BB2_144 Depth=3
	s_and_not1_saveexec_b32 s13, s13
; %bb.318:                              ;   in Loop: Header=BB2_144 Depth=3
	s_delay_alu instid0(VALU_DEP_1)
	v_bfe_u32 v9, v10, 23, 1
; %bb.319:                              ;   in Loop: Header=BB2_144 Depth=3
	s_or_b32 exec_lo, exec_lo, s13
	v_lshrrev_b32_e32 v10, 21, v10
	s_delay_alu instid0(VALU_DEP_2) | instskip(SKIP_2) | instid1(VALU_DEP_2)
	v_cmp_gt_i32_e32 vcc_lo, 32, v9
	v_min_i32_e32 v151, 31, v9
	v_lshrrev_b32_e32 v8, 24, v8
	v_dual_cndmask_b32 v10, 3, v10 :: v_dual_lshlrev_b32 v151, 2, v151
	s_delay_alu instid0(VALU_DEP_2) | instskip(NEXT) | instid1(VALU_DEP_2)
	v_and_b32_e32 v8, 0x80, v8
	v_or_b32_e32 v9, v9, v10
	s_delay_alu instid0(VALU_DEP_3) | instskip(NEXT) | instid1(VALU_DEP_2)
	v_and_b32_e32 v151, 0xfc, v151
	v_cmp_ne_u32_e32 vcc_lo, 0, v9
	v_and_b32_e32 v160, 3, v10
	s_delay_alu instid0(VALU_DEP_1) | instskip(NEXT) | instid1(VALU_DEP_1)
	v_or3_b32 v8, v8, v151, v160
	v_lshlrev_b32_e32 v8, 8, v8
	s_delay_alu instid0(VALU_DEP_1)
	v_cndmask_b32_e32 v151, 0, v8, vcc_lo
.LBB2_320:                              ;   in Loop: Header=BB2_144 Depth=3
	s_or_b32 exec_lo, exec_lo, s36
.LBB2_321:                              ;   in Loop: Header=BB2_144 Depth=3
	s_delay_alu instid0(SALU_CYCLE_1) | instskip(SKIP_3) | instid1(VALU_DEP_1)
	s_or_b32 exec_lo, exec_lo, s35
	v_lshrrev_b32_e32 v8, 16, v11
	s_mov_b32 s13, 0
	s_mov_b32 s36, exec_lo
                                        ; implicit-def: $sgpr35
	v_and_b32_e32 v10, 0xff, v8
	s_delay_alu instid0(VALU_DEP_1)
	v_cmpx_lt_i16_e32 0x7f, v10
	s_xor_b32 s36, exec_lo, s36
	s_cbranch_execnz .LBB2_591
; %bb.322:                              ;   in Loop: Header=BB2_144 Depth=3
	s_or_saveexec_b32 s36, s36
	v_mov_b32_e32 v9, s35
	s_xor_b32 exec_lo, exec_lo, s36
	s_cbranch_execnz .LBB2_594
.LBB2_323:                              ;   in Loop: Header=BB2_144 Depth=3
	s_or_b32 exec_lo, exec_lo, s36
	s_and_saveexec_b32 s35, s13
	s_cbranch_execz .LBB2_325
.LBB2_324:                              ;   in Loop: Header=BB2_144 Depth=3
	v_bfe_u32 v9, v11, 16, 2
	s_delay_alu instid0(VALU_DEP_1) | instskip(NEXT) | instid1(VALU_DEP_1)
	v_clz_i32_u32_e32 v10, v9
	v_min_u32_e32 v10, 32, v10
	s_delay_alu instid0(VALU_DEP_1) | instskip(SKIP_1) | instid1(VALU_DEP_2)
	v_subrev_nc_u32_e32 v160, 29, v10
	v_sub_nc_u32_e32 v10, 30, v10
	v_lshlrev_b32_e32 v8, v160, v8
	v_bfe_u32 v160, v11, 18, 5
	s_delay_alu instid0(VALU_DEP_2) | instskip(NEXT) | instid1(VALU_DEP_2)
	v_and_b32_e32 v8, 3, v8
	v_cmp_eq_u32_e32 vcc_lo, 0, v160
	v_dual_cndmask_b32 v10, v160, v10 :: v_dual_lshlrev_b32 v161, 8, v11
	s_delay_alu instid0(VALU_DEP_1) | instskip(NEXT) | instid1(VALU_DEP_2)
	v_dual_cndmask_b32 v8, v9, v8 :: v_dual_and_b32 v9, 0x80000000, v161
	v_lshl_add_u32 v10, v10, 23, 0x37800000
	s_delay_alu instid0(VALU_DEP_2) | instskip(NEXT) | instid1(VALU_DEP_1)
	v_lshlrev_b32_e32 v8, 21, v8
	v_or3_b32 v9, v9, v10, v8
.LBB2_325:                              ;   in Loop: Header=BB2_144 Depth=3
	s_or_b32 exec_lo, exec_lo, s35
	s_delay_alu instid0(VALU_DEP_1) | instskip(SKIP_2) | instid1(VALU_DEP_2)
	v_mul_f32_e32 v8, s34, v9
	v_mov_b32_e32 v160, 0x80
	s_mov_b32 s35, exec_lo
	v_and_b32_e32 v9, 0x7f800000, v8
	s_delay_alu instid0(VALU_DEP_1)
	v_cmpx_ne_u32_e32 0x7f800000, v9
	s_cbranch_execz .LBB2_333
; %bb.326:                              ;   in Loop: Header=BB2_144 Depth=3
	v_mov_b32_e32 v160, 0
	s_mov_b32 s36, exec_lo
	v_cmpx_ne_u32_e32 0, v8
	s_cbranch_execz .LBB2_332
; %bb.327:                              ;   in Loop: Header=BB2_144 Depth=3
	v_bfe_u32 v9, v8, 23, 8
	v_and_b32_e32 v10, 0x7fffff, v8
	s_delay_alu instid0(VALU_DEP_2) | instskip(SKIP_1) | instid1(VALU_DEP_3)
	v_sub_nc_u32_e32 v160, 0x70, v9
	v_cmp_gt_u32_e32 vcc_lo, 0x71, v9
	v_or_b32_e32 v161, 0x800000, v10
	s_delay_alu instid0(VALU_DEP_3) | instskip(SKIP_2) | instid1(VALU_DEP_3)
	v_cndmask_b32_e32 v160, 0, v160, vcc_lo
	v_cmp_eq_u32_e32 vcc_lo, 0, v9
	v_add_nc_u32_e32 v9, 0xffffff91, v9
	v_cndmask_b32_e64 v160, v160, 0x6f, vcc_lo
	v_cndmask_b32_e32 v10, v161, v10, vcc_lo
	s_delay_alu instid0(VALU_DEP_3) | instskip(NEXT) | instid1(VALU_DEP_3)
	v_cndmask_b32_e64 v9, v9, 0xffffff92, vcc_lo
	v_lshl_add_u32 v161, 0x200000, v160, -1
	s_delay_alu instid0(VALU_DEP_3) | instskip(SKIP_1) | instid1(VALU_DEP_4)
	v_lshrrev_b32_e32 v162, v160, v10
	v_lshlrev_b32_e64 v164, v160, 0x100000
	v_add_nc_u32_e32 v160, v160, v9
	s_delay_alu instid0(VALU_DEP_4) | instskip(NEXT) | instid1(VALU_DEP_4)
	v_and_b32_e32 v10, v161, v10
	v_bfe_u32 v163, v162, 21, 1
	s_delay_alu instid0(VALU_DEP_2) | instskip(NEXT) | instid1(VALU_DEP_2)
	v_cmp_eq_u32_e64 s13, v10, v164
	v_add_nc_u32_e32 v161, -1, v163
	s_delay_alu instid0(VALU_DEP_1) | instskip(SKIP_2) | instid1(VALU_DEP_2)
	v_cndmask_b32_e64 v10, 0, v161, s13
	v_lshrrev_b32_e32 v161, 23, v162
	s_mov_b32 s13, exec_lo
	v_add_nc_u32_e32 v10, v10, v162
	s_delay_alu instid0(VALU_DEP_2) | instskip(NEXT) | instid1(VALU_DEP_2)
	v_xor_b32_e32 v161, 1, v161
	v_and_b32_e32 v9, 0x1fffff, v10
	s_delay_alu instid0(VALU_DEP_1) | instskip(NEXT) | instid1(VALU_DEP_3)
	v_add_nc_u32_e32 v10, v9, v162
                                        ; implicit-def: $vgpr9
	v_cmpx_ne_u32_e64 v160, v161
	s_xor_b32 s13, exec_lo, s13
; %bb.328:                              ;   in Loop: Header=BB2_144 Depth=3
	s_delay_alu instid0(VALU_DEP_2) | instskip(SKIP_2) | instid1(VALU_DEP_2)
	v_cmp_lt_u32_e32 vcc_lo, 0xffffff, v10
	v_sub_nc_u32_e32 v9, v160, v161
	v_cndmask_b32_e64 v160, 0, 1, vcc_lo
	v_add_co_ci_u32_e32 v9, vcc_lo, 0, v9, vcc_lo
	s_delay_alu instid0(VALU_DEP_2)
	v_lshrrev_b32_e32 v10, v160, v10
; %bb.329:                              ;   in Loop: Header=BB2_144 Depth=3
	s_and_not1_saveexec_b32 s13, s13
; %bb.330:                              ;   in Loop: Header=BB2_144 Depth=3
	s_delay_alu instid0(VALU_DEP_1)
	v_bfe_u32 v9, v10, 23, 1
; %bb.331:                              ;   in Loop: Header=BB2_144 Depth=3
	s_or_b32 exec_lo, exec_lo, s13
	v_lshrrev_b32_e32 v10, 21, v10
	s_delay_alu instid0(VALU_DEP_2) | instskip(SKIP_2) | instid1(VALU_DEP_4)
	v_cmp_gt_i32_e32 vcc_lo, 32, v9
	v_min_i32_e32 v160, 31, v9
	v_lshrrev_b32_e32 v8, 24, v8
	v_cndmask_b32_e32 v10, 3, v10, vcc_lo
	s_delay_alu instid0(VALU_DEP_3) | instskip(NEXT) | instid1(VALU_DEP_3)
	v_lshlrev_b32_e32 v160, 2, v160
	v_and_b32_e32 v8, 0x80, v8
	s_delay_alu instid0(VALU_DEP_3) | instskip(NEXT) | instid1(VALU_DEP_3)
	v_or_b32_e32 v9, v9, v10
	v_and_b32_e32 v160, 0xfc, v160
	s_delay_alu instid0(VALU_DEP_2) | instskip(SKIP_1) | instid1(VALU_DEP_1)
	v_cmp_ne_u32_e32 vcc_lo, 0, v9
	v_and_b32_e32 v161, 3, v10
	v_or3_b32 v8, v160, v8, v161
	s_delay_alu instid0(VALU_DEP_1)
	v_cndmask_b32_e32 v160, 0, v8, vcc_lo
.LBB2_332:                              ;   in Loop: Header=BB2_144 Depth=3
	s_or_b32 exec_lo, exec_lo, s36
.LBB2_333:                              ;   in Loop: Header=BB2_144 Depth=3
	s_delay_alu instid0(SALU_CYCLE_1) | instskip(SKIP_3) | instid1(VALU_DEP_1)
	s_or_b32 exec_lo, exec_lo, s35
	v_lshrrev_b32_e32 v8, 24, v11
	s_mov_b32 s13, 0
	s_mov_b32 s36, exec_lo
                                        ; implicit-def: $sgpr35
	v_cmpx_lt_i16_e32 0x7f, v8
	s_xor_b32 s36, exec_lo, s36
	s_cbranch_execnz .LBB2_595
; %bb.334:                              ;   in Loop: Header=BB2_144 Depth=3
	s_or_saveexec_b32 s36, s36
	v_mov_b32_e32 v9, s35
	s_xor_b32 exec_lo, exec_lo, s36
	s_cbranch_execnz .LBB2_598
.LBB2_335:                              ;   in Loop: Header=BB2_144 Depth=3
	s_or_b32 exec_lo, exec_lo, s36
	s_and_saveexec_b32 s35, s13
	s_cbranch_execz .LBB2_337
.LBB2_336:                              ;   in Loop: Header=BB2_144 Depth=3
	v_bfe_u32 v9, v11, 24, 2
	s_delay_alu instid0(VALU_DEP_1) | instskip(NEXT) | instid1(VALU_DEP_1)
	v_clz_i32_u32_e32 v10, v9
	v_min_u32_e32 v10, 32, v10
	s_delay_alu instid0(VALU_DEP_1) | instskip(SKIP_1) | instid1(VALU_DEP_2)
	v_subrev_nc_u32_e32 v161, 29, v10
	v_sub_nc_u32_e32 v10, 30, v10
	v_lshlrev_b32_e32 v8, v161, v8
	v_bfe_u32 v161, v11, 26, 5
	s_delay_alu instid0(VALU_DEP_2) | instskip(NEXT) | instid1(VALU_DEP_2)
	v_and_b32_e32 v8, 3, v8
	v_cmp_eq_u32_e32 vcc_lo, 0, v161
	v_cndmask_b32_e32 v10, v161, v10, vcc_lo
	s_delay_alu instid0(VALU_DEP_3) | instskip(NEXT) | instid1(VALU_DEP_2)
	v_dual_cndmask_b32 v8, v9, v8 :: v_dual_and_b32 v9, 0x80000000, v11
	v_lshl_add_u32 v10, v10, 23, 0x37800000
	s_delay_alu instid0(VALU_DEP_2) | instskip(NEXT) | instid1(VALU_DEP_1)
	v_lshlrev_b32_e32 v8, 21, v8
	v_or3_b32 v9, v9, v10, v8
.LBB2_337:                              ;   in Loop: Header=BB2_144 Depth=3
	s_or_b32 exec_lo, exec_lo, s35
	s_delay_alu instid0(VALU_DEP_1) | instskip(SKIP_1) | instid1(VALU_DEP_1)
	v_dual_mul_f32 v8, s34, v9 :: v_dual_mov_b32 v161, 0x8000
	s_mov_b32 s35, exec_lo
	v_and_b32_e32 v9, 0x7f800000, v8
	s_delay_alu instid0(VALU_DEP_1)
	v_cmpx_ne_u32_e32 0x7f800000, v9
	s_cbranch_execz .LBB2_345
; %bb.338:                              ;   in Loop: Header=BB2_144 Depth=3
	v_mov_b32_e32 v161, 0
	s_mov_b32 s36, exec_lo
	v_cmpx_ne_u32_e32 0, v8
	s_cbranch_execz .LBB2_344
; %bb.339:                              ;   in Loop: Header=BB2_144 Depth=3
	v_bfe_u32 v9, v8, 23, 8
	s_delay_alu instid0(VALU_DEP_1) | instskip(SKIP_1) | instid1(VALU_DEP_2)
	v_sub_nc_u32_e32 v11, 0x70, v9
	v_cmp_gt_u32_e32 vcc_lo, 0x71, v9
	v_dual_cndmask_b32 v11, 0, v11 :: v_dual_and_b32 v10, 0x7fffff, v8
	s_delay_alu instid0(VALU_DEP_1) | instskip(SKIP_2) | instid1(VALU_DEP_4)
	v_or_b32_e32 v161, 0x800000, v10
	v_cmp_eq_u32_e32 vcc_lo, 0, v9
	v_add_nc_u32_e32 v9, 0xffffff91, v9
	v_cndmask_b32_e64 v11, v11, 0x6f, vcc_lo
	s_delay_alu instid0(VALU_DEP_4) | instskip(NEXT) | instid1(VALU_DEP_3)
	v_cndmask_b32_e32 v10, v161, v10, vcc_lo
	v_cndmask_b32_e64 v9, v9, 0xffffff92, vcc_lo
	s_delay_alu instid0(VALU_DEP_3) | instskip(NEXT) | instid1(VALU_DEP_3)
	v_lshl_add_u32 v161, 0x200000, v11, -1
	v_lshrrev_b32_e32 v162, v11, v10
	v_lshlrev_b32_e64 v164, v11, 0x100000
	s_delay_alu instid0(VALU_DEP_4) | instskip(NEXT) | instid1(VALU_DEP_4)
	v_add_nc_u32_e32 v11, v11, v9
	v_and_b32_e32 v10, v161, v10
	s_delay_alu instid0(VALU_DEP_4) | instskip(NEXT) | instid1(VALU_DEP_2)
	v_bfe_u32 v163, v162, 21, 1
	v_cmp_eq_u32_e64 s13, v10, v164
	s_delay_alu instid0(VALU_DEP_2) | instskip(NEXT) | instid1(VALU_DEP_1)
	v_add_nc_u32_e32 v161, -1, v163
	v_cndmask_b32_e64 v10, 0, v161, s13
	v_lshrrev_b32_e32 v161, 23, v162
	s_mov_b32 s13, exec_lo
	s_delay_alu instid0(VALU_DEP_2) | instskip(NEXT) | instid1(VALU_DEP_2)
	v_add_nc_u32_e32 v10, v10, v162
	v_xor_b32_e32 v161, 1, v161
	s_delay_alu instid0(VALU_DEP_2) | instskip(NEXT) | instid1(VALU_DEP_1)
	v_and_b32_e32 v9, 0x1fffff, v10
	v_add_nc_u32_e32 v10, v9, v162
                                        ; implicit-def: $vgpr9
	s_delay_alu instid0(VALU_DEP_3)
	v_cmpx_ne_u32_e64 v11, v161
	s_xor_b32 s13, exec_lo, s13
; %bb.340:                              ;   in Loop: Header=BB2_144 Depth=3
	s_delay_alu instid0(VALU_DEP_2) | instskip(SKIP_2) | instid1(VALU_DEP_2)
	v_cmp_lt_u32_e32 vcc_lo, 0xffffff, v10
	v_sub_nc_u32_e32 v9, v11, v161
	v_cndmask_b32_e64 v11, 0, 1, vcc_lo
	v_add_co_ci_u32_e32 v9, vcc_lo, 0, v9, vcc_lo
	s_delay_alu instid0(VALU_DEP_2)
	v_lshrrev_b32_e32 v10, v11, v10
; %bb.341:                              ;   in Loop: Header=BB2_144 Depth=3
	s_and_not1_saveexec_b32 s13, s13
; %bb.342:                              ;   in Loop: Header=BB2_144 Depth=3
	s_delay_alu instid0(VALU_DEP_1)
	v_bfe_u32 v9, v10, 23, 1
; %bb.343:                              ;   in Loop: Header=BB2_144 Depth=3
	s_or_b32 exec_lo, exec_lo, s13
	v_lshrrev_b32_e32 v10, 21, v10
	s_delay_alu instid0(VALU_DEP_2) | instskip(SKIP_2) | instid1(VALU_DEP_3)
	v_min_i32_e32 v11, 31, v9
	v_cmp_gt_i32_e32 vcc_lo, 32, v9
	v_lshrrev_b32_e32 v8, 24, v8
	v_dual_cndmask_b32 v10, 3, v10 :: v_dual_lshlrev_b32 v11, 2, v11
	s_delay_alu instid0(VALU_DEP_2) | instskip(NEXT) | instid1(VALU_DEP_2)
	v_and_b32_e32 v8, 0x80, v8
	v_and_b32_e32 v11, 0xfc, v11
	s_delay_alu instid0(VALU_DEP_3) | instskip(SKIP_1) | instid1(VALU_DEP_2)
	v_and_b32_e32 v161, 3, v10
	v_or_b32_e32 v9, v9, v10
	v_or3_b32 v8, v8, v11, v161
	s_delay_alu instid0(VALU_DEP_2) | instskip(NEXT) | instid1(VALU_DEP_2)
	v_cmp_ne_u32_e32 vcc_lo, 0, v9
	v_lshlrev_b32_e32 v8, 8, v8
	s_delay_alu instid0(VALU_DEP_1)
	v_cndmask_b32_e32 v161, 0, v8, vcc_lo
.LBB2_344:                              ;   in Loop: Header=BB2_144 Depth=3
	s_or_b32 exec_lo, exec_lo, s36
.LBB2_345:                              ;   in Loop: Header=BB2_144 Depth=3
	s_delay_alu instid0(SALU_CYCLE_1)
	s_or_b32 exec_lo, exec_lo, s35
	global_load_b128 v[8:11], v[66:67], off offset:512 slc dlc
	s_mov_b32 s13, 0
	s_mov_b32 s36, exec_lo
                                        ; implicit-def: $sgpr35
	s_waitcnt vmcnt(0)
	v_and_b32_e32 v163, 0xff, v8
	s_delay_alu instid0(VALU_DEP_1)
	v_cmpx_lt_i16_e64 0x7f, v163
	s_xor_b32 s36, exec_lo, s36
	s_cbranch_execnz .LBB2_599
; %bb.346:                              ;   in Loop: Header=BB2_144 Depth=3
	s_or_saveexec_b32 s36, s36
	v_mov_b32_e32 v162, s35
	s_xor_b32 exec_lo, exec_lo, s36
	s_cbranch_execnz .LBB2_602
.LBB2_347:                              ;   in Loop: Header=BB2_144 Depth=3
	s_or_b32 exec_lo, exec_lo, s36
	s_and_saveexec_b32 s35, s13
	s_cbranch_execz .LBB2_349
.LBB2_348:                              ;   in Loop: Header=BB2_144 Depth=3
	v_bfe_u32 v165, v8, 2, 5
	v_lshlrev_b32_e32 v166, 24, v8
	s_delay_alu instid0(VALU_DEP_2) | instskip(SKIP_1) | instid1(VALU_DEP_1)
	v_cmp_eq_u32_e32 vcc_lo, 0, v165
	v_and_b32_e32 v162, 3, v8
	v_clz_i32_u32_e32 v163, v162
	s_delay_alu instid0(VALU_DEP_1) | instskip(NEXT) | instid1(VALU_DEP_1)
	v_min_u32_e32 v163, 32, v163
	v_subrev_nc_u32_e32 v164, 29, v163
	v_sub_nc_u32_e32 v163, 30, v163
	s_delay_alu instid0(VALU_DEP_1) | instskip(NEXT) | instid1(VALU_DEP_1)
	v_dual_cndmask_b32 v163, v165, v163 :: v_dual_lshlrev_b32 v164, v164, v8
	v_and_b32_e32 v164, 3, v164
	s_delay_alu instid0(VALU_DEP_2) | instskip(NEXT) | instid1(VALU_DEP_2)
	v_lshl_add_u32 v163, v163, 23, 0x37800000
	v_cndmask_b32_e32 v162, v162, v164, vcc_lo
	v_and_b32_e32 v164, 0x80000000, v166
	s_delay_alu instid0(VALU_DEP_2) | instskip(NEXT) | instid1(VALU_DEP_1)
	v_lshlrev_b32_e32 v162, 21, v162
	v_or3_b32 v162, v164, v163, v162
.LBB2_349:                              ;   in Loop: Header=BB2_144 Depth=3
	s_or_b32 exec_lo, exec_lo, s35
	s_delay_alu instid0(VALU_DEP_1) | instskip(NEXT) | instid1(VALU_DEP_1)
	v_mul_f32_e32 v163, s34, v162
	v_and_b32_e32 v162, 0x7f800000, v163
	s_delay_alu instid0(VALU_DEP_1)
	v_cmp_ne_u32_e32 vcc_lo, 0x7f800000, v162
	v_mov_b32_e32 v162, 0x80
	s_and_saveexec_b32 s35, vcc_lo
	s_cbranch_execz .LBB2_357
; %bb.350:                              ;   in Loop: Header=BB2_144 Depth=3
	v_mov_b32_e32 v162, 0
	s_mov_b32 s36, exec_lo
	v_cmpx_ne_u32_e32 0, v163
	s_cbranch_execz .LBB2_356
; %bb.351:                              ;   in Loop: Header=BB2_144 Depth=3
	v_bfe_u32 v162, v163, 23, 8
	s_delay_alu instid0(VALU_DEP_1) | instskip(SKIP_1) | instid1(VALU_DEP_2)
	v_sub_nc_u32_e32 v165, 0x70, v162
	v_cmp_gt_u32_e32 vcc_lo, 0x71, v162
	v_dual_cndmask_b32 v165, 0, v165 :: v_dual_and_b32 v164, 0x7fffff, v163
	s_delay_alu instid0(VALU_DEP_1) | instskip(SKIP_2) | instid1(VALU_DEP_4)
	v_or_b32_e32 v166, 0x800000, v164
	v_cmp_eq_u32_e32 vcc_lo, 0, v162
	v_add_nc_u32_e32 v162, 0xffffff91, v162
	v_cndmask_b32_e64 v165, v165, 0x6f, vcc_lo
	s_delay_alu instid0(VALU_DEP_2) | instskip(SKIP_1) | instid1(VALU_DEP_3)
	v_cndmask_b32_e64 v162, v162, 0xffffff92, vcc_lo
	v_cndmask_b32_e32 v164, v166, v164, vcc_lo
	v_lshl_add_u32 v166, 0x200000, v165, -1
	v_lshlrev_b32_e64 v177, v165, 0x100000
	s_delay_alu instid0(VALU_DEP_3) | instskip(SKIP_1) | instid1(VALU_DEP_4)
	v_lshrrev_b32_e32 v167, v165, v164
	v_add_nc_u32_e32 v165, v165, v162
	v_and_b32_e32 v164, v166, v164
	s_delay_alu instid0(VALU_DEP_3) | instskip(NEXT) | instid1(VALU_DEP_2)
	v_bfe_u32 v176, v167, 21, 1
	v_cmp_eq_u32_e64 s13, v164, v177
	s_delay_alu instid0(VALU_DEP_2) | instskip(NEXT) | instid1(VALU_DEP_1)
	v_add_nc_u32_e32 v166, -1, v176
	v_cndmask_b32_e64 v164, 0, v166, s13
	v_lshrrev_b32_e32 v166, 23, v167
	s_mov_b32 s13, exec_lo
	s_delay_alu instid0(VALU_DEP_2) | instskip(NEXT) | instid1(VALU_DEP_2)
	v_add_nc_u32_e32 v164, v164, v167
	v_xor_b32_e32 v166, 1, v166
	s_delay_alu instid0(VALU_DEP_2) | instskip(NEXT) | instid1(VALU_DEP_1)
	v_and_b32_e32 v162, 0x1fffff, v164
	v_add_nc_u32_e32 v164, v162, v167
                                        ; implicit-def: $vgpr162
	s_delay_alu instid0(VALU_DEP_3)
	v_cmpx_ne_u32_e64 v165, v166
	s_xor_b32 s13, exec_lo, s13
; %bb.352:                              ;   in Loop: Header=BB2_144 Depth=3
	s_delay_alu instid0(VALU_DEP_2) | instskip(SKIP_2) | instid1(VALU_DEP_2)
	v_cmp_lt_u32_e32 vcc_lo, 0xffffff, v164
	v_sub_nc_u32_e32 v162, v165, v166
	v_cndmask_b32_e64 v165, 0, 1, vcc_lo
	v_add_co_ci_u32_e32 v162, vcc_lo, 0, v162, vcc_lo
	s_delay_alu instid0(VALU_DEP_2)
	v_lshrrev_b32_e32 v164, v165, v164
; %bb.353:                              ;   in Loop: Header=BB2_144 Depth=3
	s_and_not1_saveexec_b32 s13, s13
; %bb.354:                              ;   in Loop: Header=BB2_144 Depth=3
	s_delay_alu instid0(VALU_DEP_1)
	v_bfe_u32 v162, v164, 23, 1
; %bb.355:                              ;   in Loop: Header=BB2_144 Depth=3
	s_or_b32 exec_lo, exec_lo, s13
	v_lshrrev_b32_e32 v164, 21, v164
	s_delay_alu instid0(VALU_DEP_2) | instskip(SKIP_2) | instid1(VALU_DEP_2)
	v_cmp_gt_i32_e32 vcc_lo, 32, v162
	v_lshrrev_b32_e32 v163, 24, v163
	v_min_i32_e32 v165, 31, v162
	v_dual_cndmask_b32 v164, 3, v164 :: v_dual_and_b32 v163, 0x80, v163
	s_delay_alu instid0(VALU_DEP_1) | instskip(SKIP_1) | instid1(VALU_DEP_2)
	v_or_b32_e32 v162, v162, v164
	v_and_b32_e32 v166, 3, v164
	v_cmp_ne_u32_e32 vcc_lo, 0, v162
	v_lshlrev_b32_e32 v165, 2, v165
	s_delay_alu instid0(VALU_DEP_1) | instskip(NEXT) | instid1(VALU_DEP_1)
	v_or3_b32 v163, v165, v163, v166
	v_cndmask_b32_e32 v162, 0, v163, vcc_lo
.LBB2_356:                              ;   in Loop: Header=BB2_144 Depth=3
	s_or_b32 exec_lo, exec_lo, s36
.LBB2_357:                              ;   in Loop: Header=BB2_144 Depth=3
	s_delay_alu instid0(SALU_CYCLE_1) | instskip(SKIP_3) | instid1(VALU_DEP_1)
	s_or_b32 exec_lo, exec_lo, s35
	v_lshrrev_b16 v163, 8, v8
	s_mov_b32 s13, 0
	s_mov_b32 s36, exec_lo
                                        ; implicit-def: $sgpr35
	v_cmpx_lt_i16_e64 0x7f, v163
	s_xor_b32 s36, exec_lo, s36
	s_cbranch_execnz .LBB2_603
; %bb.358:                              ;   in Loop: Header=BB2_144 Depth=3
	s_or_saveexec_b32 s36, s36
	v_mov_b32_e32 v164, s35
	s_xor_b32 exec_lo, exec_lo, s36
	s_cbranch_execnz .LBB2_606
.LBB2_359:                              ;   in Loop: Header=BB2_144 Depth=3
	s_or_b32 exec_lo, exec_lo, s36
	s_and_saveexec_b32 s35, s13
	s_cbranch_execz .LBB2_361
.LBB2_360:                              ;   in Loop: Header=BB2_144 Depth=3
	v_and_b32_e32 v164, 0xffff, v163
	v_lshlrev_b32_e32 v163, 24, v163
	s_delay_alu instid0(VALU_DEP_2) | instskip(NEXT) | instid1(VALU_DEP_2)
	v_and_b32_e32 v165, 3, v164
	v_and_b32_e32 v163, 0x80000000, v163
	s_delay_alu instid0(VALU_DEP_2) | instskip(NEXT) | instid1(VALU_DEP_1)
	v_clz_i32_u32_e32 v166, v165
	v_min_u32_e32 v166, 32, v166
	s_delay_alu instid0(VALU_DEP_1) | instskip(SKIP_1) | instid1(VALU_DEP_2)
	v_subrev_nc_u32_e32 v167, 29, v166
	v_sub_nc_u32_e32 v166, 30, v166
	v_lshlrev_b32_e32 v167, v167, v164
	v_bfe_u32 v164, v164, 2, 5
	s_delay_alu instid0(VALU_DEP_2) | instskip(NEXT) | instid1(VALU_DEP_2)
	v_and_b32_e32 v167, 3, v167
	v_cmp_eq_u32_e32 vcc_lo, 0, v164
	s_delay_alu instid0(VALU_DEP_2) | instskip(NEXT) | instid1(VALU_DEP_1)
	v_dual_cndmask_b32 v164, v164, v166 :: v_dual_cndmask_b32 v165, v165, v167
	v_lshl_add_u32 v164, v164, 23, 0x37800000
	s_delay_alu instid0(VALU_DEP_2) | instskip(NEXT) | instid1(VALU_DEP_1)
	v_lshlrev_b32_e32 v165, 21, v165
	v_or3_b32 v164, v163, v164, v165
.LBB2_361:                              ;   in Loop: Header=BB2_144 Depth=3
	s_or_b32 exec_lo, exec_lo, s35
	s_delay_alu instid0(VALU_DEP_1) | instskip(NEXT) | instid1(VALU_DEP_1)
	v_mul_f32_e32 v164, s34, v164
	v_and_b32_e32 v163, 0x7f800000, v164
	s_delay_alu instid0(VALU_DEP_1)
	v_cmp_ne_u32_e32 vcc_lo, 0x7f800000, v163
	v_mov_b32_e32 v163, 0x80
	s_and_saveexec_b32 s35, vcc_lo
	s_cbranch_execz .LBB2_369
; %bb.362:                              ;   in Loop: Header=BB2_144 Depth=3
	v_mov_b32_e32 v163, 0
	s_mov_b32 s36, exec_lo
	v_cmpx_ne_u32_e32 0, v164
	s_cbranch_execz .LBB2_368
; %bb.363:                              ;   in Loop: Header=BB2_144 Depth=3
	v_bfe_u32 v163, v164, 23, 8
	s_delay_alu instid0(VALU_DEP_1) | instskip(SKIP_1) | instid1(VALU_DEP_2)
	v_sub_nc_u32_e32 v166, 0x70, v163
	v_cmp_gt_u32_e32 vcc_lo, 0x71, v163
	v_dual_cndmask_b32 v166, 0, v166 :: v_dual_and_b32 v165, 0x7fffff, v164
	s_delay_alu instid0(VALU_DEP_1) | instskip(SKIP_2) | instid1(VALU_DEP_4)
	v_or_b32_e32 v167, 0x800000, v165
	v_cmp_eq_u32_e32 vcc_lo, 0, v163
	v_add_nc_u32_e32 v163, 0xffffff91, v163
	v_cndmask_b32_e64 v166, v166, 0x6f, vcc_lo
	s_delay_alu instid0(VALU_DEP_2) | instskip(SKIP_1) | instid1(VALU_DEP_3)
	v_cndmask_b32_e64 v163, v163, 0xffffff92, vcc_lo
	v_cndmask_b32_e32 v165, v167, v165, vcc_lo
	v_lshl_add_u32 v167, 0x200000, v166, -1
	v_lshlrev_b32_e64 v178, v166, 0x100000
	s_delay_alu instid0(VALU_DEP_3) | instskip(SKIP_1) | instid1(VALU_DEP_4)
	v_lshrrev_b32_e32 v176, v166, v165
	v_add_nc_u32_e32 v166, v166, v163
	v_and_b32_e32 v165, v167, v165
	s_delay_alu instid0(VALU_DEP_3) | instskip(NEXT) | instid1(VALU_DEP_2)
	v_bfe_u32 v177, v176, 21, 1
	v_cmp_eq_u32_e64 s13, v165, v178
	s_delay_alu instid0(VALU_DEP_2) | instskip(NEXT) | instid1(VALU_DEP_1)
	v_add_nc_u32_e32 v167, -1, v177
	v_cndmask_b32_e64 v165, 0, v167, s13
	v_lshrrev_b32_e32 v167, 23, v176
	s_mov_b32 s13, exec_lo
	s_delay_alu instid0(VALU_DEP_2) | instskip(NEXT) | instid1(VALU_DEP_2)
	v_add_nc_u32_e32 v165, v165, v176
	v_xor_b32_e32 v167, 1, v167
	s_delay_alu instid0(VALU_DEP_2) | instskip(NEXT) | instid1(VALU_DEP_1)
	v_and_b32_e32 v163, 0x1fffff, v165
	v_add_nc_u32_e32 v165, v163, v176
                                        ; implicit-def: $vgpr163
	s_delay_alu instid0(VALU_DEP_3)
	v_cmpx_ne_u32_e64 v166, v167
	s_xor_b32 s13, exec_lo, s13
; %bb.364:                              ;   in Loop: Header=BB2_144 Depth=3
	s_delay_alu instid0(VALU_DEP_2) | instskip(SKIP_2) | instid1(VALU_DEP_2)
	v_cmp_lt_u32_e32 vcc_lo, 0xffffff, v165
	v_sub_nc_u32_e32 v163, v166, v167
	v_cndmask_b32_e64 v166, 0, 1, vcc_lo
	v_add_co_ci_u32_e32 v163, vcc_lo, 0, v163, vcc_lo
	s_delay_alu instid0(VALU_DEP_2)
	v_lshrrev_b32_e32 v165, v166, v165
; %bb.365:                              ;   in Loop: Header=BB2_144 Depth=3
	s_and_not1_saveexec_b32 s13, s13
; %bb.366:                              ;   in Loop: Header=BB2_144 Depth=3
	s_delay_alu instid0(VALU_DEP_1)
	v_bfe_u32 v163, v165, 23, 1
; %bb.367:                              ;   in Loop: Header=BB2_144 Depth=3
	s_or_b32 exec_lo, exec_lo, s13
	v_lshrrev_b32_e32 v165, 21, v165
	s_delay_alu instid0(VALU_DEP_2) | instskip(SKIP_2) | instid1(VALU_DEP_2)
	v_cmp_gt_i32_e32 vcc_lo, 32, v163
	v_lshrrev_b32_e32 v164, 24, v164
	v_min_i32_e32 v166, 31, v163
	v_dual_cndmask_b32 v165, 3, v165 :: v_dual_and_b32 v164, 0x80, v164
	s_delay_alu instid0(VALU_DEP_1) | instskip(SKIP_1) | instid1(VALU_DEP_2)
	v_or_b32_e32 v163, v163, v165
	v_and_b32_e32 v167, 3, v165
	v_cmp_ne_u32_e32 vcc_lo, 0, v163
	v_lshlrev_b32_e32 v166, 2, v166
	s_delay_alu instid0(VALU_DEP_1) | instskip(NEXT) | instid1(VALU_DEP_1)
	v_or3_b32 v164, v166, v164, v167
	v_cndmask_b32_e32 v163, 0, v164, vcc_lo
.LBB2_368:                              ;   in Loop: Header=BB2_144 Depth=3
	s_or_b32 exec_lo, exec_lo, s36
.LBB2_369:                              ;   in Loop: Header=BB2_144 Depth=3
	s_delay_alu instid0(SALU_CYCLE_1) | instskip(SKIP_3) | instid1(VALU_DEP_1)
	s_or_b32 exec_lo, exec_lo, s35
	v_lshrrev_b32_e32 v164, 16, v8
	s_mov_b32 s13, 0
	s_mov_b32 s36, exec_lo
                                        ; implicit-def: $sgpr35
	v_and_b32_e32 v166, 0xff, v164
	s_delay_alu instid0(VALU_DEP_1)
	v_cmpx_lt_i16_e64 0x7f, v166
	s_xor_b32 s36, exec_lo, s36
	s_cbranch_execnz .LBB2_607
; %bb.370:                              ;   in Loop: Header=BB2_144 Depth=3
	s_or_saveexec_b32 s36, s36
	v_mov_b32_e32 v165, s35
	s_xor_b32 exec_lo, exec_lo, s36
	s_cbranch_execnz .LBB2_610
.LBB2_371:                              ;   in Loop: Header=BB2_144 Depth=3
	s_or_b32 exec_lo, exec_lo, s36
	s_and_saveexec_b32 s35, s13
	s_cbranch_execz .LBB2_373
.LBB2_372:                              ;   in Loop: Header=BB2_144 Depth=3
	v_bfe_u32 v165, v8, 16, 2
	v_lshlrev_b32_e32 v176, 8, v8
	s_delay_alu instid0(VALU_DEP_2) | instskip(NEXT) | instid1(VALU_DEP_1)
	v_clz_i32_u32_e32 v166, v165
	v_min_u32_e32 v166, 32, v166
	s_delay_alu instid0(VALU_DEP_1) | instskip(SKIP_1) | instid1(VALU_DEP_2)
	v_subrev_nc_u32_e32 v167, 29, v166
	v_sub_nc_u32_e32 v166, 30, v166
	v_lshlrev_b32_e32 v164, v167, v164
	v_bfe_u32 v167, v8, 18, 5
	s_delay_alu instid0(VALU_DEP_2) | instskip(NEXT) | instid1(VALU_DEP_2)
	v_and_b32_e32 v164, 3, v164
	v_cmp_eq_u32_e32 vcc_lo, 0, v167
	v_cndmask_b32_e32 v166, v167, v166, vcc_lo
	s_delay_alu instid0(VALU_DEP_3) | instskip(SKIP_1) | instid1(VALU_DEP_3)
	v_cndmask_b32_e32 v164, v165, v164, vcc_lo
	v_and_b32_e32 v165, 0x80000000, v176
	v_lshl_add_u32 v166, v166, 23, 0x37800000
	s_delay_alu instid0(VALU_DEP_3) | instskip(NEXT) | instid1(VALU_DEP_1)
	v_lshlrev_b32_e32 v164, 21, v164
	v_or3_b32 v165, v165, v166, v164
.LBB2_373:                              ;   in Loop: Header=BB2_144 Depth=3
	s_or_b32 exec_lo, exec_lo, s35
	s_delay_alu instid0(VALU_DEP_1) | instskip(NEXT) | instid1(VALU_DEP_1)
	v_mul_f32_e32 v165, s34, v165
	v_and_b32_e32 v164, 0x7f800000, v165
	s_delay_alu instid0(VALU_DEP_1)
	v_cmp_ne_u32_e32 vcc_lo, 0x7f800000, v164
	v_mov_b32_e32 v164, 0x80
	s_and_saveexec_b32 s35, vcc_lo
	s_cbranch_execz .LBB2_381
; %bb.374:                              ;   in Loop: Header=BB2_144 Depth=3
	v_mov_b32_e32 v164, 0
	s_mov_b32 s36, exec_lo
	v_cmpx_ne_u32_e32 0, v165
	s_cbranch_execz .LBB2_380
; %bb.375:                              ;   in Loop: Header=BB2_144 Depth=3
	v_bfe_u32 v164, v165, 23, 8
	s_delay_alu instid0(VALU_DEP_1) | instskip(SKIP_1) | instid1(VALU_DEP_2)
	v_sub_nc_u32_e32 v167, 0x70, v164
	v_cmp_gt_u32_e32 vcc_lo, 0x71, v164
	v_dual_cndmask_b32 v167, 0, v167 :: v_dual_and_b32 v166, 0x7fffff, v165
	s_delay_alu instid0(VALU_DEP_1) | instskip(SKIP_2) | instid1(VALU_DEP_4)
	v_or_b32_e32 v176, 0x800000, v166
	v_cmp_eq_u32_e32 vcc_lo, 0, v164
	v_add_nc_u32_e32 v164, 0xffffff91, v164
	v_cndmask_b32_e64 v167, v167, 0x6f, vcc_lo
	s_delay_alu instid0(VALU_DEP_2) | instskip(SKIP_1) | instid1(VALU_DEP_3)
	v_cndmask_b32_e64 v164, v164, 0xffffff92, vcc_lo
	v_cndmask_b32_e32 v166, v176, v166, vcc_lo
	v_lshl_add_u32 v176, 0x200000, v167, -1
	v_lshlrev_b32_e64 v179, v167, 0x100000
	s_delay_alu instid0(VALU_DEP_3) | instskip(SKIP_1) | instid1(VALU_DEP_4)
	v_lshrrev_b32_e32 v177, v167, v166
	v_add_nc_u32_e32 v167, v167, v164
	v_and_b32_e32 v166, v176, v166
	s_delay_alu instid0(VALU_DEP_3) | instskip(NEXT) | instid1(VALU_DEP_2)
	v_bfe_u32 v178, v177, 21, 1
	v_cmp_eq_u32_e64 s13, v166, v179
	s_delay_alu instid0(VALU_DEP_2) | instskip(NEXT) | instid1(VALU_DEP_1)
	v_add_nc_u32_e32 v176, -1, v178
	v_cndmask_b32_e64 v166, 0, v176, s13
	v_lshrrev_b32_e32 v176, 23, v177
	s_mov_b32 s13, exec_lo
	s_delay_alu instid0(VALU_DEP_2) | instskip(NEXT) | instid1(VALU_DEP_2)
	v_add_nc_u32_e32 v166, v166, v177
	v_xor_b32_e32 v176, 1, v176
	s_delay_alu instid0(VALU_DEP_2) | instskip(NEXT) | instid1(VALU_DEP_1)
	v_and_b32_e32 v164, 0x1fffff, v166
	v_add_nc_u32_e32 v166, v164, v177
                                        ; implicit-def: $vgpr164
	s_delay_alu instid0(VALU_DEP_3)
	v_cmpx_ne_u32_e64 v167, v176
	s_xor_b32 s13, exec_lo, s13
; %bb.376:                              ;   in Loop: Header=BB2_144 Depth=3
	s_delay_alu instid0(VALU_DEP_2) | instskip(SKIP_2) | instid1(VALU_DEP_2)
	v_cmp_lt_u32_e32 vcc_lo, 0xffffff, v166
	v_sub_nc_u32_e32 v164, v167, v176
	v_cndmask_b32_e64 v167, 0, 1, vcc_lo
	v_add_co_ci_u32_e32 v164, vcc_lo, 0, v164, vcc_lo
	s_delay_alu instid0(VALU_DEP_2)
	v_lshrrev_b32_e32 v166, v167, v166
; %bb.377:                              ;   in Loop: Header=BB2_144 Depth=3
	s_and_not1_saveexec_b32 s13, s13
; %bb.378:                              ;   in Loop: Header=BB2_144 Depth=3
	s_delay_alu instid0(VALU_DEP_1)
	v_bfe_u32 v164, v166, 23, 1
; %bb.379:                              ;   in Loop: Header=BB2_144 Depth=3
	s_or_b32 exec_lo, exec_lo, s13
	v_lshrrev_b32_e32 v166, 21, v166
	s_delay_alu instid0(VALU_DEP_2) | instskip(SKIP_2) | instid1(VALU_DEP_2)
	v_cmp_gt_i32_e32 vcc_lo, 32, v164
	v_lshrrev_b32_e32 v165, 24, v165
	v_min_i32_e32 v167, 31, v164
	v_dual_cndmask_b32 v166, 3, v166 :: v_dual_and_b32 v165, 0x80, v165
	s_delay_alu instid0(VALU_DEP_1) | instskip(SKIP_1) | instid1(VALU_DEP_2)
	v_or_b32_e32 v164, v164, v166
	v_and_b32_e32 v176, 3, v166
	v_cmp_ne_u32_e32 vcc_lo, 0, v164
	v_lshlrev_b32_e32 v167, 2, v167
	s_delay_alu instid0(VALU_DEP_1) | instskip(NEXT) | instid1(VALU_DEP_1)
	v_or3_b32 v165, v167, v165, v176
	v_cndmask_b32_e32 v164, 0, v165, vcc_lo
.LBB2_380:                              ;   in Loop: Header=BB2_144 Depth=3
	s_or_b32 exec_lo, exec_lo, s36
.LBB2_381:                              ;   in Loop: Header=BB2_144 Depth=3
	s_delay_alu instid0(SALU_CYCLE_1) | instskip(SKIP_3) | instid1(VALU_DEP_1)
	s_or_b32 exec_lo, exec_lo, s35
	v_lshrrev_b32_e32 v165, 24, v8
	s_mov_b32 s13, 0
	s_mov_b32 s36, exec_lo
                                        ; implicit-def: $sgpr35
	v_cmpx_lt_i16_e64 0x7f, v165
	s_xor_b32 s36, exec_lo, s36
	s_cbranch_execnz .LBB2_611
; %bb.382:                              ;   in Loop: Header=BB2_144 Depth=3
	s_or_saveexec_b32 s36, s36
	v_mov_b32_e32 v166, s35
	s_xor_b32 exec_lo, exec_lo, s36
	s_cbranch_execnz .LBB2_614
.LBB2_383:                              ;   in Loop: Header=BB2_144 Depth=3
	s_or_b32 exec_lo, exec_lo, s36
	s_and_saveexec_b32 s35, s13
	s_cbranch_execz .LBB2_385
.LBB2_384:                              ;   in Loop: Header=BB2_144 Depth=3
	v_bfe_u32 v166, v8, 24, 2
	s_delay_alu instid0(VALU_DEP_1) | instskip(NEXT) | instid1(VALU_DEP_1)
	v_clz_i32_u32_e32 v167, v166
	v_min_u32_e32 v167, 32, v167
	s_delay_alu instid0(VALU_DEP_1) | instskip(SKIP_1) | instid1(VALU_DEP_2)
	v_subrev_nc_u32_e32 v176, 29, v167
	v_sub_nc_u32_e32 v167, 30, v167
	v_lshlrev_b32_e32 v165, v176, v165
	v_bfe_u32 v176, v8, 26, 5
	v_and_b32_e32 v8, 0x80000000, v8
	s_delay_alu instid0(VALU_DEP_3) | instskip(NEXT) | instid1(VALU_DEP_3)
	v_and_b32_e32 v165, 3, v165
	v_cmp_eq_u32_e32 vcc_lo, 0, v176
	v_cndmask_b32_e32 v167, v176, v167, vcc_lo
	s_delay_alu instid0(VALU_DEP_3) | instskip(NEXT) | instid1(VALU_DEP_2)
	v_cndmask_b32_e32 v165, v166, v165, vcc_lo
	v_lshl_add_u32 v166, v167, 23, 0x37800000
	s_delay_alu instid0(VALU_DEP_2) | instskip(NEXT) | instid1(VALU_DEP_1)
	v_lshlrev_b32_e32 v165, 21, v165
	v_or3_b32 v166, v8, v166, v165
.LBB2_385:                              ;   in Loop: Header=BB2_144 Depth=3
	s_or_b32 exec_lo, exec_lo, s35
	s_delay_alu instid0(VALU_DEP_1) | instskip(NEXT) | instid1(VALU_DEP_1)
	v_mul_f32_e32 v165, s34, v166
	v_and_b32_e32 v8, 0x7f800000, v165
	s_delay_alu instid0(VALU_DEP_1)
	v_cmp_ne_u32_e32 vcc_lo, 0x7f800000, v8
	v_mov_b32_e32 v8, 0x80
	s_and_saveexec_b32 s35, vcc_lo
	s_cbranch_execz .LBB2_393
; %bb.386:                              ;   in Loop: Header=BB2_144 Depth=3
	v_mov_b32_e32 v8, 0
	s_mov_b32 s36, exec_lo
	v_cmpx_ne_u32_e32 0, v165
	s_cbranch_execz .LBB2_392
; %bb.387:                              ;   in Loop: Header=BB2_144 Depth=3
	v_bfe_u32 v8, v165, 23, 8
	s_delay_alu instid0(VALU_DEP_1) | instskip(SKIP_1) | instid1(VALU_DEP_2)
	v_sub_nc_u32_e32 v167, 0x70, v8
	v_cmp_gt_u32_e32 vcc_lo, 0x71, v8
	v_dual_cndmask_b32 v167, 0, v167 :: v_dual_and_b32 v166, 0x7fffff, v165
	s_delay_alu instid0(VALU_DEP_1) | instskip(SKIP_2) | instid1(VALU_DEP_4)
	v_or_b32_e32 v176, 0x800000, v166
	v_cmp_eq_u32_e32 vcc_lo, 0, v8
	v_add_nc_u32_e32 v8, 0xffffff91, v8
	v_cndmask_b32_e64 v167, v167, 0x6f, vcc_lo
	s_delay_alu instid0(VALU_DEP_2) | instskip(SKIP_1) | instid1(VALU_DEP_3)
	v_cndmask_b32_e64 v8, v8, 0xffffff92, vcc_lo
	v_cndmask_b32_e32 v166, v176, v166, vcc_lo
	v_lshl_add_u32 v176, 0x200000, v167, -1
	v_lshlrev_b32_e64 v179, v167, 0x100000
	s_delay_alu instid0(VALU_DEP_3) | instskip(SKIP_1) | instid1(VALU_DEP_4)
	v_lshrrev_b32_e32 v177, v167, v166
	v_add_nc_u32_e32 v167, v167, v8
	v_and_b32_e32 v166, v176, v166
	s_delay_alu instid0(VALU_DEP_3) | instskip(NEXT) | instid1(VALU_DEP_2)
	v_bfe_u32 v178, v177, 21, 1
	v_cmp_eq_u32_e64 s13, v166, v179
	s_delay_alu instid0(VALU_DEP_2) | instskip(NEXT) | instid1(VALU_DEP_1)
	v_add_nc_u32_e32 v176, -1, v178
	v_cndmask_b32_e64 v166, 0, v176, s13
	v_lshrrev_b32_e32 v176, 23, v177
	s_mov_b32 s13, exec_lo
	s_delay_alu instid0(VALU_DEP_2) | instskip(NEXT) | instid1(VALU_DEP_2)
	v_add_nc_u32_e32 v166, v166, v177
	v_xor_b32_e32 v176, 1, v176
	s_delay_alu instid0(VALU_DEP_2) | instskip(NEXT) | instid1(VALU_DEP_1)
	v_and_b32_e32 v8, 0x1fffff, v166
	v_add_nc_u32_e32 v166, v8, v177
                                        ; implicit-def: $vgpr8
	s_delay_alu instid0(VALU_DEP_3)
	v_cmpx_ne_u32_e64 v167, v176
	s_xor_b32 s13, exec_lo, s13
; %bb.388:                              ;   in Loop: Header=BB2_144 Depth=3
	s_delay_alu instid0(VALU_DEP_2) | instskip(SKIP_2) | instid1(VALU_DEP_2)
	v_cmp_lt_u32_e32 vcc_lo, 0xffffff, v166
	v_sub_nc_u32_e32 v8, v167, v176
	v_cndmask_b32_e64 v167, 0, 1, vcc_lo
	v_add_co_ci_u32_e32 v8, vcc_lo, 0, v8, vcc_lo
	s_delay_alu instid0(VALU_DEP_2)
	v_lshrrev_b32_e32 v166, v167, v166
; %bb.389:                              ;   in Loop: Header=BB2_144 Depth=3
	s_and_not1_saveexec_b32 s13, s13
; %bb.390:                              ;   in Loop: Header=BB2_144 Depth=3
	s_delay_alu instid0(VALU_DEP_1)
	v_bfe_u32 v8, v166, 23, 1
; %bb.391:                              ;   in Loop: Header=BB2_144 Depth=3
	s_or_b32 exec_lo, exec_lo, s13
	v_lshrrev_b32_e32 v166, 21, v166
	s_delay_alu instid0(VALU_DEP_2) | instskip(SKIP_2) | instid1(VALU_DEP_2)
	v_cmp_gt_i32_e32 vcc_lo, 32, v8
	v_lshrrev_b32_e32 v165, 24, v165
	v_min_i32_e32 v167, 31, v8
	v_dual_cndmask_b32 v166, 3, v166 :: v_dual_and_b32 v165, 0x80, v165
	s_delay_alu instid0(VALU_DEP_1) | instskip(SKIP_1) | instid1(VALU_DEP_2)
	v_or_b32_e32 v8, v8, v166
	v_and_b32_e32 v176, 3, v166
	v_cmp_ne_u32_e32 vcc_lo, 0, v8
	v_lshlrev_b32_e32 v167, 2, v167
	s_delay_alu instid0(VALU_DEP_1) | instskip(NEXT) | instid1(VALU_DEP_1)
	v_or3_b32 v165, v167, v165, v176
	v_cndmask_b32_e32 v8, 0, v165, vcc_lo
.LBB2_392:                              ;   in Loop: Header=BB2_144 Depth=3
	s_or_b32 exec_lo, exec_lo, s36
.LBB2_393:                              ;   in Loop: Header=BB2_144 Depth=3
	s_delay_alu instid0(SALU_CYCLE_1) | instskip(SKIP_3) | instid1(VALU_DEP_1)
	s_or_b32 exec_lo, exec_lo, s35
	v_and_b32_e32 v166, 0xff, v9
	s_mov_b32 s13, 0
	s_mov_b32 s36, exec_lo
                                        ; implicit-def: $sgpr35
	v_cmpx_lt_i16_e64 0x7f, v166
	s_xor_b32 s36, exec_lo, s36
	s_cbranch_execnz .LBB2_615
; %bb.394:                              ;   in Loop: Header=BB2_144 Depth=3
	s_or_saveexec_b32 s36, s36
	v_mov_b32_e32 v165, s35
	s_xor_b32 exec_lo, exec_lo, s36
	s_cbranch_execnz .LBB2_618
.LBB2_395:                              ;   in Loop: Header=BB2_144 Depth=3
	s_or_b32 exec_lo, exec_lo, s36
	s_and_saveexec_b32 s35, s13
	s_cbranch_execz .LBB2_397
.LBB2_396:                              ;   in Loop: Header=BB2_144 Depth=3
	v_bfe_u32 v176, v9, 2, 5
	v_lshlrev_b32_e32 v177, 24, v9
	s_delay_alu instid0(VALU_DEP_2) | instskip(SKIP_1) | instid1(VALU_DEP_1)
	v_cmp_eq_u32_e32 vcc_lo, 0, v176
	v_and_b32_e32 v165, 3, v9
	v_clz_i32_u32_e32 v166, v165
	s_delay_alu instid0(VALU_DEP_1) | instskip(NEXT) | instid1(VALU_DEP_1)
	v_min_u32_e32 v166, 32, v166
	v_subrev_nc_u32_e32 v167, 29, v166
	v_sub_nc_u32_e32 v166, 30, v166
	s_delay_alu instid0(VALU_DEP_1) | instskip(NEXT) | instid1(VALU_DEP_1)
	v_dual_cndmask_b32 v166, v176, v166 :: v_dual_lshlrev_b32 v167, v167, v9
	v_and_b32_e32 v167, 3, v167
	s_delay_alu instid0(VALU_DEP_2) | instskip(NEXT) | instid1(VALU_DEP_2)
	v_lshl_add_u32 v166, v166, 23, 0x37800000
	v_cndmask_b32_e32 v165, v165, v167, vcc_lo
	v_and_b32_e32 v167, 0x80000000, v177
	s_delay_alu instid0(VALU_DEP_2) | instskip(NEXT) | instid1(VALU_DEP_1)
	v_lshlrev_b32_e32 v165, 21, v165
	v_or3_b32 v165, v167, v166, v165
.LBB2_397:                              ;   in Loop: Header=BB2_144 Depth=3
	s_or_b32 exec_lo, exec_lo, s35
	s_delay_alu instid0(VALU_DEP_1) | instskip(NEXT) | instid1(VALU_DEP_1)
	v_mul_f32_e32 v166, s34, v165
	v_and_b32_e32 v165, 0x7f800000, v166
	s_delay_alu instid0(VALU_DEP_1)
	v_cmp_ne_u32_e32 vcc_lo, 0x7f800000, v165
	v_mov_b32_e32 v165, 0x80
	s_and_saveexec_b32 s35, vcc_lo
	s_cbranch_execz .LBB2_405
; %bb.398:                              ;   in Loop: Header=BB2_144 Depth=3
	v_mov_b32_e32 v165, 0
	s_mov_b32 s36, exec_lo
	v_cmpx_ne_u32_e32 0, v166
	s_cbranch_execz .LBB2_404
; %bb.399:                              ;   in Loop: Header=BB2_144 Depth=3
	v_bfe_u32 v165, v166, 23, 8
	s_delay_alu instid0(VALU_DEP_1) | instskip(SKIP_1) | instid1(VALU_DEP_2)
	v_sub_nc_u32_e32 v176, 0x70, v165
	v_cmp_gt_u32_e32 vcc_lo, 0x71, v165
	v_dual_cndmask_b32 v176, 0, v176 :: v_dual_and_b32 v167, 0x7fffff, v166
	s_delay_alu instid0(VALU_DEP_1) | instskip(SKIP_2) | instid1(VALU_DEP_4)
	v_or_b32_e32 v177, 0x800000, v167
	v_cmp_eq_u32_e32 vcc_lo, 0, v165
	v_add_nc_u32_e32 v165, 0xffffff91, v165
	v_cndmask_b32_e64 v176, v176, 0x6f, vcc_lo
	s_delay_alu instid0(VALU_DEP_2) | instskip(SKIP_1) | instid1(VALU_DEP_3)
	v_cndmask_b32_e64 v165, v165, 0xffffff92, vcc_lo
	v_cndmask_b32_e32 v167, v177, v167, vcc_lo
	v_lshl_add_u32 v177, 0x200000, v176, -1
	v_lshlrev_b32_e64 v180, v176, 0x100000
	s_delay_alu instid0(VALU_DEP_3) | instskip(SKIP_1) | instid1(VALU_DEP_4)
	v_lshrrev_b32_e32 v178, v176, v167
	v_add_nc_u32_e32 v176, v176, v165
	v_and_b32_e32 v167, v177, v167
	s_delay_alu instid0(VALU_DEP_3) | instskip(NEXT) | instid1(VALU_DEP_2)
	v_bfe_u32 v179, v178, 21, 1
	v_cmp_eq_u32_e64 s13, v167, v180
	s_delay_alu instid0(VALU_DEP_2) | instskip(NEXT) | instid1(VALU_DEP_1)
	v_add_nc_u32_e32 v177, -1, v179
	v_cndmask_b32_e64 v167, 0, v177, s13
	v_lshrrev_b32_e32 v177, 23, v178
	s_mov_b32 s13, exec_lo
	s_delay_alu instid0(VALU_DEP_2) | instskip(NEXT) | instid1(VALU_DEP_2)
	v_add_nc_u32_e32 v167, v167, v178
	v_xor_b32_e32 v177, 1, v177
	s_delay_alu instid0(VALU_DEP_2) | instskip(NEXT) | instid1(VALU_DEP_1)
	v_and_b32_e32 v165, 0x1fffff, v167
	v_add_nc_u32_e32 v167, v165, v178
                                        ; implicit-def: $vgpr165
	s_delay_alu instid0(VALU_DEP_3)
	v_cmpx_ne_u32_e64 v176, v177
	s_xor_b32 s13, exec_lo, s13
; %bb.400:                              ;   in Loop: Header=BB2_144 Depth=3
	s_delay_alu instid0(VALU_DEP_2) | instskip(SKIP_2) | instid1(VALU_DEP_2)
	v_cmp_lt_u32_e32 vcc_lo, 0xffffff, v167
	v_sub_nc_u32_e32 v165, v176, v177
	v_cndmask_b32_e64 v176, 0, 1, vcc_lo
	v_add_co_ci_u32_e32 v165, vcc_lo, 0, v165, vcc_lo
	s_delay_alu instid0(VALU_DEP_2)
	v_lshrrev_b32_e32 v167, v176, v167
; %bb.401:                              ;   in Loop: Header=BB2_144 Depth=3
	s_and_not1_saveexec_b32 s13, s13
; %bb.402:                              ;   in Loop: Header=BB2_144 Depth=3
	s_delay_alu instid0(VALU_DEP_1)
	v_bfe_u32 v165, v167, 23, 1
; %bb.403:                              ;   in Loop: Header=BB2_144 Depth=3
	s_or_b32 exec_lo, exec_lo, s13
	v_lshrrev_b32_e32 v167, 21, v167
	s_delay_alu instid0(VALU_DEP_2) | instskip(SKIP_2) | instid1(VALU_DEP_2)
	v_cmp_gt_i32_e32 vcc_lo, 32, v165
	v_min_i32_e32 v176, 31, v165
	v_lshrrev_b32_e32 v166, 24, v166
	v_dual_cndmask_b32 v167, 3, v167 :: v_dual_lshlrev_b32 v176, 2, v176
	s_delay_alu instid0(VALU_DEP_2) | instskip(NEXT) | instid1(VALU_DEP_2)
	v_and_b32_e32 v166, 0x80, v166
	v_or_b32_e32 v165, v165, v167
	v_and_b32_e32 v177, 3, v167
	s_delay_alu instid0(VALU_DEP_2) | instskip(SKIP_1) | instid1(VALU_DEP_1)
	v_cmp_ne_u32_e32 vcc_lo, 0, v165
	v_and_b32_e32 v176, 0xfc, v176
	v_or3_b32 v166, v176, v166, v177
	s_delay_alu instid0(VALU_DEP_1)
	v_cndmask_b32_e32 v165, 0, v166, vcc_lo
.LBB2_404:                              ;   in Loop: Header=BB2_144 Depth=3
	s_or_b32 exec_lo, exec_lo, s36
.LBB2_405:                              ;   in Loop: Header=BB2_144 Depth=3
	s_delay_alu instid0(SALU_CYCLE_1) | instskip(SKIP_3) | instid1(VALU_DEP_1)
	s_or_b32 exec_lo, exec_lo, s35
	v_lshrrev_b16 v166, 8, v9
	s_mov_b32 s13, 0
	s_mov_b32 s36, exec_lo
                                        ; implicit-def: $sgpr35
	v_cmpx_lt_i16_e64 0x7f, v166
	s_xor_b32 s36, exec_lo, s36
	s_cbranch_execnz .LBB2_619
; %bb.406:                              ;   in Loop: Header=BB2_144 Depth=3
	s_or_saveexec_b32 s36, s36
	v_mov_b32_e32 v167, s35
	s_xor_b32 exec_lo, exec_lo, s36
	s_cbranch_execnz .LBB2_622
.LBB2_407:                              ;   in Loop: Header=BB2_144 Depth=3
	s_or_b32 exec_lo, exec_lo, s36
	s_and_saveexec_b32 s35, s13
	s_cbranch_execz .LBB2_409
.LBB2_408:                              ;   in Loop: Header=BB2_144 Depth=3
	v_and_b32_e32 v167, 0xffff, v166
	v_lshlrev_b32_e32 v166, 24, v166
	s_delay_alu instid0(VALU_DEP_2) | instskip(NEXT) | instid1(VALU_DEP_2)
	v_and_b32_e32 v176, 3, v167
	v_and_b32_e32 v166, 0x80000000, v166
	s_delay_alu instid0(VALU_DEP_2) | instskip(NEXT) | instid1(VALU_DEP_1)
	v_clz_i32_u32_e32 v177, v176
	v_min_u32_e32 v177, 32, v177
	s_delay_alu instid0(VALU_DEP_1) | instskip(SKIP_1) | instid1(VALU_DEP_2)
	v_subrev_nc_u32_e32 v178, 29, v177
	v_sub_nc_u32_e32 v177, 30, v177
	v_lshlrev_b32_e32 v178, v178, v167
	v_bfe_u32 v167, v167, 2, 5
	s_delay_alu instid0(VALU_DEP_2) | instskip(NEXT) | instid1(VALU_DEP_2)
	v_and_b32_e32 v178, 3, v178
	v_cmp_eq_u32_e32 vcc_lo, 0, v167
	s_delay_alu instid0(VALU_DEP_2) | instskip(NEXT) | instid1(VALU_DEP_1)
	v_dual_cndmask_b32 v167, v167, v177 :: v_dual_cndmask_b32 v176, v176, v178
	v_lshl_add_u32 v167, v167, 23, 0x37800000
	s_delay_alu instid0(VALU_DEP_2) | instskip(NEXT) | instid1(VALU_DEP_1)
	v_lshlrev_b32_e32 v176, 21, v176
	v_or3_b32 v167, v166, v167, v176
.LBB2_409:                              ;   in Loop: Header=BB2_144 Depth=3
	s_or_b32 exec_lo, exec_lo, s35
	s_delay_alu instid0(VALU_DEP_1) | instskip(NEXT) | instid1(VALU_DEP_1)
	v_mul_f32_e32 v167, s34, v167
	v_and_b32_e32 v166, 0x7f800000, v167
	s_delay_alu instid0(VALU_DEP_1)
	v_cmp_ne_u32_e32 vcc_lo, 0x7f800000, v166
	v_mov_b32_e32 v166, 0x8000
	s_and_saveexec_b32 s35, vcc_lo
	s_cbranch_execz .LBB2_417
; %bb.410:                              ;   in Loop: Header=BB2_144 Depth=3
	v_mov_b32_e32 v166, 0
	s_mov_b32 s36, exec_lo
	v_cmpx_ne_u32_e32 0, v167
	s_cbranch_execz .LBB2_416
; %bb.411:                              ;   in Loop: Header=BB2_144 Depth=3
	v_bfe_u32 v166, v167, 23, 8
	s_delay_alu instid0(VALU_DEP_1) | instskip(SKIP_1) | instid1(VALU_DEP_2)
	v_sub_nc_u32_e32 v177, 0x70, v166
	v_cmp_gt_u32_e32 vcc_lo, 0x71, v166
	v_dual_cndmask_b32 v177, 0, v177 :: v_dual_and_b32 v176, 0x7fffff, v167
	s_delay_alu instid0(VALU_DEP_1) | instskip(SKIP_2) | instid1(VALU_DEP_4)
	v_or_b32_e32 v178, 0x800000, v176
	v_cmp_eq_u32_e32 vcc_lo, 0, v166
	v_add_nc_u32_e32 v166, 0xffffff91, v166
	v_cndmask_b32_e64 v177, v177, 0x6f, vcc_lo
	s_delay_alu instid0(VALU_DEP_2) | instskip(SKIP_1) | instid1(VALU_DEP_3)
	v_cndmask_b32_e64 v166, v166, 0xffffff92, vcc_lo
	v_cndmask_b32_e32 v176, v178, v176, vcc_lo
	v_lshl_add_u32 v178, 0x200000, v177, -1
	v_lshlrev_b32_e64 v181, v177, 0x100000
	s_delay_alu instid0(VALU_DEP_3) | instskip(SKIP_1) | instid1(VALU_DEP_4)
	v_lshrrev_b32_e32 v179, v177, v176
	v_add_nc_u32_e32 v177, v177, v166
	v_and_b32_e32 v176, v178, v176
	s_delay_alu instid0(VALU_DEP_3) | instskip(NEXT) | instid1(VALU_DEP_2)
	v_bfe_u32 v180, v179, 21, 1
	v_cmp_eq_u32_e64 s13, v176, v181
	s_delay_alu instid0(VALU_DEP_2) | instskip(NEXT) | instid1(VALU_DEP_1)
	v_add_nc_u32_e32 v178, -1, v180
	v_cndmask_b32_e64 v176, 0, v178, s13
	v_lshrrev_b32_e32 v178, 23, v179
	s_mov_b32 s13, exec_lo
	s_delay_alu instid0(VALU_DEP_2) | instskip(NEXT) | instid1(VALU_DEP_2)
	v_add_nc_u32_e32 v176, v176, v179
	v_xor_b32_e32 v178, 1, v178
	s_delay_alu instid0(VALU_DEP_2) | instskip(NEXT) | instid1(VALU_DEP_1)
	v_and_b32_e32 v166, 0x1fffff, v176
	v_add_nc_u32_e32 v176, v166, v179
                                        ; implicit-def: $vgpr166
	s_delay_alu instid0(VALU_DEP_3)
	v_cmpx_ne_u32_e64 v177, v178
	s_xor_b32 s13, exec_lo, s13
; %bb.412:                              ;   in Loop: Header=BB2_144 Depth=3
	s_delay_alu instid0(VALU_DEP_2) | instskip(SKIP_2) | instid1(VALU_DEP_2)
	v_cmp_lt_u32_e32 vcc_lo, 0xffffff, v176
	v_sub_nc_u32_e32 v166, v177, v178
	v_cndmask_b32_e64 v177, 0, 1, vcc_lo
	v_add_co_ci_u32_e32 v166, vcc_lo, 0, v166, vcc_lo
	s_delay_alu instid0(VALU_DEP_2)
	v_lshrrev_b32_e32 v176, v177, v176
; %bb.413:                              ;   in Loop: Header=BB2_144 Depth=3
	s_and_not1_saveexec_b32 s13, s13
; %bb.414:                              ;   in Loop: Header=BB2_144 Depth=3
	s_delay_alu instid0(VALU_DEP_1)
	v_bfe_u32 v166, v176, 23, 1
; %bb.415:                              ;   in Loop: Header=BB2_144 Depth=3
	s_or_b32 exec_lo, exec_lo, s13
	v_lshrrev_b32_e32 v176, 21, v176
	s_delay_alu instid0(VALU_DEP_2) | instskip(SKIP_2) | instid1(VALU_DEP_2)
	v_cmp_gt_i32_e32 vcc_lo, 32, v166
	v_min_i32_e32 v177, 31, v166
	v_lshrrev_b32_e32 v167, 24, v167
	v_dual_cndmask_b32 v176, 3, v176 :: v_dual_lshlrev_b32 v177, 2, v177
	s_delay_alu instid0(VALU_DEP_2) | instskip(NEXT) | instid1(VALU_DEP_2)
	v_and_b32_e32 v167, 0x80, v167
	v_or_b32_e32 v166, v166, v176
	v_and_b32_e32 v178, 3, v176
	s_delay_alu instid0(VALU_DEP_2) | instskip(SKIP_1) | instid1(VALU_DEP_1)
	v_cmp_ne_u32_e32 vcc_lo, 0, v166
	v_and_b32_e32 v177, 0xfc, v177
	v_or3_b32 v167, v167, v177, v178
	s_delay_alu instid0(VALU_DEP_1) | instskip(NEXT) | instid1(VALU_DEP_1)
	v_lshlrev_b32_e32 v167, 8, v167
	v_cndmask_b32_e32 v166, 0, v167, vcc_lo
.LBB2_416:                              ;   in Loop: Header=BB2_144 Depth=3
	s_or_b32 exec_lo, exec_lo, s36
.LBB2_417:                              ;   in Loop: Header=BB2_144 Depth=3
	s_delay_alu instid0(SALU_CYCLE_1) | instskip(SKIP_3) | instid1(VALU_DEP_1)
	s_or_b32 exec_lo, exec_lo, s35
	v_lshrrev_b32_e32 v167, 16, v9
	s_mov_b32 s13, 0
	s_mov_b32 s36, exec_lo
                                        ; implicit-def: $sgpr35
	v_and_b32_e32 v177, 0xff, v167
	s_delay_alu instid0(VALU_DEP_1)
	v_cmpx_lt_i16_e64 0x7f, v177
	s_xor_b32 s36, exec_lo, s36
	s_cbranch_execnz .LBB2_623
; %bb.418:                              ;   in Loop: Header=BB2_144 Depth=3
	s_or_saveexec_b32 s36, s36
	v_mov_b32_e32 v176, s35
	s_xor_b32 exec_lo, exec_lo, s36
	s_cbranch_execnz .LBB2_626
.LBB2_419:                              ;   in Loop: Header=BB2_144 Depth=3
	s_or_b32 exec_lo, exec_lo, s36
	s_and_saveexec_b32 s35, s13
	s_cbranch_execz .LBB2_421
.LBB2_420:                              ;   in Loop: Header=BB2_144 Depth=3
	v_bfe_u32 v176, v9, 16, 2
	v_lshlrev_b32_e32 v179, 8, v9
	s_delay_alu instid0(VALU_DEP_2) | instskip(NEXT) | instid1(VALU_DEP_1)
	v_clz_i32_u32_e32 v177, v176
	v_min_u32_e32 v177, 32, v177
	s_delay_alu instid0(VALU_DEP_1) | instskip(SKIP_1) | instid1(VALU_DEP_2)
	v_subrev_nc_u32_e32 v178, 29, v177
	v_sub_nc_u32_e32 v177, 30, v177
	v_lshlrev_b32_e32 v167, v178, v167
	v_bfe_u32 v178, v9, 18, 5
	s_delay_alu instid0(VALU_DEP_2) | instskip(NEXT) | instid1(VALU_DEP_2)
	v_and_b32_e32 v167, 3, v167
	v_cmp_eq_u32_e32 vcc_lo, 0, v178
	v_cndmask_b32_e32 v177, v178, v177, vcc_lo
	s_delay_alu instid0(VALU_DEP_3) | instskip(SKIP_1) | instid1(VALU_DEP_3)
	v_cndmask_b32_e32 v167, v176, v167, vcc_lo
	v_and_b32_e32 v176, 0x80000000, v179
	v_lshl_add_u32 v177, v177, 23, 0x37800000
	s_delay_alu instid0(VALU_DEP_3) | instskip(NEXT) | instid1(VALU_DEP_1)
	v_lshlrev_b32_e32 v167, 21, v167
	v_or3_b32 v176, v176, v177, v167
.LBB2_421:                              ;   in Loop: Header=BB2_144 Depth=3
	s_or_b32 exec_lo, exec_lo, s35
	s_delay_alu instid0(VALU_DEP_1) | instskip(NEXT) | instid1(VALU_DEP_1)
	v_mul_f32_e32 v176, s34, v176
	v_and_b32_e32 v167, 0x7f800000, v176
	s_delay_alu instid0(VALU_DEP_1)
	v_cmp_ne_u32_e32 vcc_lo, 0x7f800000, v167
	v_mov_b32_e32 v167, 0x80
	s_and_saveexec_b32 s35, vcc_lo
	s_cbranch_execz .LBB2_429
; %bb.422:                              ;   in Loop: Header=BB2_144 Depth=3
	v_mov_b32_e32 v167, 0
	s_mov_b32 s36, exec_lo
	v_cmpx_ne_u32_e32 0, v176
	s_cbranch_execz .LBB2_428
; %bb.423:                              ;   in Loop: Header=BB2_144 Depth=3
	v_bfe_u32 v167, v176, 23, 8
	s_delay_alu instid0(VALU_DEP_1) | instskip(SKIP_1) | instid1(VALU_DEP_2)
	v_sub_nc_u32_e32 v178, 0x70, v167
	v_cmp_gt_u32_e32 vcc_lo, 0x71, v167
	v_dual_cndmask_b32 v178, 0, v178 :: v_dual_and_b32 v177, 0x7fffff, v176
	s_delay_alu instid0(VALU_DEP_1) | instskip(SKIP_2) | instid1(VALU_DEP_4)
	v_or_b32_e32 v179, 0x800000, v177
	v_cmp_eq_u32_e32 vcc_lo, 0, v167
	v_add_nc_u32_e32 v167, 0xffffff91, v167
	v_cndmask_b32_e64 v178, v178, 0x6f, vcc_lo
	s_delay_alu instid0(VALU_DEP_2) | instskip(SKIP_1) | instid1(VALU_DEP_3)
	v_cndmask_b32_e64 v167, v167, 0xffffff92, vcc_lo
	v_cndmask_b32_e32 v177, v179, v177, vcc_lo
	v_lshl_add_u32 v179, 0x200000, v178, -1
	v_lshlrev_b32_e64 v182, v178, 0x100000
	s_delay_alu instid0(VALU_DEP_3) | instskip(SKIP_1) | instid1(VALU_DEP_4)
	v_lshrrev_b32_e32 v180, v178, v177
	v_add_nc_u32_e32 v178, v178, v167
	v_and_b32_e32 v177, v179, v177
	s_delay_alu instid0(VALU_DEP_3) | instskip(NEXT) | instid1(VALU_DEP_2)
	v_bfe_u32 v181, v180, 21, 1
	v_cmp_eq_u32_e64 s13, v177, v182
	s_delay_alu instid0(VALU_DEP_2) | instskip(NEXT) | instid1(VALU_DEP_1)
	v_add_nc_u32_e32 v179, -1, v181
	v_cndmask_b32_e64 v177, 0, v179, s13
	v_lshrrev_b32_e32 v179, 23, v180
	s_mov_b32 s13, exec_lo
	s_delay_alu instid0(VALU_DEP_2) | instskip(NEXT) | instid1(VALU_DEP_2)
	v_add_nc_u32_e32 v177, v177, v180
	v_xor_b32_e32 v179, 1, v179
	s_delay_alu instid0(VALU_DEP_2) | instskip(NEXT) | instid1(VALU_DEP_1)
	v_and_b32_e32 v167, 0x1fffff, v177
	v_add_nc_u32_e32 v177, v167, v180
                                        ; implicit-def: $vgpr167
	s_delay_alu instid0(VALU_DEP_3)
	v_cmpx_ne_u32_e64 v178, v179
	s_xor_b32 s13, exec_lo, s13
; %bb.424:                              ;   in Loop: Header=BB2_144 Depth=3
	s_delay_alu instid0(VALU_DEP_2) | instskip(SKIP_2) | instid1(VALU_DEP_2)
	v_cmp_lt_u32_e32 vcc_lo, 0xffffff, v177
	v_sub_nc_u32_e32 v167, v178, v179
	v_cndmask_b32_e64 v178, 0, 1, vcc_lo
	v_add_co_ci_u32_e32 v167, vcc_lo, 0, v167, vcc_lo
	s_delay_alu instid0(VALU_DEP_2)
	v_lshrrev_b32_e32 v177, v178, v177
; %bb.425:                              ;   in Loop: Header=BB2_144 Depth=3
	s_and_not1_saveexec_b32 s13, s13
; %bb.426:                              ;   in Loop: Header=BB2_144 Depth=3
	s_delay_alu instid0(VALU_DEP_1)
	v_bfe_u32 v167, v177, 23, 1
; %bb.427:                              ;   in Loop: Header=BB2_144 Depth=3
	s_or_b32 exec_lo, exec_lo, s13
	v_lshrrev_b32_e32 v177, 21, v177
	s_delay_alu instid0(VALU_DEP_2) | instskip(SKIP_2) | instid1(VALU_DEP_2)
	v_cmp_gt_i32_e32 vcc_lo, 32, v167
	v_min_i32_e32 v178, 31, v167
	v_lshrrev_b32_e32 v176, 24, v176
	v_dual_cndmask_b32 v177, 3, v177 :: v_dual_lshlrev_b32 v178, 2, v178
	s_delay_alu instid0(VALU_DEP_2) | instskip(NEXT) | instid1(VALU_DEP_2)
	v_and_b32_e32 v176, 0x80, v176
	v_or_b32_e32 v167, v167, v177
	v_and_b32_e32 v179, 3, v177
	s_delay_alu instid0(VALU_DEP_2) | instskip(SKIP_1) | instid1(VALU_DEP_1)
	v_cmp_ne_u32_e32 vcc_lo, 0, v167
	v_and_b32_e32 v178, 0xfc, v178
	v_or3_b32 v176, v178, v176, v179
	s_delay_alu instid0(VALU_DEP_1)
	v_cndmask_b32_e32 v167, 0, v176, vcc_lo
.LBB2_428:                              ;   in Loop: Header=BB2_144 Depth=3
	s_or_b32 exec_lo, exec_lo, s36
.LBB2_429:                              ;   in Loop: Header=BB2_144 Depth=3
	s_delay_alu instid0(SALU_CYCLE_1) | instskip(SKIP_3) | instid1(VALU_DEP_1)
	s_or_b32 exec_lo, exec_lo, s35
	v_lshrrev_b32_e32 v176, 24, v9
	s_mov_b32 s13, 0
	s_mov_b32 s36, exec_lo
                                        ; implicit-def: $sgpr35
	v_cmpx_lt_i16_e64 0x7f, v176
	s_xor_b32 s36, exec_lo, s36
	s_cbranch_execnz .LBB2_627
; %bb.430:                              ;   in Loop: Header=BB2_144 Depth=3
	s_or_saveexec_b32 s36, s36
	v_mov_b32_e32 v177, s35
	s_xor_b32 exec_lo, exec_lo, s36
	s_cbranch_execnz .LBB2_630
.LBB2_431:                              ;   in Loop: Header=BB2_144 Depth=3
	s_or_b32 exec_lo, exec_lo, s36
	s_and_saveexec_b32 s35, s13
	s_cbranch_execz .LBB2_433
.LBB2_432:                              ;   in Loop: Header=BB2_144 Depth=3
	v_bfe_u32 v177, v9, 24, 2
	s_delay_alu instid0(VALU_DEP_1) | instskip(NEXT) | instid1(VALU_DEP_1)
	v_clz_i32_u32_e32 v178, v177
	v_min_u32_e32 v178, 32, v178
	s_delay_alu instid0(VALU_DEP_1) | instskip(SKIP_1) | instid1(VALU_DEP_2)
	v_subrev_nc_u32_e32 v179, 29, v178
	v_sub_nc_u32_e32 v178, 30, v178
	v_lshlrev_b32_e32 v176, v179, v176
	v_bfe_u32 v179, v9, 26, 5
	v_and_b32_e32 v9, 0x80000000, v9
	s_delay_alu instid0(VALU_DEP_3) | instskip(NEXT) | instid1(VALU_DEP_3)
	v_and_b32_e32 v176, 3, v176
	v_cmp_eq_u32_e32 vcc_lo, 0, v179
	v_cndmask_b32_e32 v178, v179, v178, vcc_lo
	s_delay_alu instid0(VALU_DEP_3) | instskip(NEXT) | instid1(VALU_DEP_2)
	v_cndmask_b32_e32 v176, v177, v176, vcc_lo
	v_lshl_add_u32 v177, v178, 23, 0x37800000
	s_delay_alu instid0(VALU_DEP_2) | instskip(NEXT) | instid1(VALU_DEP_1)
	v_lshlrev_b32_e32 v176, 21, v176
	v_or3_b32 v177, v9, v177, v176
.LBB2_433:                              ;   in Loop: Header=BB2_144 Depth=3
	s_or_b32 exec_lo, exec_lo, s35
	s_delay_alu instid0(VALU_DEP_1) | instskip(NEXT) | instid1(VALU_DEP_1)
	v_mul_f32_e32 v176, s34, v177
	v_and_b32_e32 v9, 0x7f800000, v176
	s_delay_alu instid0(VALU_DEP_1)
	v_cmp_ne_u32_e32 vcc_lo, 0x7f800000, v9
	v_mov_b32_e32 v9, 0x8000
	s_and_saveexec_b32 s35, vcc_lo
	s_cbranch_execz .LBB2_441
; %bb.434:                              ;   in Loop: Header=BB2_144 Depth=3
	v_mov_b32_e32 v9, 0
	s_mov_b32 s36, exec_lo
	v_cmpx_ne_u32_e32 0, v176
	s_cbranch_execz .LBB2_440
; %bb.435:                              ;   in Loop: Header=BB2_144 Depth=3
	v_bfe_u32 v9, v176, 23, 8
	s_delay_alu instid0(VALU_DEP_1) | instskip(SKIP_1) | instid1(VALU_DEP_2)
	v_sub_nc_u32_e32 v178, 0x70, v9
	v_cmp_gt_u32_e32 vcc_lo, 0x71, v9
	v_dual_cndmask_b32 v178, 0, v178 :: v_dual_and_b32 v177, 0x7fffff, v176
	s_delay_alu instid0(VALU_DEP_1) | instskip(SKIP_2) | instid1(VALU_DEP_4)
	v_or_b32_e32 v179, 0x800000, v177
	v_cmp_eq_u32_e32 vcc_lo, 0, v9
	v_add_nc_u32_e32 v9, 0xffffff91, v9
	v_cndmask_b32_e64 v178, v178, 0x6f, vcc_lo
	s_delay_alu instid0(VALU_DEP_4) | instskip(NEXT) | instid1(VALU_DEP_3)
	v_cndmask_b32_e32 v177, v179, v177, vcc_lo
	v_cndmask_b32_e64 v9, v9, 0xffffff92, vcc_lo
	s_delay_alu instid0(VALU_DEP_3) | instskip(NEXT) | instid1(VALU_DEP_3)
	v_lshl_add_u32 v179, 0x200000, v178, -1
	v_lshrrev_b32_e32 v180, v178, v177
	v_lshlrev_b32_e64 v182, v178, 0x100000
	s_delay_alu instid0(VALU_DEP_4) | instskip(NEXT) | instid1(VALU_DEP_4)
	v_add_nc_u32_e32 v178, v178, v9
	v_and_b32_e32 v177, v179, v177
	s_delay_alu instid0(VALU_DEP_4) | instskip(NEXT) | instid1(VALU_DEP_2)
	v_bfe_u32 v181, v180, 21, 1
	v_cmp_eq_u32_e64 s13, v177, v182
	s_delay_alu instid0(VALU_DEP_2) | instskip(NEXT) | instid1(VALU_DEP_1)
	v_add_nc_u32_e32 v179, -1, v181
	v_cndmask_b32_e64 v177, 0, v179, s13
	v_lshrrev_b32_e32 v179, 23, v180
	s_mov_b32 s13, exec_lo
	s_delay_alu instid0(VALU_DEP_2) | instskip(NEXT) | instid1(VALU_DEP_2)
	v_add_nc_u32_e32 v177, v177, v180
	v_xor_b32_e32 v179, 1, v179
	s_delay_alu instid0(VALU_DEP_2) | instskip(NEXT) | instid1(VALU_DEP_1)
	v_and_b32_e32 v9, 0x1fffff, v177
	v_add_nc_u32_e32 v177, v9, v180
                                        ; implicit-def: $vgpr9
	s_delay_alu instid0(VALU_DEP_3)
	v_cmpx_ne_u32_e64 v178, v179
	s_xor_b32 s13, exec_lo, s13
; %bb.436:                              ;   in Loop: Header=BB2_144 Depth=3
	s_delay_alu instid0(VALU_DEP_2) | instskip(SKIP_2) | instid1(VALU_DEP_2)
	v_cmp_lt_u32_e32 vcc_lo, 0xffffff, v177
	v_sub_nc_u32_e32 v9, v178, v179
	v_cndmask_b32_e64 v178, 0, 1, vcc_lo
	v_add_co_ci_u32_e32 v9, vcc_lo, 0, v9, vcc_lo
	s_delay_alu instid0(VALU_DEP_2)
	v_lshrrev_b32_e32 v177, v178, v177
; %bb.437:                              ;   in Loop: Header=BB2_144 Depth=3
	s_and_not1_saveexec_b32 s13, s13
; %bb.438:                              ;   in Loop: Header=BB2_144 Depth=3
	s_delay_alu instid0(VALU_DEP_1)
	v_bfe_u32 v9, v177, 23, 1
; %bb.439:                              ;   in Loop: Header=BB2_144 Depth=3
	s_or_b32 exec_lo, exec_lo, s13
	v_lshrrev_b32_e32 v177, 21, v177
	s_delay_alu instid0(VALU_DEP_2) | instskip(SKIP_2) | instid1(VALU_DEP_2)
	v_cmp_gt_i32_e32 vcc_lo, 32, v9
	v_min_i32_e32 v178, 31, v9
	v_lshrrev_b32_e32 v176, 24, v176
	v_dual_cndmask_b32 v177, 3, v177 :: v_dual_lshlrev_b32 v178, 2, v178
	s_delay_alu instid0(VALU_DEP_2) | instskip(NEXT) | instid1(VALU_DEP_2)
	v_and_b32_e32 v176, 0x80, v176
	v_or_b32_e32 v9, v9, v177
	v_and_b32_e32 v179, 3, v177
	s_delay_alu instid0(VALU_DEP_2) | instskip(SKIP_1) | instid1(VALU_DEP_1)
	v_cmp_ne_u32_e32 vcc_lo, 0, v9
	v_and_b32_e32 v178, 0xfc, v178
	v_or3_b32 v176, v176, v178, v179
	s_delay_alu instid0(VALU_DEP_1) | instskip(NEXT) | instid1(VALU_DEP_1)
	v_lshlrev_b32_e32 v176, 8, v176
	v_cndmask_b32_e32 v9, 0, v176, vcc_lo
.LBB2_440:                              ;   in Loop: Header=BB2_144 Depth=3
	s_or_b32 exec_lo, exec_lo, s36
.LBB2_441:                              ;   in Loop: Header=BB2_144 Depth=3
	s_delay_alu instid0(SALU_CYCLE_1) | instskip(SKIP_3) | instid1(VALU_DEP_1)
	s_or_b32 exec_lo, exec_lo, s35
	v_and_b32_e32 v177, 0xff, v10
	s_mov_b32 s13, 0
	s_mov_b32 s36, exec_lo
                                        ; implicit-def: $sgpr35
	v_cmpx_lt_i16_e64 0x7f, v177
	s_xor_b32 s36, exec_lo, s36
	s_cbranch_execnz .LBB2_631
; %bb.442:                              ;   in Loop: Header=BB2_144 Depth=3
	s_or_saveexec_b32 s36, s36
	v_mov_b32_e32 v176, s35
	s_xor_b32 exec_lo, exec_lo, s36
	s_cbranch_execnz .LBB2_634
.LBB2_443:                              ;   in Loop: Header=BB2_144 Depth=3
	s_or_b32 exec_lo, exec_lo, s36
	s_and_saveexec_b32 s35, s13
	s_cbranch_execz .LBB2_445
.LBB2_444:                              ;   in Loop: Header=BB2_144 Depth=3
	v_bfe_u32 v179, v10, 2, 5
	v_lshlrev_b32_e32 v180, 24, v10
	s_delay_alu instid0(VALU_DEP_2) | instskip(SKIP_1) | instid1(VALU_DEP_1)
	v_cmp_eq_u32_e32 vcc_lo, 0, v179
	v_and_b32_e32 v176, 3, v10
	v_clz_i32_u32_e32 v177, v176
	s_delay_alu instid0(VALU_DEP_1) | instskip(NEXT) | instid1(VALU_DEP_1)
	v_min_u32_e32 v177, 32, v177
	v_subrev_nc_u32_e32 v178, 29, v177
	v_sub_nc_u32_e32 v177, 30, v177
	s_delay_alu instid0(VALU_DEP_1) | instskip(NEXT) | instid1(VALU_DEP_1)
	v_dual_cndmask_b32 v177, v179, v177 :: v_dual_lshlrev_b32 v178, v178, v10
	v_and_b32_e32 v178, 3, v178
	s_delay_alu instid0(VALU_DEP_2) | instskip(NEXT) | instid1(VALU_DEP_2)
	v_lshl_add_u32 v177, v177, 23, 0x37800000
	v_cndmask_b32_e32 v176, v176, v178, vcc_lo
	v_and_b32_e32 v178, 0x80000000, v180
	s_delay_alu instid0(VALU_DEP_2) | instskip(NEXT) | instid1(VALU_DEP_1)
	v_lshlrev_b32_e32 v176, 21, v176
	v_or3_b32 v176, v178, v177, v176
.LBB2_445:                              ;   in Loop: Header=BB2_144 Depth=3
	s_or_b32 exec_lo, exec_lo, s35
	s_delay_alu instid0(VALU_DEP_1) | instskip(NEXT) | instid1(VALU_DEP_1)
	v_mul_f32_e32 v177, s34, v176
	v_and_b32_e32 v176, 0x7f800000, v177
	s_delay_alu instid0(VALU_DEP_1)
	v_cmp_ne_u32_e32 vcc_lo, 0x7f800000, v176
	v_mov_b32_e32 v176, 0x80
	s_and_saveexec_b32 s35, vcc_lo
	s_cbranch_execz .LBB2_453
; %bb.446:                              ;   in Loop: Header=BB2_144 Depth=3
	v_mov_b32_e32 v176, 0
	s_mov_b32 s36, exec_lo
	v_cmpx_ne_u32_e32 0, v177
	s_cbranch_execz .LBB2_452
; %bb.447:                              ;   in Loop: Header=BB2_144 Depth=3
	v_bfe_u32 v176, v177, 23, 8
	s_delay_alu instid0(VALU_DEP_1) | instskip(SKIP_1) | instid1(VALU_DEP_2)
	v_sub_nc_u32_e32 v179, 0x70, v176
	v_cmp_gt_u32_e32 vcc_lo, 0x71, v176
	v_dual_cndmask_b32 v179, 0, v179 :: v_dual_and_b32 v178, 0x7fffff, v177
	s_delay_alu instid0(VALU_DEP_1) | instskip(SKIP_2) | instid1(VALU_DEP_4)
	v_or_b32_e32 v180, 0x800000, v178
	v_cmp_eq_u32_e32 vcc_lo, 0, v176
	v_add_nc_u32_e32 v176, 0xffffff91, v176
	v_cndmask_b32_e64 v179, v179, 0x6f, vcc_lo
	s_delay_alu instid0(VALU_DEP_2) | instskip(SKIP_1) | instid1(VALU_DEP_3)
	v_cndmask_b32_e64 v176, v176, 0xffffff92, vcc_lo
	v_cndmask_b32_e32 v178, v180, v178, vcc_lo
	v_lshl_add_u32 v180, 0x200000, v179, -1
	v_lshlrev_b32_e64 v183, v179, 0x100000
	s_delay_alu instid0(VALU_DEP_3) | instskip(SKIP_1) | instid1(VALU_DEP_4)
	v_lshrrev_b32_e32 v181, v179, v178
	v_add_nc_u32_e32 v179, v179, v176
	v_and_b32_e32 v178, v180, v178
	s_delay_alu instid0(VALU_DEP_3) | instskip(NEXT) | instid1(VALU_DEP_2)
	v_bfe_u32 v182, v181, 21, 1
	v_cmp_eq_u32_e64 s13, v178, v183
	s_delay_alu instid0(VALU_DEP_2) | instskip(NEXT) | instid1(VALU_DEP_1)
	v_add_nc_u32_e32 v180, -1, v182
	v_cndmask_b32_e64 v178, 0, v180, s13
	v_lshrrev_b32_e32 v180, 23, v181
	s_mov_b32 s13, exec_lo
	s_delay_alu instid0(VALU_DEP_2) | instskip(NEXT) | instid1(VALU_DEP_2)
	v_add_nc_u32_e32 v178, v178, v181
	v_xor_b32_e32 v180, 1, v180
	s_delay_alu instid0(VALU_DEP_2) | instskip(NEXT) | instid1(VALU_DEP_1)
	v_and_b32_e32 v176, 0x1fffff, v178
	v_add_nc_u32_e32 v178, v176, v181
                                        ; implicit-def: $vgpr176
	s_delay_alu instid0(VALU_DEP_3)
	v_cmpx_ne_u32_e64 v179, v180
	s_xor_b32 s13, exec_lo, s13
; %bb.448:                              ;   in Loop: Header=BB2_144 Depth=3
	s_delay_alu instid0(VALU_DEP_2) | instskip(SKIP_2) | instid1(VALU_DEP_2)
	v_cmp_lt_u32_e32 vcc_lo, 0xffffff, v178
	v_sub_nc_u32_e32 v176, v179, v180
	v_cndmask_b32_e64 v179, 0, 1, vcc_lo
	v_add_co_ci_u32_e32 v176, vcc_lo, 0, v176, vcc_lo
	s_delay_alu instid0(VALU_DEP_2)
	v_lshrrev_b32_e32 v178, v179, v178
; %bb.449:                              ;   in Loop: Header=BB2_144 Depth=3
	s_and_not1_saveexec_b32 s13, s13
; %bb.450:                              ;   in Loop: Header=BB2_144 Depth=3
	s_delay_alu instid0(VALU_DEP_1)
	v_bfe_u32 v176, v178, 23, 1
; %bb.451:                              ;   in Loop: Header=BB2_144 Depth=3
	s_or_b32 exec_lo, exec_lo, s13
	v_lshrrev_b32_e32 v178, 21, v178
	s_delay_alu instid0(VALU_DEP_2) | instskip(SKIP_2) | instid1(VALU_DEP_2)
	v_cmp_gt_i32_e32 vcc_lo, 32, v176
	v_lshrrev_b32_e32 v177, 24, v177
	v_min_i32_e32 v179, 31, v176
	v_dual_cndmask_b32 v178, 3, v178 :: v_dual_and_b32 v177, 0x80, v177
	s_delay_alu instid0(VALU_DEP_1) | instskip(SKIP_1) | instid1(VALU_DEP_2)
	v_or_b32_e32 v176, v176, v178
	v_and_b32_e32 v180, 3, v178
	v_cmp_ne_u32_e32 vcc_lo, 0, v176
	v_lshlrev_b32_e32 v179, 2, v179
	s_delay_alu instid0(VALU_DEP_1) | instskip(NEXT) | instid1(VALU_DEP_1)
	v_or3_b32 v177, v179, v177, v180
	v_cndmask_b32_e32 v176, 0, v177, vcc_lo
.LBB2_452:                              ;   in Loop: Header=BB2_144 Depth=3
	s_or_b32 exec_lo, exec_lo, s36
.LBB2_453:                              ;   in Loop: Header=BB2_144 Depth=3
	s_delay_alu instid0(SALU_CYCLE_1) | instskip(SKIP_3) | instid1(VALU_DEP_1)
	s_or_b32 exec_lo, exec_lo, s35
	v_lshrrev_b16 v177, 8, v10
	s_mov_b32 s13, 0
	s_mov_b32 s36, exec_lo
                                        ; implicit-def: $sgpr35
	v_cmpx_lt_i16_e64 0x7f, v177
	s_xor_b32 s36, exec_lo, s36
	s_cbranch_execnz .LBB2_635
; %bb.454:                              ;   in Loop: Header=BB2_144 Depth=3
	s_or_saveexec_b32 s36, s36
	v_mov_b32_e32 v178, s35
	s_xor_b32 exec_lo, exec_lo, s36
	s_cbranch_execnz .LBB2_638
.LBB2_455:                              ;   in Loop: Header=BB2_144 Depth=3
	s_or_b32 exec_lo, exec_lo, s36
	s_and_saveexec_b32 s35, s13
	s_cbranch_execz .LBB2_457
.LBB2_456:                              ;   in Loop: Header=BB2_144 Depth=3
	v_and_b32_e32 v178, 0xffff, v177
	v_lshlrev_b32_e32 v177, 24, v177
	s_delay_alu instid0(VALU_DEP_2) | instskip(NEXT) | instid1(VALU_DEP_2)
	v_and_b32_e32 v179, 3, v178
	v_and_b32_e32 v177, 0x80000000, v177
	s_delay_alu instid0(VALU_DEP_2) | instskip(NEXT) | instid1(VALU_DEP_1)
	v_clz_i32_u32_e32 v180, v179
	v_min_u32_e32 v180, 32, v180
	s_delay_alu instid0(VALU_DEP_1) | instskip(SKIP_1) | instid1(VALU_DEP_2)
	v_subrev_nc_u32_e32 v181, 29, v180
	v_sub_nc_u32_e32 v180, 30, v180
	v_lshlrev_b32_e32 v181, v181, v178
	v_bfe_u32 v178, v178, 2, 5
	s_delay_alu instid0(VALU_DEP_2) | instskip(NEXT) | instid1(VALU_DEP_2)
	v_and_b32_e32 v181, 3, v181
	v_cmp_eq_u32_e32 vcc_lo, 0, v178
	s_delay_alu instid0(VALU_DEP_2) | instskip(NEXT) | instid1(VALU_DEP_1)
	v_dual_cndmask_b32 v178, v178, v180 :: v_dual_cndmask_b32 v179, v179, v181
	v_lshl_add_u32 v178, v178, 23, 0x37800000
	s_delay_alu instid0(VALU_DEP_2) | instskip(NEXT) | instid1(VALU_DEP_1)
	v_lshlrev_b32_e32 v179, 21, v179
	v_or3_b32 v178, v177, v178, v179
.LBB2_457:                              ;   in Loop: Header=BB2_144 Depth=3
	s_or_b32 exec_lo, exec_lo, s35
	s_delay_alu instid0(VALU_DEP_1) | instskip(NEXT) | instid1(VALU_DEP_1)
	v_mul_f32_e32 v178, s34, v178
	v_and_b32_e32 v177, 0x7f800000, v178
	s_delay_alu instid0(VALU_DEP_1)
	v_cmp_ne_u32_e32 vcc_lo, 0x7f800000, v177
	v_mov_b32_e32 v177, 0x80
	s_and_saveexec_b32 s35, vcc_lo
	s_cbranch_execz .LBB2_465
; %bb.458:                              ;   in Loop: Header=BB2_144 Depth=3
	v_mov_b32_e32 v177, 0
	s_mov_b32 s36, exec_lo
	v_cmpx_ne_u32_e32 0, v178
	s_cbranch_execz .LBB2_464
; %bb.459:                              ;   in Loop: Header=BB2_144 Depth=3
	v_bfe_u32 v177, v178, 23, 8
	s_delay_alu instid0(VALU_DEP_1) | instskip(SKIP_1) | instid1(VALU_DEP_2)
	v_sub_nc_u32_e32 v180, 0x70, v177
	v_cmp_gt_u32_e32 vcc_lo, 0x71, v177
	v_dual_cndmask_b32 v180, 0, v180 :: v_dual_and_b32 v179, 0x7fffff, v178
	s_delay_alu instid0(VALU_DEP_1) | instskip(SKIP_2) | instid1(VALU_DEP_4)
	v_or_b32_e32 v181, 0x800000, v179
	v_cmp_eq_u32_e32 vcc_lo, 0, v177
	v_add_nc_u32_e32 v177, 0xffffff91, v177
	v_cndmask_b32_e64 v180, v180, 0x6f, vcc_lo
	s_delay_alu instid0(VALU_DEP_2) | instskip(SKIP_1) | instid1(VALU_DEP_3)
	v_cndmask_b32_e64 v177, v177, 0xffffff92, vcc_lo
	v_cndmask_b32_e32 v179, v181, v179, vcc_lo
	v_lshl_add_u32 v181, 0x200000, v180, -1
	v_lshlrev_b32_e64 v40, v180, 0x100000
	s_delay_alu instid0(VALU_DEP_3) | instskip(SKIP_1) | instid1(VALU_DEP_4)
	v_lshrrev_b32_e32 v182, v180, v179
	v_add_nc_u32_e32 v180, v180, v177
	v_and_b32_e32 v179, v181, v179
	s_delay_alu instid0(VALU_DEP_3) | instskip(NEXT) | instid1(VALU_DEP_2)
	v_bfe_u32 v183, v182, 21, 1
	v_cmp_eq_u32_e64 s13, v179, v40
	s_delay_alu instid0(VALU_DEP_2) | instskip(NEXT) | instid1(VALU_DEP_1)
	v_add_nc_u32_e32 v181, -1, v183
	v_cndmask_b32_e64 v179, 0, v181, s13
	v_lshrrev_b32_e32 v181, 23, v182
	s_mov_b32 s13, exec_lo
	s_delay_alu instid0(VALU_DEP_2) | instskip(NEXT) | instid1(VALU_DEP_2)
	v_add_nc_u32_e32 v179, v179, v182
	v_xor_b32_e32 v181, 1, v181
	s_delay_alu instid0(VALU_DEP_2) | instskip(NEXT) | instid1(VALU_DEP_1)
	v_and_b32_e32 v177, 0x1fffff, v179
	v_add_nc_u32_e32 v179, v177, v182
                                        ; implicit-def: $vgpr177
	s_delay_alu instid0(VALU_DEP_3)
	v_cmpx_ne_u32_e64 v180, v181
	s_xor_b32 s13, exec_lo, s13
; %bb.460:                              ;   in Loop: Header=BB2_144 Depth=3
	s_delay_alu instid0(VALU_DEP_2) | instskip(SKIP_2) | instid1(VALU_DEP_2)
	v_cmp_lt_u32_e32 vcc_lo, 0xffffff, v179
	v_sub_nc_u32_e32 v177, v180, v181
	v_cndmask_b32_e64 v180, 0, 1, vcc_lo
	v_add_co_ci_u32_e32 v177, vcc_lo, 0, v177, vcc_lo
	s_delay_alu instid0(VALU_DEP_2)
	v_lshrrev_b32_e32 v179, v180, v179
; %bb.461:                              ;   in Loop: Header=BB2_144 Depth=3
	s_and_not1_saveexec_b32 s13, s13
; %bb.462:                              ;   in Loop: Header=BB2_144 Depth=3
	s_delay_alu instid0(VALU_DEP_1)
	v_bfe_u32 v177, v179, 23, 1
; %bb.463:                              ;   in Loop: Header=BB2_144 Depth=3
	s_or_b32 exec_lo, exec_lo, s13
	v_lshrrev_b32_e32 v179, 21, v179
	s_delay_alu instid0(VALU_DEP_2) | instskip(SKIP_2) | instid1(VALU_DEP_2)
	v_cmp_gt_i32_e32 vcc_lo, 32, v177
	v_lshrrev_b32_e32 v178, 24, v178
	v_min_i32_e32 v180, 31, v177
	v_dual_cndmask_b32 v179, 3, v179 :: v_dual_and_b32 v178, 0x80, v178
	s_delay_alu instid0(VALU_DEP_1) | instskip(SKIP_1) | instid1(VALU_DEP_2)
	v_or_b32_e32 v177, v177, v179
	v_and_b32_e32 v181, 3, v179
	v_cmp_ne_u32_e32 vcc_lo, 0, v177
	v_lshlrev_b32_e32 v180, 2, v180
	s_delay_alu instid0(VALU_DEP_1) | instskip(NEXT) | instid1(VALU_DEP_1)
	v_or3_b32 v178, v180, v178, v181
	v_cndmask_b32_e32 v177, 0, v178, vcc_lo
.LBB2_464:                              ;   in Loop: Header=BB2_144 Depth=3
	s_or_b32 exec_lo, exec_lo, s36
.LBB2_465:                              ;   in Loop: Header=BB2_144 Depth=3
	s_delay_alu instid0(SALU_CYCLE_1) | instskip(SKIP_3) | instid1(VALU_DEP_1)
	s_or_b32 exec_lo, exec_lo, s35
	v_lshrrev_b32_e32 v178, 16, v10
	s_mov_b32 s13, 0
	s_mov_b32 s36, exec_lo
                                        ; implicit-def: $sgpr35
	v_and_b32_e32 v180, 0xff, v178
	s_delay_alu instid0(VALU_DEP_1)
	v_cmpx_lt_i16_e64 0x7f, v180
	s_xor_b32 s36, exec_lo, s36
	s_cbranch_execnz .LBB2_639
; %bb.466:                              ;   in Loop: Header=BB2_144 Depth=3
	s_or_saveexec_b32 s36, s36
	v_mov_b32_e32 v179, s35
	s_xor_b32 exec_lo, exec_lo, s36
	s_cbranch_execnz .LBB2_642
.LBB2_467:                              ;   in Loop: Header=BB2_144 Depth=3
	s_or_b32 exec_lo, exec_lo, s36
	s_and_saveexec_b32 s35, s13
	s_cbranch_execz .LBB2_469
.LBB2_468:                              ;   in Loop: Header=BB2_144 Depth=3
	v_bfe_u32 v179, v10, 16, 2
	v_lshlrev_b32_e32 v182, 8, v10
	s_delay_alu instid0(VALU_DEP_2) | instskip(NEXT) | instid1(VALU_DEP_1)
	v_clz_i32_u32_e32 v180, v179
	v_min_u32_e32 v180, 32, v180
	s_delay_alu instid0(VALU_DEP_1) | instskip(SKIP_1) | instid1(VALU_DEP_2)
	v_subrev_nc_u32_e32 v181, 29, v180
	v_sub_nc_u32_e32 v180, 30, v180
	v_lshlrev_b32_e32 v178, v181, v178
	v_bfe_u32 v181, v10, 18, 5
	s_delay_alu instid0(VALU_DEP_2) | instskip(NEXT) | instid1(VALU_DEP_2)
	v_and_b32_e32 v178, 3, v178
	v_cmp_eq_u32_e32 vcc_lo, 0, v181
	v_cndmask_b32_e32 v180, v181, v180, vcc_lo
	s_delay_alu instid0(VALU_DEP_3) | instskip(SKIP_1) | instid1(VALU_DEP_3)
	v_cndmask_b32_e32 v178, v179, v178, vcc_lo
	v_and_b32_e32 v179, 0x80000000, v182
	v_lshl_add_u32 v180, v180, 23, 0x37800000
	s_delay_alu instid0(VALU_DEP_3) | instskip(NEXT) | instid1(VALU_DEP_1)
	v_lshlrev_b32_e32 v178, 21, v178
	v_or3_b32 v179, v179, v180, v178
.LBB2_469:                              ;   in Loop: Header=BB2_144 Depth=3
	s_or_b32 exec_lo, exec_lo, s35
	s_delay_alu instid0(VALU_DEP_1) | instskip(NEXT) | instid1(VALU_DEP_1)
	v_mul_f32_e32 v179, s34, v179
	v_and_b32_e32 v178, 0x7f800000, v179
	s_delay_alu instid0(VALU_DEP_1)
	v_cmp_ne_u32_e32 vcc_lo, 0x7f800000, v178
	v_mov_b32_e32 v178, 0x80
	s_and_saveexec_b32 s35, vcc_lo
	s_cbranch_execz .LBB2_477
; %bb.470:                              ;   in Loop: Header=BB2_144 Depth=3
	v_mov_b32_e32 v178, 0
	s_mov_b32 s36, exec_lo
	v_cmpx_ne_u32_e32 0, v179
	s_cbranch_execz .LBB2_476
; %bb.471:                              ;   in Loop: Header=BB2_144 Depth=3
	v_bfe_u32 v178, v179, 23, 8
	s_delay_alu instid0(VALU_DEP_1) | instskip(SKIP_1) | instid1(VALU_DEP_2)
	v_sub_nc_u32_e32 v181, 0x70, v178
	v_cmp_gt_u32_e32 vcc_lo, 0x71, v178
	v_dual_cndmask_b32 v181, 0, v181 :: v_dual_and_b32 v180, 0x7fffff, v179
	s_delay_alu instid0(VALU_DEP_1) | instskip(SKIP_2) | instid1(VALU_DEP_4)
	v_or_b32_e32 v182, 0x800000, v180
	v_cmp_eq_u32_e32 vcc_lo, 0, v178
	v_add_nc_u32_e32 v178, 0xffffff91, v178
	v_cndmask_b32_e64 v181, v181, 0x6f, vcc_lo
	s_delay_alu instid0(VALU_DEP_2) | instskip(SKIP_1) | instid1(VALU_DEP_3)
	v_cndmask_b32_e64 v178, v178, 0xffffff92, vcc_lo
	v_cndmask_b32_e32 v180, v182, v180, vcc_lo
	v_lshl_add_u32 v182, 0x200000, v181, -1
	v_lshlrev_b32_e64 v41, v181, 0x100000
	s_delay_alu instid0(VALU_DEP_3) | instskip(SKIP_1) | instid1(VALU_DEP_4)
	v_lshrrev_b32_e32 v183, v181, v180
	v_add_nc_u32_e32 v181, v181, v178
	v_and_b32_e32 v180, v182, v180
	s_delay_alu instid0(VALU_DEP_3) | instskip(NEXT) | instid1(VALU_DEP_2)
	v_bfe_u32 v40, v183, 21, 1
	v_cmp_eq_u32_e64 s13, v180, v41
	s_delay_alu instid0(VALU_DEP_2) | instskip(NEXT) | instid1(VALU_DEP_1)
	v_add_nc_u32_e32 v182, -1, v40
	v_cndmask_b32_e64 v180, 0, v182, s13
	v_lshrrev_b32_e32 v182, 23, v183
	s_mov_b32 s13, exec_lo
	s_delay_alu instid0(VALU_DEP_2) | instskip(NEXT) | instid1(VALU_DEP_2)
	v_add_nc_u32_e32 v180, v180, v183
	v_xor_b32_e32 v182, 1, v182
	s_delay_alu instid0(VALU_DEP_2) | instskip(NEXT) | instid1(VALU_DEP_1)
	v_and_b32_e32 v178, 0x1fffff, v180
	v_add_nc_u32_e32 v180, v178, v183
                                        ; implicit-def: $vgpr178
	s_delay_alu instid0(VALU_DEP_3)
	v_cmpx_ne_u32_e64 v181, v182
	s_xor_b32 s13, exec_lo, s13
; %bb.472:                              ;   in Loop: Header=BB2_144 Depth=3
	s_delay_alu instid0(VALU_DEP_2) | instskip(SKIP_2) | instid1(VALU_DEP_2)
	v_cmp_lt_u32_e32 vcc_lo, 0xffffff, v180
	v_sub_nc_u32_e32 v178, v181, v182
	v_cndmask_b32_e64 v181, 0, 1, vcc_lo
	v_add_co_ci_u32_e32 v178, vcc_lo, 0, v178, vcc_lo
	s_delay_alu instid0(VALU_DEP_2)
	v_lshrrev_b32_e32 v180, v181, v180
; %bb.473:                              ;   in Loop: Header=BB2_144 Depth=3
	s_and_not1_saveexec_b32 s13, s13
; %bb.474:                              ;   in Loop: Header=BB2_144 Depth=3
	s_delay_alu instid0(VALU_DEP_1)
	v_bfe_u32 v178, v180, 23, 1
; %bb.475:                              ;   in Loop: Header=BB2_144 Depth=3
	s_or_b32 exec_lo, exec_lo, s13
	v_lshrrev_b32_e32 v180, 21, v180
	s_delay_alu instid0(VALU_DEP_2) | instskip(SKIP_2) | instid1(VALU_DEP_2)
	v_cmp_gt_i32_e32 vcc_lo, 32, v178
	v_lshrrev_b32_e32 v179, 24, v179
	v_min_i32_e32 v181, 31, v178
	v_dual_cndmask_b32 v180, 3, v180 :: v_dual_and_b32 v179, 0x80, v179
	s_delay_alu instid0(VALU_DEP_1) | instskip(SKIP_1) | instid1(VALU_DEP_2)
	v_or_b32_e32 v178, v178, v180
	v_and_b32_e32 v182, 3, v180
	v_cmp_ne_u32_e32 vcc_lo, 0, v178
	v_lshlrev_b32_e32 v181, 2, v181
	s_delay_alu instid0(VALU_DEP_1) | instskip(NEXT) | instid1(VALU_DEP_1)
	v_or3_b32 v179, v181, v179, v182
	v_cndmask_b32_e32 v178, 0, v179, vcc_lo
.LBB2_476:                              ;   in Loop: Header=BB2_144 Depth=3
	s_or_b32 exec_lo, exec_lo, s36
.LBB2_477:                              ;   in Loop: Header=BB2_144 Depth=3
	s_delay_alu instid0(SALU_CYCLE_1) | instskip(SKIP_3) | instid1(VALU_DEP_1)
	s_or_b32 exec_lo, exec_lo, s35
	v_lshrrev_b32_e32 v179, 24, v10
	s_mov_b32 s13, 0
	s_mov_b32 s36, exec_lo
                                        ; implicit-def: $sgpr35
	v_cmpx_lt_i16_e64 0x7f, v179
	s_xor_b32 s36, exec_lo, s36
	s_cbranch_execnz .LBB2_643
; %bb.478:                              ;   in Loop: Header=BB2_144 Depth=3
	s_or_saveexec_b32 s36, s36
	v_mov_b32_e32 v180, s35
	s_xor_b32 exec_lo, exec_lo, s36
	s_cbranch_execnz .LBB2_646
.LBB2_479:                              ;   in Loop: Header=BB2_144 Depth=3
	s_or_b32 exec_lo, exec_lo, s36
	s_and_saveexec_b32 s35, s13
	s_cbranch_execz .LBB2_481
.LBB2_480:                              ;   in Loop: Header=BB2_144 Depth=3
	v_bfe_u32 v180, v10, 24, 2
	s_delay_alu instid0(VALU_DEP_1) | instskip(NEXT) | instid1(VALU_DEP_1)
	v_clz_i32_u32_e32 v181, v180
	v_min_u32_e32 v181, 32, v181
	s_delay_alu instid0(VALU_DEP_1) | instskip(SKIP_1) | instid1(VALU_DEP_2)
	v_subrev_nc_u32_e32 v182, 29, v181
	v_sub_nc_u32_e32 v181, 30, v181
	v_lshlrev_b32_e32 v179, v182, v179
	v_bfe_u32 v182, v10, 26, 5
	v_and_b32_e32 v10, 0x80000000, v10
	s_delay_alu instid0(VALU_DEP_3) | instskip(NEXT) | instid1(VALU_DEP_3)
	v_and_b32_e32 v179, 3, v179
	v_cmp_eq_u32_e32 vcc_lo, 0, v182
	v_cndmask_b32_e32 v181, v182, v181, vcc_lo
	s_delay_alu instid0(VALU_DEP_3) | instskip(NEXT) | instid1(VALU_DEP_2)
	v_cndmask_b32_e32 v179, v180, v179, vcc_lo
	v_lshl_add_u32 v180, v181, 23, 0x37800000
	s_delay_alu instid0(VALU_DEP_2) | instskip(NEXT) | instid1(VALU_DEP_1)
	v_lshlrev_b32_e32 v179, 21, v179
	v_or3_b32 v180, v10, v180, v179
.LBB2_481:                              ;   in Loop: Header=BB2_144 Depth=3
	s_or_b32 exec_lo, exec_lo, s35
	s_delay_alu instid0(VALU_DEP_1) | instskip(NEXT) | instid1(VALU_DEP_1)
	v_mul_f32_e32 v179, s34, v180
	v_and_b32_e32 v10, 0x7f800000, v179
	s_delay_alu instid0(VALU_DEP_1)
	v_cmp_ne_u32_e32 vcc_lo, 0x7f800000, v10
	v_mov_b32_e32 v10, 0x80
	s_and_saveexec_b32 s35, vcc_lo
	s_cbranch_execz .LBB2_489
; %bb.482:                              ;   in Loop: Header=BB2_144 Depth=3
	v_mov_b32_e32 v10, 0
	s_mov_b32 s36, exec_lo
	v_cmpx_ne_u32_e32 0, v179
	s_cbranch_execz .LBB2_488
; %bb.483:                              ;   in Loop: Header=BB2_144 Depth=3
	v_bfe_u32 v10, v179, 23, 8
	s_delay_alu instid0(VALU_DEP_1) | instskip(SKIP_1) | instid1(VALU_DEP_2)
	v_sub_nc_u32_e32 v181, 0x70, v10
	v_cmp_gt_u32_e32 vcc_lo, 0x71, v10
	v_dual_cndmask_b32 v181, 0, v181 :: v_dual_and_b32 v180, 0x7fffff, v179
	s_delay_alu instid0(VALU_DEP_1) | instskip(SKIP_2) | instid1(VALU_DEP_4)
	v_or_b32_e32 v182, 0x800000, v180
	v_cmp_eq_u32_e32 vcc_lo, 0, v10
	v_add_nc_u32_e32 v10, 0xffffff91, v10
	v_cndmask_b32_e64 v181, v181, 0x6f, vcc_lo
	s_delay_alu instid0(VALU_DEP_2) | instskip(SKIP_1) | instid1(VALU_DEP_3)
	v_cndmask_b32_e64 v10, v10, 0xffffff92, vcc_lo
	v_cndmask_b32_e32 v180, v182, v180, vcc_lo
	v_lshl_add_u32 v182, 0x200000, v181, -1
	v_lshlrev_b32_e64 v41, v181, 0x100000
	s_delay_alu instid0(VALU_DEP_3) | instskip(SKIP_1) | instid1(VALU_DEP_4)
	v_lshrrev_b32_e32 v183, v181, v180
	v_add_nc_u32_e32 v181, v181, v10
	v_and_b32_e32 v180, v182, v180
	s_delay_alu instid0(VALU_DEP_3) | instskip(NEXT) | instid1(VALU_DEP_2)
	v_bfe_u32 v40, v183, 21, 1
	v_cmp_eq_u32_e64 s13, v180, v41
	s_delay_alu instid0(VALU_DEP_2) | instskip(NEXT) | instid1(VALU_DEP_1)
	v_add_nc_u32_e32 v182, -1, v40
	v_cndmask_b32_e64 v180, 0, v182, s13
	v_lshrrev_b32_e32 v182, 23, v183
	s_mov_b32 s13, exec_lo
	s_delay_alu instid0(VALU_DEP_2) | instskip(NEXT) | instid1(VALU_DEP_2)
	v_add_nc_u32_e32 v180, v180, v183
	v_xor_b32_e32 v182, 1, v182
	s_delay_alu instid0(VALU_DEP_2) | instskip(NEXT) | instid1(VALU_DEP_1)
	v_and_b32_e32 v10, 0x1fffff, v180
	v_add_nc_u32_e32 v180, v10, v183
                                        ; implicit-def: $vgpr10
	s_delay_alu instid0(VALU_DEP_3)
	v_cmpx_ne_u32_e64 v181, v182
	s_xor_b32 s13, exec_lo, s13
; %bb.484:                              ;   in Loop: Header=BB2_144 Depth=3
	s_delay_alu instid0(VALU_DEP_2) | instskip(SKIP_2) | instid1(VALU_DEP_2)
	v_cmp_lt_u32_e32 vcc_lo, 0xffffff, v180
	v_sub_nc_u32_e32 v10, v181, v182
	v_cndmask_b32_e64 v181, 0, 1, vcc_lo
	v_add_co_ci_u32_e32 v10, vcc_lo, 0, v10, vcc_lo
	s_delay_alu instid0(VALU_DEP_2)
	v_lshrrev_b32_e32 v180, v181, v180
; %bb.485:                              ;   in Loop: Header=BB2_144 Depth=3
	s_and_not1_saveexec_b32 s13, s13
; %bb.486:                              ;   in Loop: Header=BB2_144 Depth=3
	s_delay_alu instid0(VALU_DEP_1)
	v_bfe_u32 v10, v180, 23, 1
; %bb.487:                              ;   in Loop: Header=BB2_144 Depth=3
	s_or_b32 exec_lo, exec_lo, s13
	v_lshrrev_b32_e32 v180, 21, v180
	s_delay_alu instid0(VALU_DEP_2) | instskip(SKIP_2) | instid1(VALU_DEP_2)
	v_cmp_gt_i32_e32 vcc_lo, 32, v10
	v_lshrrev_b32_e32 v179, 24, v179
	v_min_i32_e32 v181, 31, v10
	v_dual_cndmask_b32 v180, 3, v180 :: v_dual_and_b32 v179, 0x80, v179
	s_delay_alu instid0(VALU_DEP_1) | instskip(SKIP_1) | instid1(VALU_DEP_2)
	v_or_b32_e32 v10, v10, v180
	v_and_b32_e32 v182, 3, v180
	v_cmp_ne_u32_e32 vcc_lo, 0, v10
	v_lshlrev_b32_e32 v181, 2, v181
	s_delay_alu instid0(VALU_DEP_1) | instskip(NEXT) | instid1(VALU_DEP_1)
	v_or3_b32 v179, v181, v179, v182
	v_cndmask_b32_e32 v10, 0, v179, vcc_lo
.LBB2_488:                              ;   in Loop: Header=BB2_144 Depth=3
	s_or_b32 exec_lo, exec_lo, s36
.LBB2_489:                              ;   in Loop: Header=BB2_144 Depth=3
	s_delay_alu instid0(SALU_CYCLE_1) | instskip(SKIP_3) | instid1(VALU_DEP_1)
	s_or_b32 exec_lo, exec_lo, s35
	v_and_b32_e32 v180, 0xff, v11
	s_mov_b32 s13, 0
	s_mov_b32 s36, exec_lo
                                        ; implicit-def: $sgpr35
	v_cmpx_lt_i16_e64 0x7f, v180
	s_xor_b32 s36, exec_lo, s36
	s_cbranch_execnz .LBB2_647
; %bb.490:                              ;   in Loop: Header=BB2_144 Depth=3
	s_or_saveexec_b32 s36, s36
	v_mov_b32_e32 v179, s35
	s_xor_b32 exec_lo, exec_lo, s36
	s_cbranch_execnz .LBB2_650
.LBB2_491:                              ;   in Loop: Header=BB2_144 Depth=3
	s_or_b32 exec_lo, exec_lo, s36
	s_and_saveexec_b32 s35, s13
	s_cbranch_execz .LBB2_493
.LBB2_492:                              ;   in Loop: Header=BB2_144 Depth=3
	v_bfe_u32 v182, v11, 2, 5
	v_lshlrev_b32_e32 v183, 24, v11
	s_delay_alu instid0(VALU_DEP_2) | instskip(SKIP_1) | instid1(VALU_DEP_1)
	v_cmp_eq_u32_e32 vcc_lo, 0, v182
	v_and_b32_e32 v179, 3, v11
	v_clz_i32_u32_e32 v180, v179
	s_delay_alu instid0(VALU_DEP_1) | instskip(NEXT) | instid1(VALU_DEP_1)
	v_min_u32_e32 v180, 32, v180
	v_subrev_nc_u32_e32 v181, 29, v180
	v_sub_nc_u32_e32 v180, 30, v180
	s_delay_alu instid0(VALU_DEP_1) | instskip(NEXT) | instid1(VALU_DEP_1)
	v_dual_cndmask_b32 v180, v182, v180 :: v_dual_lshlrev_b32 v181, v181, v11
	v_and_b32_e32 v181, 3, v181
	s_delay_alu instid0(VALU_DEP_2) | instskip(NEXT) | instid1(VALU_DEP_2)
	v_lshl_add_u32 v180, v180, 23, 0x37800000
	v_cndmask_b32_e32 v179, v179, v181, vcc_lo
	v_and_b32_e32 v181, 0x80000000, v183
	s_delay_alu instid0(VALU_DEP_2) | instskip(NEXT) | instid1(VALU_DEP_1)
	v_lshlrev_b32_e32 v179, 21, v179
	v_or3_b32 v179, v181, v180, v179
.LBB2_493:                              ;   in Loop: Header=BB2_144 Depth=3
	s_or_b32 exec_lo, exec_lo, s35
	s_delay_alu instid0(VALU_DEP_1) | instskip(NEXT) | instid1(VALU_DEP_1)
	v_mul_f32_e32 v180, s34, v179
	v_and_b32_e32 v179, 0x7f800000, v180
	s_delay_alu instid0(VALU_DEP_1)
	v_cmp_ne_u32_e32 vcc_lo, 0x7f800000, v179
	v_mov_b32_e32 v179, 0x80
	s_and_saveexec_b32 s35, vcc_lo
	s_cbranch_execz .LBB2_501
; %bb.494:                              ;   in Loop: Header=BB2_144 Depth=3
	v_mov_b32_e32 v179, 0
	s_mov_b32 s36, exec_lo
	v_cmpx_ne_u32_e32 0, v180
	s_cbranch_execz .LBB2_500
; %bb.495:                              ;   in Loop: Header=BB2_144 Depth=3
	v_bfe_u32 v179, v180, 23, 8
	s_delay_alu instid0(VALU_DEP_1) | instskip(SKIP_1) | instid1(VALU_DEP_2)
	v_sub_nc_u32_e32 v182, 0x70, v179
	v_cmp_gt_u32_e32 vcc_lo, 0x71, v179
	v_dual_cndmask_b32 v182, 0, v182 :: v_dual_and_b32 v181, 0x7fffff, v180
	s_delay_alu instid0(VALU_DEP_1) | instskip(SKIP_2) | instid1(VALU_DEP_4)
	v_or_b32_e32 v183, 0x800000, v181
	v_cmp_eq_u32_e32 vcc_lo, 0, v179
	v_add_nc_u32_e32 v179, 0xffffff91, v179
	v_cndmask_b32_e64 v182, v182, 0x6f, vcc_lo
	s_delay_alu instid0(VALU_DEP_2) | instskip(SKIP_1) | instid1(VALU_DEP_3)
	v_cndmask_b32_e64 v179, v179, 0xffffff92, vcc_lo
	v_cndmask_b32_e32 v181, v183, v181, vcc_lo
	v_lshl_add_u32 v183, 0x200000, v182, -1
	v_lshlrev_b32_e64 v42, v182, 0x100000
	s_delay_alu instid0(VALU_DEP_3) | instskip(SKIP_1) | instid1(VALU_DEP_4)
	v_lshrrev_b32_e32 v40, v182, v181
	v_add_nc_u32_e32 v182, v182, v179
	v_and_b32_e32 v181, v183, v181
	s_delay_alu instid0(VALU_DEP_3) | instskip(NEXT) | instid1(VALU_DEP_2)
	v_bfe_u32 v41, v40, 21, 1
	v_cmp_eq_u32_e64 s13, v181, v42
	s_delay_alu instid0(VALU_DEP_2) | instskip(NEXT) | instid1(VALU_DEP_1)
	v_add_nc_u32_e32 v183, -1, v41
	v_cndmask_b32_e64 v181, 0, v183, s13
	v_lshrrev_b32_e32 v183, 23, v40
	s_mov_b32 s13, exec_lo
	s_delay_alu instid0(VALU_DEP_2) | instskip(NEXT) | instid1(VALU_DEP_2)
	v_add_nc_u32_e32 v181, v181, v40
	v_xor_b32_e32 v183, 1, v183
	s_delay_alu instid0(VALU_DEP_2) | instskip(NEXT) | instid1(VALU_DEP_1)
	v_and_b32_e32 v179, 0x1fffff, v181
	v_add_nc_u32_e32 v181, v179, v40
                                        ; implicit-def: $vgpr179
	s_delay_alu instid0(VALU_DEP_3)
	v_cmpx_ne_u32_e64 v182, v183
	s_xor_b32 s13, exec_lo, s13
; %bb.496:                              ;   in Loop: Header=BB2_144 Depth=3
	s_delay_alu instid0(VALU_DEP_2) | instskip(SKIP_2) | instid1(VALU_DEP_2)
	v_cmp_lt_u32_e32 vcc_lo, 0xffffff, v181
	v_sub_nc_u32_e32 v179, v182, v183
	v_cndmask_b32_e64 v182, 0, 1, vcc_lo
	v_add_co_ci_u32_e32 v179, vcc_lo, 0, v179, vcc_lo
	s_delay_alu instid0(VALU_DEP_2)
	v_lshrrev_b32_e32 v181, v182, v181
; %bb.497:                              ;   in Loop: Header=BB2_144 Depth=3
	s_and_not1_saveexec_b32 s13, s13
; %bb.498:                              ;   in Loop: Header=BB2_144 Depth=3
	s_delay_alu instid0(VALU_DEP_1)
	v_bfe_u32 v179, v181, 23, 1
; %bb.499:                              ;   in Loop: Header=BB2_144 Depth=3
	s_or_b32 exec_lo, exec_lo, s13
	v_lshrrev_b32_e32 v181, 21, v181
	s_delay_alu instid0(VALU_DEP_2) | instskip(SKIP_2) | instid1(VALU_DEP_2)
	v_cmp_gt_i32_e32 vcc_lo, 32, v179
	v_min_i32_e32 v182, 31, v179
	v_lshrrev_b32_e32 v180, 24, v180
	v_dual_cndmask_b32 v181, 3, v181 :: v_dual_lshlrev_b32 v182, 2, v182
	s_delay_alu instid0(VALU_DEP_2) | instskip(NEXT) | instid1(VALU_DEP_2)
	v_and_b32_e32 v180, 0x80, v180
	v_or_b32_e32 v179, v179, v181
	v_and_b32_e32 v183, 3, v181
	s_delay_alu instid0(VALU_DEP_2) | instskip(SKIP_1) | instid1(VALU_DEP_1)
	v_cmp_ne_u32_e32 vcc_lo, 0, v179
	v_and_b32_e32 v182, 0xfc, v182
	v_or3_b32 v180, v182, v180, v183
	s_delay_alu instid0(VALU_DEP_1)
	v_cndmask_b32_e32 v179, 0, v180, vcc_lo
.LBB2_500:                              ;   in Loop: Header=BB2_144 Depth=3
	s_or_b32 exec_lo, exec_lo, s36
.LBB2_501:                              ;   in Loop: Header=BB2_144 Depth=3
	s_delay_alu instid0(SALU_CYCLE_1) | instskip(SKIP_3) | instid1(VALU_DEP_1)
	s_or_b32 exec_lo, exec_lo, s35
	v_lshrrev_b16 v180, 8, v11
	s_mov_b32 s13, 0
	s_mov_b32 s36, exec_lo
                                        ; implicit-def: $sgpr35
	v_cmpx_lt_i16_e64 0x7f, v180
	s_xor_b32 s36, exec_lo, s36
	s_cbranch_execnz .LBB2_651
; %bb.502:                              ;   in Loop: Header=BB2_144 Depth=3
	s_or_saveexec_b32 s36, s36
	v_mov_b32_e32 v181, s35
	s_xor_b32 exec_lo, exec_lo, s36
	s_cbranch_execnz .LBB2_654
.LBB2_503:                              ;   in Loop: Header=BB2_144 Depth=3
	s_or_b32 exec_lo, exec_lo, s36
	s_and_saveexec_b32 s35, s13
	s_cbranch_execz .LBB2_505
.LBB2_504:                              ;   in Loop: Header=BB2_144 Depth=3
	v_and_b32_e32 v181, 0xffff, v180
	v_lshlrev_b32_e32 v180, 24, v180
	s_delay_alu instid0(VALU_DEP_2) | instskip(NEXT) | instid1(VALU_DEP_2)
	v_and_b32_e32 v182, 3, v181
	v_and_b32_e32 v180, 0x80000000, v180
	s_delay_alu instid0(VALU_DEP_2) | instskip(NEXT) | instid1(VALU_DEP_1)
	v_clz_i32_u32_e32 v183, v182
	v_min_u32_e32 v183, 32, v183
	s_delay_alu instid0(VALU_DEP_1) | instskip(SKIP_1) | instid1(VALU_DEP_2)
	v_subrev_nc_u32_e32 v40, 29, v183
	v_sub_nc_u32_e32 v183, 30, v183
	v_lshlrev_b32_e32 v40, v40, v181
	v_bfe_u32 v181, v181, 2, 5
	s_delay_alu instid0(VALU_DEP_2) | instskip(NEXT) | instid1(VALU_DEP_2)
	v_and_b32_e32 v40, 3, v40
	v_cmp_eq_u32_e32 vcc_lo, 0, v181
	s_delay_alu instid0(VALU_DEP_2) | instskip(NEXT) | instid1(VALU_DEP_1)
	v_dual_cndmask_b32 v181, v181, v183 :: v_dual_cndmask_b32 v182, v182, v40
	v_lshl_add_u32 v181, v181, 23, 0x37800000
	s_delay_alu instid0(VALU_DEP_2) | instskip(NEXT) | instid1(VALU_DEP_1)
	v_lshlrev_b32_e32 v182, 21, v182
	v_or3_b32 v181, v180, v181, v182
.LBB2_505:                              ;   in Loop: Header=BB2_144 Depth=3
	s_or_b32 exec_lo, exec_lo, s35
	s_delay_alu instid0(VALU_DEP_1) | instskip(NEXT) | instid1(VALU_DEP_1)
	v_mul_f32_e32 v181, s34, v181
	v_and_b32_e32 v180, 0x7f800000, v181
	s_delay_alu instid0(VALU_DEP_1)
	v_cmp_ne_u32_e32 vcc_lo, 0x7f800000, v180
	v_mov_b32_e32 v180, 0x8000
	s_and_saveexec_b32 s35, vcc_lo
	s_cbranch_execz .LBB2_513
; %bb.506:                              ;   in Loop: Header=BB2_144 Depth=3
	v_mov_b32_e32 v180, 0
	s_mov_b32 s36, exec_lo
	v_cmpx_ne_u32_e32 0, v181
	s_cbranch_execz .LBB2_512
; %bb.507:                              ;   in Loop: Header=BB2_144 Depth=3
	v_bfe_u32 v180, v181, 23, 8
	s_delay_alu instid0(VALU_DEP_1) | instskip(SKIP_1) | instid1(VALU_DEP_2)
	v_sub_nc_u32_e32 v183, 0x70, v180
	v_cmp_gt_u32_e32 vcc_lo, 0x71, v180
	v_dual_cndmask_b32 v183, 0, v183 :: v_dual_and_b32 v182, 0x7fffff, v181
	s_delay_alu instid0(VALU_DEP_1) | instskip(SKIP_2) | instid1(VALU_DEP_4)
	v_or_b32_e32 v40, 0x800000, v182
	v_cmp_eq_u32_e32 vcc_lo, 0, v180
	v_add_nc_u32_e32 v180, 0xffffff91, v180
	v_cndmask_b32_e64 v183, v183, 0x6f, vcc_lo
	s_delay_alu instid0(VALU_DEP_2) | instskip(SKIP_1) | instid1(VALU_DEP_3)
	v_cndmask_b32_e64 v180, v180, 0xffffff92, vcc_lo
	v_cndmask_b32_e32 v182, v40, v182, vcc_lo
	v_lshl_add_u32 v40, 0x200000, v183, -1
	v_lshlrev_b32_e64 v43, v183, 0x100000
	s_delay_alu instid0(VALU_DEP_3) | instskip(SKIP_1) | instid1(VALU_DEP_4)
	v_lshrrev_b32_e32 v41, v183, v182
	v_add_nc_u32_e32 v183, v183, v180
	v_and_b32_e32 v182, v40, v182
	s_delay_alu instid0(VALU_DEP_3) | instskip(NEXT) | instid1(VALU_DEP_2)
	v_bfe_u32 v42, v41, 21, 1
	v_cmp_eq_u32_e64 s13, v182, v43
	s_delay_alu instid0(VALU_DEP_2) | instskip(NEXT) | instid1(VALU_DEP_1)
	v_add_nc_u32_e32 v40, -1, v42
	v_cndmask_b32_e64 v182, 0, v40, s13
	v_lshrrev_b32_e32 v40, 23, v41
	s_mov_b32 s13, exec_lo
	s_delay_alu instid0(VALU_DEP_2) | instskip(NEXT) | instid1(VALU_DEP_2)
	v_add_nc_u32_e32 v182, v182, v41
	v_xor_b32_e32 v40, 1, v40
	s_delay_alu instid0(VALU_DEP_2) | instskip(NEXT) | instid1(VALU_DEP_1)
	v_and_b32_e32 v180, 0x1fffff, v182
	v_add_nc_u32_e32 v182, v180, v41
                                        ; implicit-def: $vgpr180
	s_delay_alu instid0(VALU_DEP_3)
	v_cmpx_ne_u32_e64 v183, v40
	s_xor_b32 s13, exec_lo, s13
; %bb.508:                              ;   in Loop: Header=BB2_144 Depth=3
	s_delay_alu instid0(VALU_DEP_2) | instskip(SKIP_2) | instid1(VALU_DEP_2)
	v_cmp_lt_u32_e32 vcc_lo, 0xffffff, v182
	v_sub_nc_u32_e32 v180, v183, v40
	v_cndmask_b32_e64 v183, 0, 1, vcc_lo
	v_add_co_ci_u32_e32 v180, vcc_lo, 0, v180, vcc_lo
	s_delay_alu instid0(VALU_DEP_2)
	v_lshrrev_b32_e32 v182, v183, v182
; %bb.509:                              ;   in Loop: Header=BB2_144 Depth=3
	s_and_not1_saveexec_b32 s13, s13
; %bb.510:                              ;   in Loop: Header=BB2_144 Depth=3
	s_delay_alu instid0(VALU_DEP_1)
	v_bfe_u32 v180, v182, 23, 1
; %bb.511:                              ;   in Loop: Header=BB2_144 Depth=3
	s_or_b32 exec_lo, exec_lo, s13
	v_lshrrev_b32_e32 v182, 21, v182
	s_delay_alu instid0(VALU_DEP_2) | instskip(SKIP_2) | instid1(VALU_DEP_2)
	v_cmp_gt_i32_e32 vcc_lo, 32, v180
	v_min_i32_e32 v183, 31, v180
	v_lshrrev_b32_e32 v181, 24, v181
	v_dual_cndmask_b32 v182, 3, v182 :: v_dual_lshlrev_b32 v183, 2, v183
	s_delay_alu instid0(VALU_DEP_2) | instskip(NEXT) | instid1(VALU_DEP_2)
	v_and_b32_e32 v181, 0x80, v181
	v_or_b32_e32 v180, v180, v182
	v_and_b32_e32 v40, 3, v182
	s_delay_alu instid0(VALU_DEP_2) | instskip(SKIP_1) | instid1(VALU_DEP_1)
	v_cmp_ne_u32_e32 vcc_lo, 0, v180
	v_and_b32_e32 v183, 0xfc, v183
	v_or3_b32 v181, v181, v183, v40
	s_delay_alu instid0(VALU_DEP_1) | instskip(NEXT) | instid1(VALU_DEP_1)
	v_lshlrev_b32_e32 v181, 8, v181
	v_cndmask_b32_e32 v180, 0, v181, vcc_lo
.LBB2_512:                              ;   in Loop: Header=BB2_144 Depth=3
	s_or_b32 exec_lo, exec_lo, s36
.LBB2_513:                              ;   in Loop: Header=BB2_144 Depth=3
	s_delay_alu instid0(SALU_CYCLE_1) | instskip(SKIP_3) | instid1(VALU_DEP_1)
	s_or_b32 exec_lo, exec_lo, s35
	v_lshrrev_b32_e32 v181, 16, v11
	s_mov_b32 s13, 0
	s_mov_b32 s36, exec_lo
                                        ; implicit-def: $sgpr35
	v_and_b32_e32 v183, 0xff, v181
	s_delay_alu instid0(VALU_DEP_1)
	v_cmpx_lt_i16_e64 0x7f, v183
	s_xor_b32 s36, exec_lo, s36
	s_cbranch_execnz .LBB2_655
; %bb.514:                              ;   in Loop: Header=BB2_144 Depth=3
	s_or_saveexec_b32 s36, s36
	v_mov_b32_e32 v182, s35
	s_xor_b32 exec_lo, exec_lo, s36
	s_cbranch_execnz .LBB2_658
.LBB2_515:                              ;   in Loop: Header=BB2_144 Depth=3
	s_or_b32 exec_lo, exec_lo, s36
	s_and_saveexec_b32 s35, s13
	s_cbranch_execz .LBB2_517
.LBB2_516:                              ;   in Loop: Header=BB2_144 Depth=3
	v_bfe_u32 v182, v11, 16, 2
	v_lshlrev_b32_e32 v41, 8, v11
	s_delay_alu instid0(VALU_DEP_2) | instskip(NEXT) | instid1(VALU_DEP_1)
	v_clz_i32_u32_e32 v183, v182
	v_min_u32_e32 v183, 32, v183
	s_delay_alu instid0(VALU_DEP_1) | instskip(SKIP_1) | instid1(VALU_DEP_2)
	v_subrev_nc_u32_e32 v40, 29, v183
	v_sub_nc_u32_e32 v183, 30, v183
	v_lshlrev_b32_e32 v181, v40, v181
	v_bfe_u32 v40, v11, 18, 5
	s_delay_alu instid0(VALU_DEP_2) | instskip(NEXT) | instid1(VALU_DEP_2)
	v_and_b32_e32 v181, 3, v181
	v_cmp_eq_u32_e32 vcc_lo, 0, v40
	v_cndmask_b32_e32 v183, v40, v183, vcc_lo
	s_delay_alu instid0(VALU_DEP_3) | instskip(SKIP_1) | instid1(VALU_DEP_3)
	v_cndmask_b32_e32 v181, v182, v181, vcc_lo
	v_and_b32_e32 v182, 0x80000000, v41
	v_lshl_add_u32 v183, v183, 23, 0x37800000
	s_delay_alu instid0(VALU_DEP_3) | instskip(NEXT) | instid1(VALU_DEP_1)
	v_lshlrev_b32_e32 v181, 21, v181
	v_or3_b32 v182, v182, v183, v181
.LBB2_517:                              ;   in Loop: Header=BB2_144 Depth=3
	s_or_b32 exec_lo, exec_lo, s35
	s_delay_alu instid0(VALU_DEP_1) | instskip(NEXT) | instid1(VALU_DEP_1)
	v_mul_f32_e32 v182, s34, v182
	v_and_b32_e32 v181, 0x7f800000, v182
	s_delay_alu instid0(VALU_DEP_1)
	v_cmp_ne_u32_e32 vcc_lo, 0x7f800000, v181
	v_mov_b32_e32 v181, 0x80
	s_and_saveexec_b32 s35, vcc_lo
	s_cbranch_execz .LBB2_525
; %bb.518:                              ;   in Loop: Header=BB2_144 Depth=3
	v_mov_b32_e32 v181, 0
	s_mov_b32 s36, exec_lo
	v_cmpx_ne_u32_e32 0, v182
	s_cbranch_execz .LBB2_524
; %bb.519:                              ;   in Loop: Header=BB2_144 Depth=3
	v_bfe_u32 v181, v182, 23, 8
	s_delay_alu instid0(VALU_DEP_1) | instskip(SKIP_1) | instid1(VALU_DEP_2)
	v_sub_nc_u32_e32 v40, 0x70, v181
	v_cmp_gt_u32_e32 vcc_lo, 0x71, v181
	v_dual_cndmask_b32 v40, 0, v40 :: v_dual_and_b32 v183, 0x7fffff, v182
	s_delay_alu instid0(VALU_DEP_1) | instskip(SKIP_2) | instid1(VALU_DEP_4)
	v_or_b32_e32 v41, 0x800000, v183
	v_cmp_eq_u32_e32 vcc_lo, 0, v181
	v_add_nc_u32_e32 v181, 0xffffff91, v181
	v_cndmask_b32_e64 v40, v40, 0x6f, vcc_lo
	s_delay_alu instid0(VALU_DEP_2) | instskip(SKIP_1) | instid1(VALU_DEP_3)
	v_cndmask_b32_e64 v181, v181, 0xffffff92, vcc_lo
	v_cndmask_b32_e32 v183, v41, v183, vcc_lo
	v_lshl_add_u32 v41, 0x200000, v40, -1
	v_lshlrev_b32_e64 v44, v40, 0x100000
	s_delay_alu instid0(VALU_DEP_3) | instskip(SKIP_1) | instid1(VALU_DEP_4)
	v_lshrrev_b32_e32 v42, v40, v183
	v_add_nc_u32_e32 v40, v40, v181
	v_and_b32_e32 v183, v41, v183
	s_delay_alu instid0(VALU_DEP_3) | instskip(NEXT) | instid1(VALU_DEP_2)
	v_bfe_u32 v43, v42, 21, 1
	v_cmp_eq_u32_e64 s13, v183, v44
	s_delay_alu instid0(VALU_DEP_2) | instskip(NEXT) | instid1(VALU_DEP_1)
	v_add_nc_u32_e32 v41, -1, v43
	v_cndmask_b32_e64 v183, 0, v41, s13
	v_lshrrev_b32_e32 v41, 23, v42
	s_mov_b32 s13, exec_lo
	s_delay_alu instid0(VALU_DEP_2) | instskip(NEXT) | instid1(VALU_DEP_2)
	v_add_nc_u32_e32 v183, v183, v42
	v_xor_b32_e32 v41, 1, v41
	s_delay_alu instid0(VALU_DEP_2) | instskip(NEXT) | instid1(VALU_DEP_1)
	v_and_b32_e32 v181, 0x1fffff, v183
	v_add_nc_u32_e32 v183, v181, v42
                                        ; implicit-def: $vgpr181
	s_delay_alu instid0(VALU_DEP_3)
	v_cmpx_ne_u32_e64 v40, v41
	s_xor_b32 s13, exec_lo, s13
; %bb.520:                              ;   in Loop: Header=BB2_144 Depth=3
	s_delay_alu instid0(VALU_DEP_2) | instskip(SKIP_2) | instid1(VALU_DEP_2)
	v_cmp_lt_u32_e32 vcc_lo, 0xffffff, v183
	v_sub_nc_u32_e32 v181, v40, v41
	v_cndmask_b32_e64 v40, 0, 1, vcc_lo
	v_add_co_ci_u32_e32 v181, vcc_lo, 0, v181, vcc_lo
	s_delay_alu instid0(VALU_DEP_2)
	v_lshrrev_b32_e32 v183, v40, v183
; %bb.521:                              ;   in Loop: Header=BB2_144 Depth=3
	s_and_not1_saveexec_b32 s13, s13
; %bb.522:                              ;   in Loop: Header=BB2_144 Depth=3
	s_delay_alu instid0(VALU_DEP_1)
	v_bfe_u32 v181, v183, 23, 1
; %bb.523:                              ;   in Loop: Header=BB2_144 Depth=3
	s_or_b32 exec_lo, exec_lo, s13
	v_lshrrev_b32_e32 v183, 21, v183
	s_delay_alu instid0(VALU_DEP_2) | instskip(SKIP_2) | instid1(VALU_DEP_2)
	v_cmp_gt_i32_e32 vcc_lo, 32, v181
	v_min_i32_e32 v40, 31, v181
	v_lshrrev_b32_e32 v182, 24, v182
	v_dual_cndmask_b32 v183, 3, v183 :: v_dual_lshlrev_b32 v40, 2, v40
	s_delay_alu instid0(VALU_DEP_2) | instskip(NEXT) | instid1(VALU_DEP_2)
	v_and_b32_e32 v182, 0x80, v182
	v_or_b32_e32 v181, v181, v183
	v_and_b32_e32 v41, 3, v183
	s_delay_alu instid0(VALU_DEP_2) | instskip(SKIP_1) | instid1(VALU_DEP_1)
	v_cmp_ne_u32_e32 vcc_lo, 0, v181
	v_and_b32_e32 v40, 0xfc, v40
	v_or3_b32 v182, v40, v182, v41
	s_delay_alu instid0(VALU_DEP_1)
	v_cndmask_b32_e32 v181, 0, v182, vcc_lo
.LBB2_524:                              ;   in Loop: Header=BB2_144 Depth=3
	s_or_b32 exec_lo, exec_lo, s36
.LBB2_525:                              ;   in Loop: Header=BB2_144 Depth=3
	s_delay_alu instid0(SALU_CYCLE_1) | instskip(SKIP_3) | instid1(VALU_DEP_1)
	s_or_b32 exec_lo, exec_lo, s35
	v_lshrrev_b32_e32 v182, 24, v11
	s_mov_b32 s13, 0
	s_mov_b32 s36, exec_lo
                                        ; implicit-def: $sgpr35
	v_cmpx_lt_i16_e64 0x7f, v182
	s_xor_b32 s36, exec_lo, s36
	s_cbranch_execnz .LBB2_659
; %bb.526:                              ;   in Loop: Header=BB2_144 Depth=3
	s_or_saveexec_b32 s36, s36
	v_mov_b32_e32 v183, s35
	s_xor_b32 exec_lo, exec_lo, s36
	s_cbranch_execnz .LBB2_662
.LBB2_527:                              ;   in Loop: Header=BB2_144 Depth=3
	s_or_b32 exec_lo, exec_lo, s36
	s_and_saveexec_b32 s35, s13
	s_cbranch_execz .LBB2_529
.LBB2_528:                              ;   in Loop: Header=BB2_144 Depth=3
	v_bfe_u32 v183, v11, 24, 2
	s_delay_alu instid0(VALU_DEP_1) | instskip(NEXT) | instid1(VALU_DEP_1)
	v_clz_i32_u32_e32 v40, v183
	v_min_u32_e32 v40, 32, v40
	s_delay_alu instid0(VALU_DEP_1) | instskip(SKIP_1) | instid1(VALU_DEP_2)
	v_subrev_nc_u32_e32 v41, 29, v40
	v_sub_nc_u32_e32 v40, 30, v40
	v_lshlrev_b32_e32 v182, v41, v182
	v_bfe_u32 v41, v11, 26, 5
	v_and_b32_e32 v11, 0x80000000, v11
	s_delay_alu instid0(VALU_DEP_3) | instskip(NEXT) | instid1(VALU_DEP_3)
	v_and_b32_e32 v182, 3, v182
	v_cmp_eq_u32_e32 vcc_lo, 0, v41
	v_cndmask_b32_e32 v40, v41, v40, vcc_lo
	s_delay_alu instid0(VALU_DEP_3) | instskip(NEXT) | instid1(VALU_DEP_2)
	v_cndmask_b32_e32 v182, v183, v182, vcc_lo
	v_lshl_add_u32 v183, v40, 23, 0x37800000
	s_delay_alu instid0(VALU_DEP_2) | instskip(NEXT) | instid1(VALU_DEP_1)
	v_lshlrev_b32_e32 v182, 21, v182
	v_or3_b32 v183, v11, v183, v182
.LBB2_529:                              ;   in Loop: Header=BB2_144 Depth=3
	s_or_b32 exec_lo, exec_lo, s35
	s_delay_alu instid0(VALU_DEP_1) | instskip(NEXT) | instid1(VALU_DEP_1)
	v_mul_f32_e32 v11, s34, v183
	v_and_b32_e32 v182, 0x7f800000, v11
	s_delay_alu instid0(VALU_DEP_1)
	v_cmp_ne_u32_e32 vcc_lo, 0x7f800000, v182
	v_mov_b32_e32 v182, 0x8000
	s_and_saveexec_b32 s34, vcc_lo
	s_cbranch_execz .LBB2_143
; %bb.530:                              ;   in Loop: Header=BB2_144 Depth=3
	v_mov_b32_e32 v182, 0
	s_mov_b32 s35, exec_lo
	v_cmpx_ne_u32_e32 0, v11
	s_cbranch_execz .LBB2_142
; %bb.531:                              ;   in Loop: Header=BB2_144 Depth=3
	v_bfe_u32 v182, v11, 23, 8
	s_delay_alu instid0(VALU_DEP_1) | instskip(SKIP_1) | instid1(VALU_DEP_2)
	v_sub_nc_u32_e32 v40, 0x70, v182
	v_cmp_gt_u32_e32 vcc_lo, 0x71, v182
	v_dual_cndmask_b32 v40, 0, v40 :: v_dual_and_b32 v183, 0x7fffff, v11
	s_delay_alu instid0(VALU_DEP_1) | instskip(SKIP_2) | instid1(VALU_DEP_4)
	v_or_b32_e32 v41, 0x800000, v183
	v_cmp_eq_u32_e32 vcc_lo, 0, v182
	v_add_nc_u32_e32 v182, 0xffffff91, v182
	v_cndmask_b32_e64 v40, v40, 0x6f, vcc_lo
	s_delay_alu instid0(VALU_DEP_4) | instskip(NEXT) | instid1(VALU_DEP_3)
	v_cndmask_b32_e32 v183, v41, v183, vcc_lo
	v_cndmask_b32_e64 v182, v182, 0xffffff92, vcc_lo
	s_delay_alu instid0(VALU_DEP_3) | instskip(NEXT) | instid1(VALU_DEP_3)
	v_lshl_add_u32 v41, 0x200000, v40, -1
	v_lshrrev_b32_e32 v42, v40, v183
	v_lshlrev_b32_e64 v44, v40, 0x100000
	s_delay_alu instid0(VALU_DEP_4) | instskip(NEXT) | instid1(VALU_DEP_4)
	v_add_nc_u32_e32 v40, v40, v182
	v_and_b32_e32 v183, v41, v183
	s_delay_alu instid0(VALU_DEP_4) | instskip(NEXT) | instid1(VALU_DEP_2)
	v_bfe_u32 v43, v42, 21, 1
	v_cmp_eq_u32_e64 s13, v183, v44
	s_delay_alu instid0(VALU_DEP_2) | instskip(NEXT) | instid1(VALU_DEP_1)
	v_add_nc_u32_e32 v41, -1, v43
	v_cndmask_b32_e64 v183, 0, v41, s13
	v_lshrrev_b32_e32 v41, 23, v42
	s_mov_b32 s13, exec_lo
	s_delay_alu instid0(VALU_DEP_2) | instskip(NEXT) | instid1(VALU_DEP_2)
	v_add_nc_u32_e32 v183, v183, v42
	v_xor_b32_e32 v41, 1, v41
	s_delay_alu instid0(VALU_DEP_2) | instskip(NEXT) | instid1(VALU_DEP_1)
	v_and_b32_e32 v182, 0x1fffff, v183
	v_add_nc_u32_e32 v183, v182, v42
                                        ; implicit-def: $vgpr182
	s_delay_alu instid0(VALU_DEP_3)
	v_cmpx_ne_u32_e64 v40, v41
	s_xor_b32 s13, exec_lo, s13
; %bb.532:                              ;   in Loop: Header=BB2_144 Depth=3
	s_delay_alu instid0(VALU_DEP_2) | instskip(SKIP_2) | instid1(VALU_DEP_2)
	v_cmp_lt_u32_e32 vcc_lo, 0xffffff, v183
	v_sub_nc_u32_e32 v182, v40, v41
	v_cndmask_b32_e64 v40, 0, 1, vcc_lo
	v_add_co_ci_u32_e32 v182, vcc_lo, 0, v182, vcc_lo
	s_delay_alu instid0(VALU_DEP_2)
	v_lshrrev_b32_e32 v183, v40, v183
; %bb.533:                              ;   in Loop: Header=BB2_144 Depth=3
	s_and_not1_saveexec_b32 s13, s13
	s_cbranch_execz .LBB2_141
; %bb.534:                              ;   in Loop: Header=BB2_144 Depth=3
	s_delay_alu instid0(VALU_DEP_1)
	v_bfe_u32 v182, v183, 23, 1
	s_branch .LBB2_141
.LBB2_535:                              ;   in Loop: Header=BB2_144 Depth=3
	s_mov_b32 s13, -1
	s_mov_b32 s37, exec_lo
                                        ; implicit-def: $sgpr35
	v_cmpx_eq_u16_e64 0x80, v131
; %bb.536:                              ;   in Loop: Header=BB2_144 Depth=3
	s_mov_b32 s35, 0x7f800001
	s_xor_b32 s13, exec_lo, -1
; %bb.537:                              ;   in Loop: Header=BB2_144 Depth=3
	s_or_b32 exec_lo, exec_lo, s37
	s_delay_alu instid0(SALU_CYCLE_1)
	s_and_b32 s13, s13, exec_lo
                                        ; implicit-def: $vgpr131
	s_or_saveexec_b32 s36, s36
	v_mov_b32_e32 v130, s35
	s_xor_b32 exec_lo, exec_lo, s36
	s_cbranch_execz .LBB2_155
.LBB2_538:                              ;   in Loop: Header=BB2_144 Depth=3
	v_cmp_ne_u16_e64 vcc_lo, 0, v131
	v_mov_b32_e32 v130, 0
	s_and_not1_b32 s13, s13, exec_lo
	s_delay_alu instid0(VALU_DEP_2) | instskip(NEXT) | instid1(SALU_CYCLE_1)
	s_and_b32 vcc_lo, vcc_lo, exec_lo
	s_or_b32 s13, s13, vcc_lo
	s_or_b32 exec_lo, exec_lo, s36
	s_and_saveexec_b32 s35, s13
	s_cbranch_execnz .LBB2_156
	s_branch .LBB2_157
.LBB2_539:                              ;   in Loop: Header=BB2_144 Depth=3
	s_mov_b32 s13, -1
	s_mov_b32 s37, exec_lo
                                        ; implicit-def: $sgpr35
	v_cmpx_eq_u16_e64 0x80, v131
; %bb.540:                              ;   in Loop: Header=BB2_144 Depth=3
	s_mov_b32 s35, 0x7f800001
	s_xor_b32 s13, exec_lo, -1
; %bb.541:                              ;   in Loop: Header=BB2_144 Depth=3
	s_or_b32 exec_lo, exec_lo, s37
	s_delay_alu instid0(SALU_CYCLE_1)
	s_and_b32 s13, s13, exec_lo
	s_or_saveexec_b32 s36, s36
	v_mov_b32_e32 v132, s35
	s_xor_b32 exec_lo, exec_lo, s36
	s_cbranch_execz .LBB2_167
.LBB2_542:                              ;   in Loop: Header=BB2_144 Depth=3
	v_cmp_ne_u16_e64 vcc_lo, 0, v131
	v_mov_b32_e32 v132, 0
	s_and_not1_b32 s13, s13, exec_lo
	s_delay_alu instid0(VALU_DEP_2) | instskip(NEXT) | instid1(SALU_CYCLE_1)
	s_and_b32 vcc_lo, vcc_lo, exec_lo
	s_or_b32 s13, s13, vcc_lo
	s_or_b32 exec_lo, exec_lo, s36
	s_and_saveexec_b32 s35, s13
	s_cbranch_execnz .LBB2_168
	s_branch .LBB2_169
.LBB2_543:                              ;   in Loop: Header=BB2_144 Depth=3
	s_mov_b32 s13, -1
	s_mov_b32 s37, exec_lo
                                        ; implicit-def: $sgpr35
	v_cmpx_eq_u16_e64 0x80, v134
; %bb.544:                              ;   in Loop: Header=BB2_144 Depth=3
	s_mov_b32 s35, 0x7f800001
	s_xor_b32 s13, exec_lo, -1
; %bb.545:                              ;   in Loop: Header=BB2_144 Depth=3
	s_or_b32 exec_lo, exec_lo, s37
	s_delay_alu instid0(SALU_CYCLE_1)
	s_and_b32 s13, s13, exec_lo
                                        ; implicit-def: $vgpr134
	s_or_saveexec_b32 s36, s36
	v_mov_b32_e32 v133, s35
	s_xor_b32 exec_lo, exec_lo, s36
	s_cbranch_execz .LBB2_179
.LBB2_546:                              ;   in Loop: Header=BB2_144 Depth=3
	v_cmp_ne_u16_e64 vcc_lo, 0, v134
	v_mov_b32_e32 v133, 0
	s_and_not1_b32 s13, s13, exec_lo
	s_delay_alu instid0(VALU_DEP_2) | instskip(NEXT) | instid1(SALU_CYCLE_1)
	s_and_b32 vcc_lo, vcc_lo, exec_lo
	s_or_b32 s13, s13, vcc_lo
	s_or_b32 exec_lo, exec_lo, s36
	s_and_saveexec_b32 s35, s13
	s_cbranch_execnz .LBB2_180
	s_branch .LBB2_181
.LBB2_547:                              ;   in Loop: Header=BB2_144 Depth=3
	s_mov_b32 s13, -1
	s_mov_b32 s37, exec_lo
                                        ; implicit-def: $sgpr35
	v_cmpx_eq_u16_e64 0x80, v133
; %bb.548:                              ;   in Loop: Header=BB2_144 Depth=3
	s_mov_b32 s35, 0x7f800001
	s_xor_b32 s13, exec_lo, -1
; %bb.549:                              ;   in Loop: Header=BB2_144 Depth=3
	s_or_b32 exec_lo, exec_lo, s37
	s_delay_alu instid0(SALU_CYCLE_1)
	s_and_b32 s13, s13, exec_lo
	s_or_saveexec_b32 s36, s36
	v_mov_b32_e32 v134, s35
	s_xor_b32 exec_lo, exec_lo, s36
	s_cbranch_execz .LBB2_191
.LBB2_550:                              ;   in Loop: Header=BB2_144 Depth=3
	v_cmp_ne_u16_e64 vcc_lo, 0, v133
	v_mov_b32_e32 v134, 0
	s_and_not1_b32 s13, s13, exec_lo
	s_delay_alu instid0(VALU_DEP_2) | instskip(NEXT) | instid1(SALU_CYCLE_1)
	s_and_b32 vcc_lo, vcc_lo, exec_lo
	s_or_b32 s13, s13, vcc_lo
	s_or_b32 exec_lo, exec_lo, s36
	s_and_saveexec_b32 s35, s13
	s_cbranch_execnz .LBB2_192
	s_branch .LBB2_193
.LBB2_551:                              ;   in Loop: Header=BB2_144 Depth=3
	s_mov_b32 s13, -1
	s_mov_b32 s37, exec_lo
                                        ; implicit-def: $sgpr35
	v_cmpx_eq_u16_e64 0x80, v134
; %bb.552:                              ;   in Loop: Header=BB2_144 Depth=3
	s_mov_b32 s35, 0x7f800001
	s_xor_b32 s13, exec_lo, -1
; %bb.553:                              ;   in Loop: Header=BB2_144 Depth=3
	s_or_b32 exec_lo, exec_lo, s37
	s_delay_alu instid0(SALU_CYCLE_1)
	s_and_b32 s13, s13, exec_lo
                                        ; implicit-def: $vgpr134
	s_or_saveexec_b32 s36, s36
	v_mov_b32_e32 v8, s35
	s_xor_b32 exec_lo, exec_lo, s36
	s_cbranch_execz .LBB2_203
.LBB2_554:                              ;   in Loop: Header=BB2_144 Depth=3
	v_cmp_ne_u16_e64 vcc_lo, 0, v134
	v_mov_b32_e32 v8, 0
	s_and_not1_b32 s13, s13, exec_lo
	s_delay_alu instid0(VALU_DEP_2) | instskip(NEXT) | instid1(SALU_CYCLE_1)
	s_and_b32 vcc_lo, vcc_lo, exec_lo
	s_or_b32 s13, s13, vcc_lo
	s_or_b32 exec_lo, exec_lo, s36
	s_and_saveexec_b32 s35, s13
	s_cbranch_execnz .LBB2_204
	s_branch .LBB2_205
.LBB2_555:                              ;   in Loop: Header=BB2_144 Depth=3
	s_mov_b32 s13, -1
	s_mov_b32 s37, exec_lo
                                        ; implicit-def: $sgpr35
	v_cmpx_eq_u16_e32 0x80, v8
; %bb.556:                              ;   in Loop: Header=BB2_144 Depth=3
	s_mov_b32 s35, 0x7f800001
	s_xor_b32 s13, exec_lo, -1
; %bb.557:                              ;   in Loop: Header=BB2_144 Depth=3
	s_or_b32 exec_lo, exec_lo, s37
	s_delay_alu instid0(SALU_CYCLE_1)
	s_and_b32 s13, s13, exec_lo
	s_or_saveexec_b32 s36, s36
	v_mov_b32_e32 v135, s35
	s_xor_b32 exec_lo, exec_lo, s36
	s_cbranch_execz .LBB2_215
.LBB2_558:                              ;   in Loop: Header=BB2_144 Depth=3
	v_cmp_ne_u16_e32 vcc_lo, 0, v8
	v_mov_b32_e32 v135, 0
	s_and_not1_b32 s13, s13, exec_lo
	s_and_b32 vcc_lo, vcc_lo, exec_lo
	s_delay_alu instid0(SALU_CYCLE_1)
	s_or_b32 s13, s13, vcc_lo
	s_or_b32 exec_lo, exec_lo, s36
	s_and_saveexec_b32 s35, s13
	s_cbranch_execnz .LBB2_216
	s_branch .LBB2_217
.LBB2_559:                              ;   in Loop: Header=BB2_144 Depth=3
	s_mov_b32 s13, -1
	s_mov_b32 s37, exec_lo
                                        ; implicit-def: $sgpr35
	v_cmpx_eq_u16_e64 0x80, v145
; %bb.560:                              ;   in Loop: Header=BB2_144 Depth=3
	s_mov_b32 s35, 0x7f800001
	s_xor_b32 s13, exec_lo, -1
; %bb.561:                              ;   in Loop: Header=BB2_144 Depth=3
	s_or_b32 exec_lo, exec_lo, s37
	s_delay_alu instid0(SALU_CYCLE_1)
	s_and_b32 s13, s13, exec_lo
                                        ; implicit-def: $vgpr145
	s_or_saveexec_b32 s36, s36
	v_mov_b32_e32 v144, s35
	s_xor_b32 exec_lo, exec_lo, s36
	s_cbranch_execz .LBB2_227
.LBB2_562:                              ;   in Loop: Header=BB2_144 Depth=3
	v_cmp_ne_u16_e64 vcc_lo, 0, v145
	v_mov_b32_e32 v144, 0
	s_and_not1_b32 s13, s13, exec_lo
	s_delay_alu instid0(VALU_DEP_2) | instskip(NEXT) | instid1(SALU_CYCLE_1)
	s_and_b32 vcc_lo, vcc_lo, exec_lo
	s_or_b32 s13, s13, vcc_lo
	s_or_b32 exec_lo, exec_lo, s36
	s_and_saveexec_b32 s35, s13
	s_cbranch_execnz .LBB2_228
	s_branch .LBB2_229
.LBB2_563:                              ;   in Loop: Header=BB2_144 Depth=3
	s_mov_b32 s13, -1
	s_mov_b32 s37, exec_lo
                                        ; implicit-def: $sgpr35
	v_cmpx_eq_u16_e32 0x80, v8
; %bb.564:                              ;   in Loop: Header=BB2_144 Depth=3
	s_mov_b32 s35, 0x7f800001
	s_xor_b32 s13, exec_lo, -1
; %bb.565:                              ;   in Loop: Header=BB2_144 Depth=3
	s_or_b32 exec_lo, exec_lo, s37
	s_delay_alu instid0(SALU_CYCLE_1)
	s_and_b32 s13, s13, exec_lo
	s_or_saveexec_b32 s36, s36
	v_mov_b32_e32 v145, s35
	s_xor_b32 exec_lo, exec_lo, s36
	s_cbranch_execz .LBB2_239
.LBB2_566:                              ;   in Loop: Header=BB2_144 Depth=3
	v_cmp_ne_u16_e32 vcc_lo, 0, v8
	v_mov_b32_e32 v145, 0
	s_and_not1_b32 s13, s13, exec_lo
	s_and_b32 vcc_lo, vcc_lo, exec_lo
	s_delay_alu instid0(SALU_CYCLE_1)
	s_or_b32 s13, s13, vcc_lo
	s_or_b32 exec_lo, exec_lo, s36
	s_and_saveexec_b32 s35, s13
	s_cbranch_execnz .LBB2_240
	s_branch .LBB2_241
.LBB2_567:                              ;   in Loop: Header=BB2_144 Depth=3
	s_mov_b32 s13, -1
	s_mov_b32 s37, exec_lo
                                        ; implicit-def: $sgpr35
	v_cmpx_eq_u16_e32 0x80, v9
; %bb.568:                              ;   in Loop: Header=BB2_144 Depth=3
	s_mov_b32 s35, 0x7f800001
	s_xor_b32 s13, exec_lo, -1
; %bb.569:                              ;   in Loop: Header=BB2_144 Depth=3
	s_or_b32 exec_lo, exec_lo, s37
	s_delay_alu instid0(SALU_CYCLE_1)
	s_and_b32 s13, s13, exec_lo
                                        ; implicit-def: $vgpr9
	s_or_saveexec_b32 s36, s36
	v_mov_b32_e32 v8, s35
	s_xor_b32 exec_lo, exec_lo, s36
	s_cbranch_execz .LBB2_251
.LBB2_570:                              ;   in Loop: Header=BB2_144 Depth=3
	v_cmp_ne_u16_e32 vcc_lo, 0, v9
	v_mov_b32_e32 v8, 0
	s_and_not1_b32 s13, s13, exec_lo
	s_and_b32 vcc_lo, vcc_lo, exec_lo
	s_delay_alu instid0(SALU_CYCLE_1)
	s_or_b32 s13, s13, vcc_lo
	s_or_b32 exec_lo, exec_lo, s36
	s_and_saveexec_b32 s35, s13
	s_cbranch_execnz .LBB2_252
	s_branch .LBB2_253
.LBB2_571:                              ;   in Loop: Header=BB2_144 Depth=3
	s_mov_b32 s13, -1
	s_mov_b32 s37, exec_lo
                                        ; implicit-def: $sgpr35
	v_cmpx_eq_u16_e32 0x80, v8
; %bb.572:                              ;   in Loop: Header=BB2_144 Depth=3
	s_mov_b32 s35, 0x7f800001
	s_xor_b32 s13, exec_lo, -1
; %bb.573:                              ;   in Loop: Header=BB2_144 Depth=3
	s_or_b32 exec_lo, exec_lo, s37
	s_delay_alu instid0(SALU_CYCLE_1)
	s_and_b32 s13, s13, exec_lo
	s_or_saveexec_b32 s36, s36
	v_mov_b32_e32 v9, s35
	s_xor_b32 exec_lo, exec_lo, s36
	s_cbranch_execz .LBB2_263
.LBB2_574:                              ;   in Loop: Header=BB2_144 Depth=3
	v_cmp_ne_u16_e32 vcc_lo, 0, v8
	v_mov_b32_e32 v9, 0
	s_and_not1_b32 s13, s13, exec_lo
	s_and_b32 vcc_lo, vcc_lo, exec_lo
	s_delay_alu instid0(SALU_CYCLE_1)
	s_or_b32 s13, s13, vcc_lo
	s_or_b32 exec_lo, exec_lo, s36
	s_and_saveexec_b32 s35, s13
	s_cbranch_execnz .LBB2_264
	s_branch .LBB2_265
.LBB2_575:                              ;   in Loop: Header=BB2_144 Depth=3
	s_mov_b32 s13, -1
	s_mov_b32 s37, exec_lo
                                        ; implicit-def: $sgpr35
	v_cmpx_eq_u16_e64 0x80, v148
; %bb.576:                              ;   in Loop: Header=BB2_144 Depth=3
	s_mov_b32 s35, 0x7f800001
	s_xor_b32 s13, exec_lo, -1
; %bb.577:                              ;   in Loop: Header=BB2_144 Depth=3
	s_or_b32 exec_lo, exec_lo, s37
	s_delay_alu instid0(SALU_CYCLE_1)
	s_and_b32 s13, s13, exec_lo
                                        ; implicit-def: $vgpr148
	s_or_saveexec_b32 s36, s36
	v_mov_b32_e32 v9, s35
	s_xor_b32 exec_lo, exec_lo, s36
	s_cbranch_execz .LBB2_275
.LBB2_578:                              ;   in Loop: Header=BB2_144 Depth=3
	v_cmp_ne_u16_e64 vcc_lo, 0, v148
	v_mov_b32_e32 v9, 0
	s_and_not1_b32 s13, s13, exec_lo
	s_delay_alu instid0(VALU_DEP_2) | instskip(NEXT) | instid1(SALU_CYCLE_1)
	s_and_b32 vcc_lo, vcc_lo, exec_lo
	s_or_b32 s13, s13, vcc_lo
	s_or_b32 exec_lo, exec_lo, s36
	s_and_saveexec_b32 s35, s13
	s_cbranch_execnz .LBB2_276
	s_branch .LBB2_277
.LBB2_579:                              ;   in Loop: Header=BB2_144 Depth=3
	s_mov_b32 s13, -1
	s_mov_b32 s37, exec_lo
                                        ; implicit-def: $sgpr35
	v_cmpx_eq_u16_e32 0x80, v8
; %bb.580:                              ;   in Loop: Header=BB2_144 Depth=3
	s_mov_b32 s35, 0x7f800001
	s_xor_b32 s13, exec_lo, -1
; %bb.581:                              ;   in Loop: Header=BB2_144 Depth=3
	s_or_b32 exec_lo, exec_lo, s37
	s_delay_alu instid0(SALU_CYCLE_1)
	s_and_b32 s13, s13, exec_lo
	s_or_saveexec_b32 s36, s36
	v_mov_b32_e32 v9, s35
	s_xor_b32 exec_lo, exec_lo, s36
	s_cbranch_execz .LBB2_287
.LBB2_582:                              ;   in Loop: Header=BB2_144 Depth=3
	v_cmp_ne_u16_e32 vcc_lo, 0, v8
	v_mov_b32_e32 v9, 0
	s_and_not1_b32 s13, s13, exec_lo
	s_and_b32 vcc_lo, vcc_lo, exec_lo
	s_delay_alu instid0(SALU_CYCLE_1)
	s_or_b32 s13, s13, vcc_lo
	s_or_b32 exec_lo, exec_lo, s36
	s_and_saveexec_b32 s35, s13
	s_cbranch_execnz .LBB2_288
	s_branch .LBB2_289
.LBB2_583:                              ;   in Loop: Header=BB2_144 Depth=3
	s_mov_b32 s13, -1
	s_mov_b32 s37, exec_lo
                                        ; implicit-def: $sgpr35
	v_cmpx_eq_u16_e32 0x80, v9
; %bb.584:                              ;   in Loop: Header=BB2_144 Depth=3
	s_mov_b32 s35, 0x7f800001
	s_xor_b32 s13, exec_lo, -1
; %bb.585:                              ;   in Loop: Header=BB2_144 Depth=3
	s_or_b32 exec_lo, exec_lo, s37
	s_delay_alu instid0(SALU_CYCLE_1)
	s_and_b32 s13, s13, exec_lo
                                        ; implicit-def: $vgpr9
	s_or_saveexec_b32 s36, s36
	v_mov_b32_e32 v8, s35
	s_xor_b32 exec_lo, exec_lo, s36
	s_cbranch_execz .LBB2_299
.LBB2_586:                              ;   in Loop: Header=BB2_144 Depth=3
	v_cmp_ne_u16_e32 vcc_lo, 0, v9
	v_mov_b32_e32 v8, 0
	s_and_not1_b32 s13, s13, exec_lo
	s_and_b32 vcc_lo, vcc_lo, exec_lo
	s_delay_alu instid0(SALU_CYCLE_1)
	s_or_b32 s13, s13, vcc_lo
	s_or_b32 exec_lo, exec_lo, s36
	s_and_saveexec_b32 s35, s13
	s_cbranch_execnz .LBB2_300
	s_branch .LBB2_301
.LBB2_587:                              ;   in Loop: Header=BB2_144 Depth=3
	s_mov_b32 s13, -1
	s_mov_b32 s37, exec_lo
                                        ; implicit-def: $sgpr35
	v_cmpx_eq_u16_e32 0x80, v8
; %bb.588:                              ;   in Loop: Header=BB2_144 Depth=3
	s_mov_b32 s35, 0x7f800001
	s_xor_b32 s13, exec_lo, -1
; %bb.589:                              ;   in Loop: Header=BB2_144 Depth=3
	s_or_b32 exec_lo, exec_lo, s37
	s_delay_alu instid0(SALU_CYCLE_1)
	s_and_b32 s13, s13, exec_lo
	s_or_saveexec_b32 s36, s36
	v_mov_b32_e32 v9, s35
	s_xor_b32 exec_lo, exec_lo, s36
	s_cbranch_execz .LBB2_311
.LBB2_590:                              ;   in Loop: Header=BB2_144 Depth=3
	v_cmp_ne_u16_e32 vcc_lo, 0, v8
	v_mov_b32_e32 v9, 0
	s_and_not1_b32 s13, s13, exec_lo
	s_and_b32 vcc_lo, vcc_lo, exec_lo
	s_delay_alu instid0(SALU_CYCLE_1)
	s_or_b32 s13, s13, vcc_lo
	s_or_b32 exec_lo, exec_lo, s36
	s_and_saveexec_b32 s35, s13
	s_cbranch_execnz .LBB2_312
	s_branch .LBB2_313
.LBB2_591:                              ;   in Loop: Header=BB2_144 Depth=3
	s_mov_b32 s13, -1
	s_mov_b32 s37, exec_lo
                                        ; implicit-def: $sgpr35
	v_cmpx_eq_u16_e32 0x80, v10
; %bb.592:                              ;   in Loop: Header=BB2_144 Depth=3
	s_mov_b32 s35, 0x7f800001
	s_xor_b32 s13, exec_lo, -1
; %bb.593:                              ;   in Loop: Header=BB2_144 Depth=3
	s_or_b32 exec_lo, exec_lo, s37
	s_delay_alu instid0(SALU_CYCLE_1)
	s_and_b32 s13, s13, exec_lo
                                        ; implicit-def: $vgpr10
	s_or_saveexec_b32 s36, s36
	v_mov_b32_e32 v9, s35
	s_xor_b32 exec_lo, exec_lo, s36
	s_cbranch_execz .LBB2_323
.LBB2_594:                              ;   in Loop: Header=BB2_144 Depth=3
	v_cmp_ne_u16_e32 vcc_lo, 0, v10
	v_mov_b32_e32 v9, 0
	s_and_not1_b32 s13, s13, exec_lo
	s_and_b32 vcc_lo, vcc_lo, exec_lo
	s_delay_alu instid0(SALU_CYCLE_1)
	s_or_b32 s13, s13, vcc_lo
	s_or_b32 exec_lo, exec_lo, s36
	s_and_saveexec_b32 s35, s13
	s_cbranch_execnz .LBB2_324
	s_branch .LBB2_325
.LBB2_595:                              ;   in Loop: Header=BB2_144 Depth=3
	s_mov_b32 s13, -1
	s_mov_b32 s37, exec_lo
                                        ; implicit-def: $sgpr35
	v_cmpx_eq_u16_e32 0x80, v8
; %bb.596:                              ;   in Loop: Header=BB2_144 Depth=3
	s_mov_b32 s35, 0x7f800001
	s_xor_b32 s13, exec_lo, -1
; %bb.597:                              ;   in Loop: Header=BB2_144 Depth=3
	s_or_b32 exec_lo, exec_lo, s37
	s_delay_alu instid0(SALU_CYCLE_1)
	s_and_b32 s13, s13, exec_lo
	s_or_saveexec_b32 s36, s36
	v_mov_b32_e32 v9, s35
	s_xor_b32 exec_lo, exec_lo, s36
	s_cbranch_execz .LBB2_335
.LBB2_598:                              ;   in Loop: Header=BB2_144 Depth=3
	v_cmp_ne_u16_e32 vcc_lo, 0, v8
	v_mov_b32_e32 v9, 0
	s_and_not1_b32 s13, s13, exec_lo
	s_and_b32 vcc_lo, vcc_lo, exec_lo
	s_delay_alu instid0(SALU_CYCLE_1)
	s_or_b32 s13, s13, vcc_lo
	s_or_b32 exec_lo, exec_lo, s36
	s_and_saveexec_b32 s35, s13
	s_cbranch_execnz .LBB2_336
	s_branch .LBB2_337
.LBB2_599:                              ;   in Loop: Header=BB2_144 Depth=3
	s_mov_b32 s13, -1
	s_mov_b32 s37, exec_lo
                                        ; implicit-def: $sgpr35
	v_cmpx_eq_u16_e64 0x80, v163
; %bb.600:                              ;   in Loop: Header=BB2_144 Depth=3
	s_mov_b32 s35, 0x7f800001
	s_xor_b32 s13, exec_lo, -1
; %bb.601:                              ;   in Loop: Header=BB2_144 Depth=3
	s_or_b32 exec_lo, exec_lo, s37
	s_delay_alu instid0(SALU_CYCLE_1)
	s_and_b32 s13, s13, exec_lo
                                        ; implicit-def: $vgpr163
	s_or_saveexec_b32 s36, s36
	v_mov_b32_e32 v162, s35
	s_xor_b32 exec_lo, exec_lo, s36
	s_cbranch_execz .LBB2_347
.LBB2_602:                              ;   in Loop: Header=BB2_144 Depth=3
	v_cmp_ne_u16_e64 vcc_lo, 0, v163
	v_mov_b32_e32 v162, 0
	s_and_not1_b32 s13, s13, exec_lo
	s_delay_alu instid0(VALU_DEP_2) | instskip(NEXT) | instid1(SALU_CYCLE_1)
	s_and_b32 vcc_lo, vcc_lo, exec_lo
	s_or_b32 s13, s13, vcc_lo
	s_or_b32 exec_lo, exec_lo, s36
	s_and_saveexec_b32 s35, s13
	s_cbranch_execnz .LBB2_348
	s_branch .LBB2_349
.LBB2_603:                              ;   in Loop: Header=BB2_144 Depth=3
	s_mov_b32 s13, -1
	s_mov_b32 s37, exec_lo
                                        ; implicit-def: $sgpr35
	v_cmpx_eq_u16_e64 0x80, v163
; %bb.604:                              ;   in Loop: Header=BB2_144 Depth=3
	s_mov_b32 s35, 0x7f800001
	s_xor_b32 s13, exec_lo, -1
; %bb.605:                              ;   in Loop: Header=BB2_144 Depth=3
	s_or_b32 exec_lo, exec_lo, s37
	s_delay_alu instid0(SALU_CYCLE_1)
	s_and_b32 s13, s13, exec_lo
	s_or_saveexec_b32 s36, s36
	v_mov_b32_e32 v164, s35
	s_xor_b32 exec_lo, exec_lo, s36
	s_cbranch_execz .LBB2_359
.LBB2_606:                              ;   in Loop: Header=BB2_144 Depth=3
	v_cmp_ne_u16_e64 vcc_lo, 0, v163
	v_mov_b32_e32 v164, 0
	s_and_not1_b32 s13, s13, exec_lo
	s_delay_alu instid0(VALU_DEP_2) | instskip(NEXT) | instid1(SALU_CYCLE_1)
	s_and_b32 vcc_lo, vcc_lo, exec_lo
	s_or_b32 s13, s13, vcc_lo
	s_or_b32 exec_lo, exec_lo, s36
	s_and_saveexec_b32 s35, s13
	s_cbranch_execnz .LBB2_360
	s_branch .LBB2_361
.LBB2_607:                              ;   in Loop: Header=BB2_144 Depth=3
	s_mov_b32 s13, -1
	s_mov_b32 s37, exec_lo
                                        ; implicit-def: $sgpr35
	v_cmpx_eq_u16_e64 0x80, v166
; %bb.608:                              ;   in Loop: Header=BB2_144 Depth=3
	s_mov_b32 s35, 0x7f800001
	s_xor_b32 s13, exec_lo, -1
; %bb.609:                              ;   in Loop: Header=BB2_144 Depth=3
	s_or_b32 exec_lo, exec_lo, s37
	s_delay_alu instid0(SALU_CYCLE_1)
	s_and_b32 s13, s13, exec_lo
                                        ; implicit-def: $vgpr166
	s_or_saveexec_b32 s36, s36
	v_mov_b32_e32 v165, s35
	s_xor_b32 exec_lo, exec_lo, s36
	s_cbranch_execz .LBB2_371
.LBB2_610:                              ;   in Loop: Header=BB2_144 Depth=3
	v_cmp_ne_u16_e64 vcc_lo, 0, v166
	v_mov_b32_e32 v165, 0
	s_and_not1_b32 s13, s13, exec_lo
	s_delay_alu instid0(VALU_DEP_2) | instskip(NEXT) | instid1(SALU_CYCLE_1)
	s_and_b32 vcc_lo, vcc_lo, exec_lo
	s_or_b32 s13, s13, vcc_lo
	s_or_b32 exec_lo, exec_lo, s36
	s_and_saveexec_b32 s35, s13
	s_cbranch_execnz .LBB2_372
	s_branch .LBB2_373
.LBB2_611:                              ;   in Loop: Header=BB2_144 Depth=3
	s_mov_b32 s13, -1
	s_mov_b32 s37, exec_lo
                                        ; implicit-def: $sgpr35
	v_cmpx_eq_u16_e64 0x80, v165
; %bb.612:                              ;   in Loop: Header=BB2_144 Depth=3
	s_mov_b32 s35, 0x7f800001
	s_xor_b32 s13, exec_lo, -1
; %bb.613:                              ;   in Loop: Header=BB2_144 Depth=3
	s_or_b32 exec_lo, exec_lo, s37
	s_delay_alu instid0(SALU_CYCLE_1)
	s_and_b32 s13, s13, exec_lo
	s_or_saveexec_b32 s36, s36
	v_mov_b32_e32 v166, s35
	s_xor_b32 exec_lo, exec_lo, s36
	s_cbranch_execz .LBB2_383
.LBB2_614:                              ;   in Loop: Header=BB2_144 Depth=3
	v_cmp_ne_u16_e64 vcc_lo, 0, v165
	v_mov_b32_e32 v166, 0
	s_and_not1_b32 s13, s13, exec_lo
	s_delay_alu instid0(VALU_DEP_2) | instskip(NEXT) | instid1(SALU_CYCLE_1)
	s_and_b32 vcc_lo, vcc_lo, exec_lo
	s_or_b32 s13, s13, vcc_lo
	s_or_b32 exec_lo, exec_lo, s36
	s_and_saveexec_b32 s35, s13
	s_cbranch_execnz .LBB2_384
	s_branch .LBB2_385
.LBB2_615:                              ;   in Loop: Header=BB2_144 Depth=3
	s_mov_b32 s13, -1
	s_mov_b32 s37, exec_lo
                                        ; implicit-def: $sgpr35
	v_cmpx_eq_u16_e64 0x80, v166
; %bb.616:                              ;   in Loop: Header=BB2_144 Depth=3
	s_mov_b32 s35, 0x7f800001
	s_xor_b32 s13, exec_lo, -1
; %bb.617:                              ;   in Loop: Header=BB2_144 Depth=3
	s_or_b32 exec_lo, exec_lo, s37
	s_delay_alu instid0(SALU_CYCLE_1)
	s_and_b32 s13, s13, exec_lo
                                        ; implicit-def: $vgpr166
	s_or_saveexec_b32 s36, s36
	v_mov_b32_e32 v165, s35
	s_xor_b32 exec_lo, exec_lo, s36
	s_cbranch_execz .LBB2_395
.LBB2_618:                              ;   in Loop: Header=BB2_144 Depth=3
	v_cmp_ne_u16_e64 vcc_lo, 0, v166
	v_mov_b32_e32 v165, 0
	s_and_not1_b32 s13, s13, exec_lo
	s_delay_alu instid0(VALU_DEP_2) | instskip(NEXT) | instid1(SALU_CYCLE_1)
	s_and_b32 vcc_lo, vcc_lo, exec_lo
	s_or_b32 s13, s13, vcc_lo
	s_or_b32 exec_lo, exec_lo, s36
	s_and_saveexec_b32 s35, s13
	s_cbranch_execnz .LBB2_396
	s_branch .LBB2_397
.LBB2_619:                              ;   in Loop: Header=BB2_144 Depth=3
	s_mov_b32 s13, -1
	s_mov_b32 s37, exec_lo
                                        ; implicit-def: $sgpr35
	v_cmpx_eq_u16_e64 0x80, v166
; %bb.620:                              ;   in Loop: Header=BB2_144 Depth=3
	s_mov_b32 s35, 0x7f800001
	s_xor_b32 s13, exec_lo, -1
; %bb.621:                              ;   in Loop: Header=BB2_144 Depth=3
	s_or_b32 exec_lo, exec_lo, s37
	s_delay_alu instid0(SALU_CYCLE_1)
	s_and_b32 s13, s13, exec_lo
	s_or_saveexec_b32 s36, s36
	v_mov_b32_e32 v167, s35
	s_xor_b32 exec_lo, exec_lo, s36
	s_cbranch_execz .LBB2_407
.LBB2_622:                              ;   in Loop: Header=BB2_144 Depth=3
	v_cmp_ne_u16_e64 vcc_lo, 0, v166
	v_mov_b32_e32 v167, 0
	s_and_not1_b32 s13, s13, exec_lo
	s_delay_alu instid0(VALU_DEP_2) | instskip(NEXT) | instid1(SALU_CYCLE_1)
	s_and_b32 vcc_lo, vcc_lo, exec_lo
	s_or_b32 s13, s13, vcc_lo
	s_or_b32 exec_lo, exec_lo, s36
	s_and_saveexec_b32 s35, s13
	s_cbranch_execnz .LBB2_408
	s_branch .LBB2_409
.LBB2_623:                              ;   in Loop: Header=BB2_144 Depth=3
	s_mov_b32 s13, -1
	s_mov_b32 s37, exec_lo
                                        ; implicit-def: $sgpr35
	v_cmpx_eq_u16_e64 0x80, v177
; %bb.624:                              ;   in Loop: Header=BB2_144 Depth=3
	s_mov_b32 s35, 0x7f800001
	s_xor_b32 s13, exec_lo, -1
; %bb.625:                              ;   in Loop: Header=BB2_144 Depth=3
	s_or_b32 exec_lo, exec_lo, s37
	s_delay_alu instid0(SALU_CYCLE_1)
	s_and_b32 s13, s13, exec_lo
                                        ; implicit-def: $vgpr177
	s_or_saveexec_b32 s36, s36
	v_mov_b32_e32 v176, s35
	s_xor_b32 exec_lo, exec_lo, s36
	s_cbranch_execz .LBB2_419
.LBB2_626:                              ;   in Loop: Header=BB2_144 Depth=3
	v_cmp_ne_u16_e64 vcc_lo, 0, v177
	v_mov_b32_e32 v176, 0
	s_and_not1_b32 s13, s13, exec_lo
	s_delay_alu instid0(VALU_DEP_2) | instskip(NEXT) | instid1(SALU_CYCLE_1)
	s_and_b32 vcc_lo, vcc_lo, exec_lo
	s_or_b32 s13, s13, vcc_lo
	s_or_b32 exec_lo, exec_lo, s36
	s_and_saveexec_b32 s35, s13
	s_cbranch_execnz .LBB2_420
	s_branch .LBB2_421
.LBB2_627:                              ;   in Loop: Header=BB2_144 Depth=3
	s_mov_b32 s13, -1
	s_mov_b32 s37, exec_lo
                                        ; implicit-def: $sgpr35
	v_cmpx_eq_u16_e64 0x80, v176
; %bb.628:                              ;   in Loop: Header=BB2_144 Depth=3
	s_mov_b32 s35, 0x7f800001
	s_xor_b32 s13, exec_lo, -1
; %bb.629:                              ;   in Loop: Header=BB2_144 Depth=3
	s_or_b32 exec_lo, exec_lo, s37
	s_delay_alu instid0(SALU_CYCLE_1)
	s_and_b32 s13, s13, exec_lo
	s_or_saveexec_b32 s36, s36
	v_mov_b32_e32 v177, s35
	s_xor_b32 exec_lo, exec_lo, s36
	s_cbranch_execz .LBB2_431
.LBB2_630:                              ;   in Loop: Header=BB2_144 Depth=3
	v_cmp_ne_u16_e64 vcc_lo, 0, v176
	v_mov_b32_e32 v177, 0
	s_and_not1_b32 s13, s13, exec_lo
	s_delay_alu instid0(VALU_DEP_2) | instskip(NEXT) | instid1(SALU_CYCLE_1)
	s_and_b32 vcc_lo, vcc_lo, exec_lo
	s_or_b32 s13, s13, vcc_lo
	s_or_b32 exec_lo, exec_lo, s36
	s_and_saveexec_b32 s35, s13
	s_cbranch_execnz .LBB2_432
	s_branch .LBB2_433
.LBB2_631:                              ;   in Loop: Header=BB2_144 Depth=3
	s_mov_b32 s13, -1
	s_mov_b32 s37, exec_lo
                                        ; implicit-def: $sgpr35
	v_cmpx_eq_u16_e64 0x80, v177
; %bb.632:                              ;   in Loop: Header=BB2_144 Depth=3
	s_mov_b32 s35, 0x7f800001
	s_xor_b32 s13, exec_lo, -1
; %bb.633:                              ;   in Loop: Header=BB2_144 Depth=3
	s_or_b32 exec_lo, exec_lo, s37
	s_delay_alu instid0(SALU_CYCLE_1)
	s_and_b32 s13, s13, exec_lo
                                        ; implicit-def: $vgpr177
	s_or_saveexec_b32 s36, s36
	v_mov_b32_e32 v176, s35
	s_xor_b32 exec_lo, exec_lo, s36
	s_cbranch_execz .LBB2_443
.LBB2_634:                              ;   in Loop: Header=BB2_144 Depth=3
	v_cmp_ne_u16_e64 vcc_lo, 0, v177
	v_mov_b32_e32 v176, 0
	s_and_not1_b32 s13, s13, exec_lo
	s_delay_alu instid0(VALU_DEP_2) | instskip(NEXT) | instid1(SALU_CYCLE_1)
	s_and_b32 vcc_lo, vcc_lo, exec_lo
	s_or_b32 s13, s13, vcc_lo
	s_or_b32 exec_lo, exec_lo, s36
	s_and_saveexec_b32 s35, s13
	s_cbranch_execnz .LBB2_444
	s_branch .LBB2_445
.LBB2_635:                              ;   in Loop: Header=BB2_144 Depth=3
	s_mov_b32 s13, -1
	s_mov_b32 s37, exec_lo
                                        ; implicit-def: $sgpr35
	v_cmpx_eq_u16_e64 0x80, v177
; %bb.636:                              ;   in Loop: Header=BB2_144 Depth=3
	s_mov_b32 s35, 0x7f800001
	s_xor_b32 s13, exec_lo, -1
; %bb.637:                              ;   in Loop: Header=BB2_144 Depth=3
	s_or_b32 exec_lo, exec_lo, s37
	s_delay_alu instid0(SALU_CYCLE_1)
	s_and_b32 s13, s13, exec_lo
	s_or_saveexec_b32 s36, s36
	v_mov_b32_e32 v178, s35
	s_xor_b32 exec_lo, exec_lo, s36
	s_cbranch_execz .LBB2_455
.LBB2_638:                              ;   in Loop: Header=BB2_144 Depth=3
	v_cmp_ne_u16_e64 vcc_lo, 0, v177
	v_mov_b32_e32 v178, 0
	s_and_not1_b32 s13, s13, exec_lo
	s_delay_alu instid0(VALU_DEP_2) | instskip(NEXT) | instid1(SALU_CYCLE_1)
	s_and_b32 vcc_lo, vcc_lo, exec_lo
	s_or_b32 s13, s13, vcc_lo
	s_or_b32 exec_lo, exec_lo, s36
	s_and_saveexec_b32 s35, s13
	s_cbranch_execnz .LBB2_456
	s_branch .LBB2_457
.LBB2_639:                              ;   in Loop: Header=BB2_144 Depth=3
	s_mov_b32 s13, -1
	s_mov_b32 s37, exec_lo
                                        ; implicit-def: $sgpr35
	v_cmpx_eq_u16_e64 0x80, v180
; %bb.640:                              ;   in Loop: Header=BB2_144 Depth=3
	s_mov_b32 s35, 0x7f800001
	s_xor_b32 s13, exec_lo, -1
; %bb.641:                              ;   in Loop: Header=BB2_144 Depth=3
	s_or_b32 exec_lo, exec_lo, s37
	s_delay_alu instid0(SALU_CYCLE_1)
	s_and_b32 s13, s13, exec_lo
                                        ; implicit-def: $vgpr180
	s_or_saveexec_b32 s36, s36
	v_mov_b32_e32 v179, s35
	s_xor_b32 exec_lo, exec_lo, s36
	s_cbranch_execz .LBB2_467
.LBB2_642:                              ;   in Loop: Header=BB2_144 Depth=3
	v_cmp_ne_u16_e64 vcc_lo, 0, v180
	v_mov_b32_e32 v179, 0
	s_and_not1_b32 s13, s13, exec_lo
	s_delay_alu instid0(VALU_DEP_2) | instskip(NEXT) | instid1(SALU_CYCLE_1)
	s_and_b32 vcc_lo, vcc_lo, exec_lo
	s_or_b32 s13, s13, vcc_lo
	s_or_b32 exec_lo, exec_lo, s36
	s_and_saveexec_b32 s35, s13
	s_cbranch_execnz .LBB2_468
	s_branch .LBB2_469
.LBB2_643:                              ;   in Loop: Header=BB2_144 Depth=3
	s_mov_b32 s13, -1
	s_mov_b32 s37, exec_lo
                                        ; implicit-def: $sgpr35
	v_cmpx_eq_u16_e64 0x80, v179
; %bb.644:                              ;   in Loop: Header=BB2_144 Depth=3
	s_mov_b32 s35, 0x7f800001
	s_xor_b32 s13, exec_lo, -1
; %bb.645:                              ;   in Loop: Header=BB2_144 Depth=3
	s_or_b32 exec_lo, exec_lo, s37
	s_delay_alu instid0(SALU_CYCLE_1)
	s_and_b32 s13, s13, exec_lo
	s_or_saveexec_b32 s36, s36
	v_mov_b32_e32 v180, s35
	s_xor_b32 exec_lo, exec_lo, s36
	s_cbranch_execz .LBB2_479
.LBB2_646:                              ;   in Loop: Header=BB2_144 Depth=3
	v_cmp_ne_u16_e64 vcc_lo, 0, v179
	v_mov_b32_e32 v180, 0
	s_and_not1_b32 s13, s13, exec_lo
	s_delay_alu instid0(VALU_DEP_2) | instskip(NEXT) | instid1(SALU_CYCLE_1)
	s_and_b32 vcc_lo, vcc_lo, exec_lo
	s_or_b32 s13, s13, vcc_lo
	s_or_b32 exec_lo, exec_lo, s36
	s_and_saveexec_b32 s35, s13
	s_cbranch_execnz .LBB2_480
	s_branch .LBB2_481
.LBB2_647:                              ;   in Loop: Header=BB2_144 Depth=3
	s_mov_b32 s13, -1
	s_mov_b32 s37, exec_lo
                                        ; implicit-def: $sgpr35
	v_cmpx_eq_u16_e64 0x80, v180
; %bb.648:                              ;   in Loop: Header=BB2_144 Depth=3
	s_mov_b32 s35, 0x7f800001
	s_xor_b32 s13, exec_lo, -1
; %bb.649:                              ;   in Loop: Header=BB2_144 Depth=3
	s_or_b32 exec_lo, exec_lo, s37
	s_delay_alu instid0(SALU_CYCLE_1)
	s_and_b32 s13, s13, exec_lo
                                        ; implicit-def: $vgpr180
	s_or_saveexec_b32 s36, s36
	v_mov_b32_e32 v179, s35
	s_xor_b32 exec_lo, exec_lo, s36
	s_cbranch_execz .LBB2_491
.LBB2_650:                              ;   in Loop: Header=BB2_144 Depth=3
	v_cmp_ne_u16_e64 vcc_lo, 0, v180
	v_mov_b32_e32 v179, 0
	s_and_not1_b32 s13, s13, exec_lo
	s_delay_alu instid0(VALU_DEP_2) | instskip(NEXT) | instid1(SALU_CYCLE_1)
	s_and_b32 vcc_lo, vcc_lo, exec_lo
	s_or_b32 s13, s13, vcc_lo
	s_or_b32 exec_lo, exec_lo, s36
	s_and_saveexec_b32 s35, s13
	s_cbranch_execnz .LBB2_492
	s_branch .LBB2_493
.LBB2_651:                              ;   in Loop: Header=BB2_144 Depth=3
	s_mov_b32 s13, -1
	s_mov_b32 s37, exec_lo
                                        ; implicit-def: $sgpr35
	v_cmpx_eq_u16_e64 0x80, v180
; %bb.652:                              ;   in Loop: Header=BB2_144 Depth=3
	s_mov_b32 s35, 0x7f800001
	s_xor_b32 s13, exec_lo, -1
; %bb.653:                              ;   in Loop: Header=BB2_144 Depth=3
	s_or_b32 exec_lo, exec_lo, s37
	s_delay_alu instid0(SALU_CYCLE_1)
	s_and_b32 s13, s13, exec_lo
	s_or_saveexec_b32 s36, s36
	v_mov_b32_e32 v181, s35
	s_xor_b32 exec_lo, exec_lo, s36
	s_cbranch_execz .LBB2_503
.LBB2_654:                              ;   in Loop: Header=BB2_144 Depth=3
	v_cmp_ne_u16_e64 vcc_lo, 0, v180
	v_mov_b32_e32 v181, 0
	s_and_not1_b32 s13, s13, exec_lo
	s_delay_alu instid0(VALU_DEP_2) | instskip(NEXT) | instid1(SALU_CYCLE_1)
	s_and_b32 vcc_lo, vcc_lo, exec_lo
	s_or_b32 s13, s13, vcc_lo
	s_or_b32 exec_lo, exec_lo, s36
	s_and_saveexec_b32 s35, s13
	s_cbranch_execnz .LBB2_504
	s_branch .LBB2_505
.LBB2_655:                              ;   in Loop: Header=BB2_144 Depth=3
	s_mov_b32 s13, -1
	s_mov_b32 s37, exec_lo
                                        ; implicit-def: $sgpr35
	v_cmpx_eq_u16_e64 0x80, v183
; %bb.656:                              ;   in Loop: Header=BB2_144 Depth=3
	s_mov_b32 s35, 0x7f800001
	s_xor_b32 s13, exec_lo, -1
; %bb.657:                              ;   in Loop: Header=BB2_144 Depth=3
	s_or_b32 exec_lo, exec_lo, s37
	s_delay_alu instid0(SALU_CYCLE_1)
	s_and_b32 s13, s13, exec_lo
                                        ; implicit-def: $vgpr183
	s_or_saveexec_b32 s36, s36
	v_mov_b32_e32 v182, s35
	s_xor_b32 exec_lo, exec_lo, s36
	s_cbranch_execz .LBB2_515
.LBB2_658:                              ;   in Loop: Header=BB2_144 Depth=3
	v_cmp_ne_u16_e64 vcc_lo, 0, v183
	v_mov_b32_e32 v182, 0
	s_and_not1_b32 s13, s13, exec_lo
	s_delay_alu instid0(VALU_DEP_2) | instskip(NEXT) | instid1(SALU_CYCLE_1)
	s_and_b32 vcc_lo, vcc_lo, exec_lo
	s_or_b32 s13, s13, vcc_lo
	s_or_b32 exec_lo, exec_lo, s36
	s_and_saveexec_b32 s35, s13
	s_cbranch_execnz .LBB2_516
	s_branch .LBB2_517
.LBB2_659:                              ;   in Loop: Header=BB2_144 Depth=3
	s_mov_b32 s13, -1
	s_mov_b32 s37, exec_lo
                                        ; implicit-def: $sgpr35
	v_cmpx_eq_u16_e64 0x80, v182
; %bb.660:                              ;   in Loop: Header=BB2_144 Depth=3
	s_mov_b32 s35, 0x7f800001
	s_xor_b32 s13, exec_lo, -1
; %bb.661:                              ;   in Loop: Header=BB2_144 Depth=3
	s_or_b32 exec_lo, exec_lo, s37
	s_delay_alu instid0(SALU_CYCLE_1)
	s_and_b32 s13, s13, exec_lo
	s_or_saveexec_b32 s36, s36
	v_mov_b32_e32 v183, s35
	s_xor_b32 exec_lo, exec_lo, s36
	s_cbranch_execz .LBB2_527
.LBB2_662:                              ;   in Loop: Header=BB2_144 Depth=3
	v_cmp_ne_u16_e64 vcc_lo, 0, v182
	v_mov_b32_e32 v183, 0
	s_and_not1_b32 s13, s13, exec_lo
	s_delay_alu instid0(VALU_DEP_2) | instskip(NEXT) | instid1(SALU_CYCLE_1)
	s_and_b32 vcc_lo, vcc_lo, exec_lo
	s_or_b32 s13, s13, vcc_lo
	s_or_b32 exec_lo, exec_lo, s36
	s_and_saveexec_b32 s35, s13
	s_cbranch_execnz .LBB2_528
	s_branch .LBB2_529
.LBB2_663:                              ;   in Loop: Header=BB2_59 Depth=2
	s_or_b32 exec_lo, exec_lo, s30
.LBB2_664:                              ;   in Loop: Header=BB2_59 Depth=2
	s_delay_alu instid0(SALU_CYCLE_1) | instskip(SKIP_4) | instid1(VALU_DEP_2)
	s_or_b32 exec_lo, exec_lo, s14
	v_lshlrev_b32_e32 v66, 10, v128
	v_mov_b32_e32 v64, 0
	s_mov_b32 s13, 0
	s_mov_b32 s30, exec_lo
                                        ; implicit-def: $vgpr65
                                        ; implicit-def: $vgpr130
                                        ; implicit-def: $vgpr10
	v_cmpx_ne_u32_e64 v51, v66
	s_cbranch_execz .LBB2_938
; %bb.665:                              ;   in Loop: Header=BB2_59 Depth=2
	v_lshlrev_b32_e32 v2, 5, v2
	v_sub_nc_u32_e32 v9, v51, v66
	s_mov_b32 s31, exec_lo
	s_delay_alu instid0(VALU_DEP_2) | instskip(NEXT) | instid1(VALU_DEP_2)
	v_sub_nc_u32_e32 v2, v81, v2
	v_ashrrev_i32_e32 v10, 31, v9
	s_delay_alu instid0(VALU_DEP_2) | instskip(NEXT) | instid1(VALU_DEP_2)
	v_ashrrev_i32_e32 v8, 31, v2
	v_lshrrev_b32_e32 v10, 23, v10
	s_delay_alu instid0(VALU_DEP_2) | instskip(NEXT) | instid1(VALU_DEP_2)
	v_lshrrev_b32_e32 v8, 27, v8
	v_add_nc_u32_e32 v10, v9, v10
	s_delay_alu instid0(VALU_DEP_2) | instskip(NEXT) | instid1(VALU_DEP_1)
	v_add_nc_u32_e32 v8, v2, v8
	v_and_b32_e32 v11, 0xffffffe0, v8
	s_delay_alu instid0(VALU_DEP_1) | instskip(NEXT) | instid1(VALU_DEP_4)
	v_sub_nc_u32_e32 v67, v2, v11
	v_and_b32_e32 v2, 0xfffffe00, v10
	v_ashrrev_i32_e32 v11, 5, v8
	v_ashrrev_i32_e32 v10, 9, v10
	s_delay_alu instid0(VALU_DEP_4) | instskip(NEXT) | instid1(VALU_DEP_4)
	v_lshlrev_b32_e32 v8, 4, v67
	v_sub_nc_u32_e32 v128, v9, v2
	s_delay_alu instid0(VALU_DEP_2) | instskip(NEXT) | instid1(VALU_DEP_2)
	v_lshl_add_u32 v8, v11, 9, v8
	v_cmp_lt_i32_e64 s13, 15, v128
	s_delay_alu instid0(VALU_DEP_2) | instskip(NEXT) | instid1(VALU_DEP_2)
	v_sub_nc_u32_e32 v130, v9, v8
	v_add_co_ci_u32_e64 v10, vcc_lo, 0, v10, s13
	s_delay_alu instid0(VALU_DEP_1) | instskip(NEXT) | instid1(VALU_DEP_3)
	v_sub_nc_u32_e32 v129, v10, v11
	v_cmpx_lt_i32_e32 15, v130
	s_cbranch_execz .LBB2_935
; %bb.666:                              ;   in Loop: Header=BB2_59 Depth=2
	s_cbranch_execz .LBB2_667
; %bb.7999:
	s_getpc_b64 s[48:49]
.Lpost_getpc32:
	s_add_u32 s48, s48, (.LBB2_7595-.Lpost_getpc32)&4294967295
	s_addc_u32 s49, s49, (.LBB2_7595-.Lpost_getpc32)>>32
	s_setpc_b64 s[48:49]
.LBB2_667:                              ;   in Loop: Header=BB2_59 Depth=2
	ds_load_b64 v[54:55], v0
	v_add_nc_u32_e32 v131, v8, v66
	s_delay_alu instid0(VALU_DEP_1) | instskip(SKIP_3) | instid1(VALU_DEP_2)
	v_ashrrev_i32_e32 v132, 31, v131
	s_waitcnt lgkmcnt(0)
	v_readfirstlane_b32 s14, v54
	v_and_b32_e32 v133, 0xff, v54
	s_and_b32 vcc_lo, s14, 3
	s_bfe_u32 s36, s14, 0x50002
	s_clz_i32_u32 s34, vcc_lo
	s_delay_alu instid0(SALU_CYCLE_1) | instskip(NEXT) | instid1(SALU_CYCLE_1)
	s_min_u32 s34, s34, 32
	s_sub_i32 s35, s34, 29
	s_sub_i32 s34, 30, s34
	s_lshl_b32 s35, s14, s35
	s_delay_alu instid0(SALU_CYCLE_1)
	s_and_b32 s35, s35, 3
	s_cmp_eq_u32 s36, 0
	s_cselect_b32 s34, s34, s36
	s_cselect_b32 vcc_lo, s35, vcc_lo
	s_lshl_b32 s14, s14, 24
	s_lshl_b32 s34, s34, 23
	s_and_b32 s14, s14, 0x80000000
	s_add_i32 s34, s34, 0x37800000
	s_lshl_b32 vcc_lo, vcc_lo, 21
	s_or_b32 s14, s14, s34
	s_mov_b32 s34, 0
	s_or_b32 s35, s14, vcc_lo
	s_branch .LBB2_671
.LBB2_668:                              ;   in Loop: Header=BB2_671 Depth=3
	s_or_b32 exec_lo, exec_lo, s14
	s_delay_alu instid0(VALU_DEP_1) | instskip(NEXT) | instid1(VALU_DEP_2)
	v_lshrrev_b32_e32 v163, 21, v163
	v_min_i32_e32 v164, 31, v162
	v_cmp_gt_i32_e32 vcc_lo, 32, v162
	v_lshrrev_b32_e32 v11, 24, v11
	s_delay_alu instid0(VALU_DEP_3) | instskip(NEXT) | instid1(VALU_DEP_2)
	v_dual_cndmask_b32 v163, 3, v163 :: v_dual_lshlrev_b32 v164, 2, v164
	v_and_b32_e32 v11, 0x80, v11
	s_delay_alu instid0(VALU_DEP_2) | instskip(NEXT) | instid1(VALU_DEP_3)
	v_and_b32_e32 v164, 0xfc, v164
	v_and_b32_e32 v165, 3, v163
	v_or_b32_e32 v162, v162, v163
	s_delay_alu instid0(VALU_DEP_2) | instskip(NEXT) | instid1(VALU_DEP_2)
	v_or3_b32 v11, v11, v164, v165
	v_cmp_ne_u32_e32 vcc_lo, 0, v162
	s_delay_alu instid0(VALU_DEP_2) | instskip(NEXT) | instid1(VALU_DEP_1)
	v_lshlrev_b32_e32 v11, 8, v11
	v_cndmask_b32_e32 v162, 0, v11, vcc_lo
.LBB2_669:                              ;   in Loop: Header=BB2_671 Depth=3
	s_or_b32 exec_lo, exec_lo, s37
.LBB2_670:                              ;   in Loop: Header=BB2_671 Depth=3
	s_delay_alu instid0(SALU_CYCLE_1)
	s_or_b32 exec_lo, exec_lo, s36
	v_or_b32_e32 v9, v9, v147
	v_and_b32_e32 v11, 0xff, v144
	v_lshlrev_b32_e32 v135, 8, v135
	v_and_b32_e32 v144, 0xff, v150
	v_lshlrev_b32_e32 v147, 8, v149
	v_or_b32_e32 v149, v162, v161
	v_sub_nc_u32_e32 v130, v130, v82
	v_lshlrev_b32_e32 v8, 24, v8
	v_lshlrev_b32_e32 v9, 16, v9
	;; [unrolled: 1-line block ×3, first 2 shown]
	v_perm_b32 v134, v135, v134, 0xc0c0500
	v_lshlrev_b32_e32 v10, 24, v10
	v_lshlrev_b32_e32 v135, 16, v144
	v_perm_b32 v144, v147, v148, 0xc0c0500
	v_lshlrev_b32_e32 v147, 16, v149
	v_cmp_gt_i32_e32 vcc_lo, 16, v130
	v_add_co_u32 v131, s14, v131, v96
	v_or3_b32 v9, v146, v145, v9
	v_or3_b32 v8, v8, v11, v134
	;; [unrolled: 1-line block ×4, first 2 shown]
	v_sub_nc_u32_e32 v129, v129, v71
	v_add_co_ci_u32_e64 v132, s14, v132, v97, s14
	s_or_b32 s34, vcc_lo, s34
	global_store_b128 v[64:65], v[8:11], off glc slc dlc
	s_and_not1_b32 exec_lo, exec_lo, s34
	s_cbranch_execz .LBB2_934
.LBB2_671:                              ;   Parent Loop BB2_51 Depth=1
                                        ;     Parent Loop BB2_59 Depth=2
                                        ; =>    This Inner Loop Header: Depth=3
	v_cmp_gt_i16_e64 vcc_lo, 0x80, v133
	s_delay_alu instid0(VALU_DEP_1)
	s_and_b32 vcc_lo, exec_lo, vcc_lo
	s_cbranch_vccnz .LBB2_675
; %bb.672:                              ;   in Loop: Header=BB2_671 Depth=3
	v_cmp_eq_u16_e64 vcc_lo, 0x80, v133
	s_mov_b32 s14, -1
                                        ; implicit-def: $sgpr36
	s_delay_alu instid0(VALU_DEP_1)
	s_and_b32 vcc_lo, exec_lo, vcc_lo
	s_cbranch_vccz .LBB2_674
; %bb.673:                              ;   in Loop: Header=BB2_671 Depth=3
	s_mov_b32 s14, 0
	s_mov_b32 s36, 0x7f800001
.LBB2_674:                              ;   in Loop: Header=BB2_671 Depth=3
	s_mov_b32 vcc_lo, 0
	s_branch .LBB2_676
.LBB2_675:                              ;   in Loop: Header=BB2_671 Depth=3
	s_mov_b32 vcc_lo, -1
	s_mov_b32 s14, 0
                                        ; implicit-def: $sgpr36
.LBB2_676:                              ;   in Loop: Header=BB2_671 Depth=3
	s_and_b32 vcc_lo, exec_lo, vcc_lo
	s_cbranch_vccz .LBB2_678
; %bb.677:                              ;   in Loop: Header=BB2_671 Depth=3
	v_cmp_ne_u16_e64 s14, 0, v133
	s_mov_b32 s36, 0
.LBB2_678:                              ;   in Loop: Header=BB2_671 Depth=3
	s_delay_alu instid0(VALU_DEP_1)
	s_and_not1_b32 vcc_lo, exec_lo, s14
	s_cbranch_vccnz .LBB2_680
; %bb.679:                              ;   in Loop: Header=BB2_671 Depth=3
	s_mov_b32 s36, s35
.LBB2_680:                              ;   in Loop: Header=BB2_671 Depth=3
	v_add_co_u32 v64, vcc_lo, v54, v131
	v_add_co_ci_u32_e32 v65, vcc_lo, v55, v132, vcc_lo
	s_mov_b32 s14, 0
	s_mov_b32 s38, exec_lo
                                        ; implicit-def: $sgpr37
	global_load_b128 v[8:11], v[64:65], off slc dlc
	s_waitcnt vmcnt(0)
	v_and_b32_e32 v135, 0xff, v8
	s_delay_alu instid0(VALU_DEP_1)
	v_cmpx_lt_i16_e64 0x7f, v135
	s_xor_b32 s38, exec_lo, s38
	s_cbranch_execnz .LBB2_870
; %bb.681:                              ;   in Loop: Header=BB2_671 Depth=3
	s_or_saveexec_b32 s38, s38
	v_mov_b32_e32 v134, s37
	s_xor_b32 exec_lo, exec_lo, s38
	s_cbranch_execnz .LBB2_873
.LBB2_682:                              ;   in Loop: Header=BB2_671 Depth=3
	s_or_b32 exec_lo, exec_lo, s38
	s_and_saveexec_b32 s37, s14
	s_cbranch_execz .LBB2_684
.LBB2_683:                              ;   in Loop: Header=BB2_671 Depth=3
	v_bfe_u32 v145, v8, 2, 5
	v_lshlrev_b32_e32 v146, 24, v8
	s_delay_alu instid0(VALU_DEP_2) | instskip(SKIP_1) | instid1(VALU_DEP_1)
	v_cmp_eq_u32_e32 vcc_lo, 0, v145
	v_and_b32_e32 v134, 3, v8
	v_clz_i32_u32_e32 v135, v134
	s_delay_alu instid0(VALU_DEP_1) | instskip(NEXT) | instid1(VALU_DEP_1)
	v_min_u32_e32 v135, 32, v135
	v_subrev_nc_u32_e32 v144, 29, v135
	v_sub_nc_u32_e32 v135, 30, v135
	s_delay_alu instid0(VALU_DEP_1) | instskip(NEXT) | instid1(VALU_DEP_1)
	v_dual_cndmask_b32 v135, v145, v135 :: v_dual_lshlrev_b32 v144, v144, v8
	v_and_b32_e32 v144, 3, v144
	s_delay_alu instid0(VALU_DEP_2) | instskip(NEXT) | instid1(VALU_DEP_2)
	v_lshl_add_u32 v135, v135, 23, 0x37800000
	v_cndmask_b32_e32 v134, v134, v144, vcc_lo
	v_and_b32_e32 v144, 0x80000000, v146
	s_delay_alu instid0(VALU_DEP_2) | instskip(NEXT) | instid1(VALU_DEP_1)
	v_lshlrev_b32_e32 v134, 21, v134
	v_or3_b32 v134, v144, v135, v134
.LBB2_684:                              ;   in Loop: Header=BB2_671 Depth=3
	s_or_b32 exec_lo, exec_lo, s37
	s_delay_alu instid0(VALU_DEP_1) | instskip(NEXT) | instid1(VALU_DEP_1)
	v_mul_f32_e32 v135, s36, v134
	v_and_b32_e32 v134, 0x7f800000, v135
	s_delay_alu instid0(VALU_DEP_1)
	v_cmp_ne_u32_e32 vcc_lo, 0x7f800000, v134
	v_mov_b32_e32 v134, 0x80
	s_and_saveexec_b32 s37, vcc_lo
	s_cbranch_execz .LBB2_692
; %bb.685:                              ;   in Loop: Header=BB2_671 Depth=3
	v_mov_b32_e32 v134, 0
	s_mov_b32 s38, exec_lo
	v_cmpx_ne_u32_e32 0, v135
	s_cbranch_execz .LBB2_691
; %bb.686:                              ;   in Loop: Header=BB2_671 Depth=3
	v_bfe_u32 v134, v135, 23, 8
	s_delay_alu instid0(VALU_DEP_1) | instskip(SKIP_1) | instid1(VALU_DEP_2)
	v_sub_nc_u32_e32 v145, 0x70, v134
	v_cmp_gt_u32_e32 vcc_lo, 0x71, v134
	v_dual_cndmask_b32 v145, 0, v145 :: v_dual_and_b32 v144, 0x7fffff, v135
	s_delay_alu instid0(VALU_DEP_1) | instskip(SKIP_2) | instid1(VALU_DEP_4)
	v_or_b32_e32 v146, 0x800000, v144
	v_cmp_eq_u32_e32 vcc_lo, 0, v134
	v_add_nc_u32_e32 v134, 0xffffff91, v134
	v_cndmask_b32_e64 v145, v145, 0x6f, vcc_lo
	s_delay_alu instid0(VALU_DEP_2) | instskip(SKIP_1) | instid1(VALU_DEP_3)
	v_cndmask_b32_e64 v134, v134, 0xffffff92, vcc_lo
	v_cndmask_b32_e32 v144, v146, v144, vcc_lo
	v_lshl_add_u32 v146, 0x200000, v145, -1
	v_lshlrev_b32_e64 v149, v145, 0x100000
	s_delay_alu instid0(VALU_DEP_3) | instskip(SKIP_1) | instid1(VALU_DEP_4)
	v_lshrrev_b32_e32 v147, v145, v144
	v_add_nc_u32_e32 v145, v145, v134
	v_and_b32_e32 v144, v146, v144
	s_delay_alu instid0(VALU_DEP_3) | instskip(NEXT) | instid1(VALU_DEP_2)
	v_bfe_u32 v148, v147, 21, 1
	v_cmp_eq_u32_e64 s14, v144, v149
	s_delay_alu instid0(VALU_DEP_2) | instskip(NEXT) | instid1(VALU_DEP_1)
	v_add_nc_u32_e32 v146, -1, v148
	v_cndmask_b32_e64 v144, 0, v146, s14
	v_lshrrev_b32_e32 v146, 23, v147
	s_mov_b32 s14, exec_lo
	s_delay_alu instid0(VALU_DEP_2) | instskip(NEXT) | instid1(VALU_DEP_2)
	v_add_nc_u32_e32 v144, v144, v147
	v_xor_b32_e32 v146, 1, v146
	s_delay_alu instid0(VALU_DEP_2) | instskip(NEXT) | instid1(VALU_DEP_1)
	v_and_b32_e32 v134, 0x1fffff, v144
	v_add_nc_u32_e32 v144, v134, v147
                                        ; implicit-def: $vgpr134
	s_delay_alu instid0(VALU_DEP_3)
	v_cmpx_ne_u32_e64 v145, v146
	s_xor_b32 s14, exec_lo, s14
; %bb.687:                              ;   in Loop: Header=BB2_671 Depth=3
	s_delay_alu instid0(VALU_DEP_2) | instskip(SKIP_2) | instid1(VALU_DEP_2)
	v_cmp_lt_u32_e32 vcc_lo, 0xffffff, v144
	v_sub_nc_u32_e32 v134, v145, v146
	v_cndmask_b32_e64 v145, 0, 1, vcc_lo
	v_add_co_ci_u32_e32 v134, vcc_lo, 0, v134, vcc_lo
	s_delay_alu instid0(VALU_DEP_2)
	v_lshrrev_b32_e32 v144, v145, v144
; %bb.688:                              ;   in Loop: Header=BB2_671 Depth=3
	s_and_not1_saveexec_b32 s14, s14
; %bb.689:                              ;   in Loop: Header=BB2_671 Depth=3
	s_delay_alu instid0(VALU_DEP_1)
	v_bfe_u32 v134, v144, 23, 1
; %bb.690:                              ;   in Loop: Header=BB2_671 Depth=3
	s_or_b32 exec_lo, exec_lo, s14
	v_lshrrev_b32_e32 v144, 21, v144
	s_delay_alu instid0(VALU_DEP_2) | instskip(SKIP_2) | instid1(VALU_DEP_2)
	v_cmp_gt_i32_e32 vcc_lo, 32, v134
	v_lshrrev_b32_e32 v135, 24, v135
	v_min_i32_e32 v145, 31, v134
	v_dual_cndmask_b32 v144, 3, v144 :: v_dual_and_b32 v135, 0x80, v135
	s_delay_alu instid0(VALU_DEP_1) | instskip(SKIP_1) | instid1(VALU_DEP_2)
	v_or_b32_e32 v134, v134, v144
	v_and_b32_e32 v146, 3, v144
	v_cmp_ne_u32_e32 vcc_lo, 0, v134
	v_lshlrev_b32_e32 v145, 2, v145
	s_delay_alu instid0(VALU_DEP_1) | instskip(NEXT) | instid1(VALU_DEP_1)
	v_or3_b32 v135, v145, v135, v146
	v_cndmask_b32_e32 v134, 0, v135, vcc_lo
.LBB2_691:                              ;   in Loop: Header=BB2_671 Depth=3
	s_or_b32 exec_lo, exec_lo, s38
.LBB2_692:                              ;   in Loop: Header=BB2_671 Depth=3
	s_delay_alu instid0(SALU_CYCLE_1) | instskip(SKIP_3) | instid1(VALU_DEP_1)
	s_or_b32 exec_lo, exec_lo, s37
	v_lshrrev_b16 v135, 8, v8
	s_mov_b32 s14, 0
	s_mov_b32 s38, exec_lo
                                        ; implicit-def: $sgpr37
	v_cmpx_lt_i16_e64 0x7f, v135
	s_xor_b32 s38, exec_lo, s38
	s_cbranch_execnz .LBB2_874
; %bb.693:                              ;   in Loop: Header=BB2_671 Depth=3
	s_or_saveexec_b32 s38, s38
	v_mov_b32_e32 v144, s37
	s_xor_b32 exec_lo, exec_lo, s38
	s_cbranch_execnz .LBB2_877
.LBB2_694:                              ;   in Loop: Header=BB2_671 Depth=3
	s_or_b32 exec_lo, exec_lo, s38
	s_and_saveexec_b32 s37, s14
	s_cbranch_execz .LBB2_696
.LBB2_695:                              ;   in Loop: Header=BB2_671 Depth=3
	v_and_b32_e32 v144, 0xffff, v135
	v_lshlrev_b32_e32 v135, 24, v135
	s_delay_alu instid0(VALU_DEP_2) | instskip(NEXT) | instid1(VALU_DEP_2)
	v_and_b32_e32 v145, 3, v144
	v_and_b32_e32 v135, 0x80000000, v135
	s_delay_alu instid0(VALU_DEP_2) | instskip(NEXT) | instid1(VALU_DEP_1)
	v_clz_i32_u32_e32 v146, v145
	v_min_u32_e32 v146, 32, v146
	s_delay_alu instid0(VALU_DEP_1) | instskip(SKIP_1) | instid1(VALU_DEP_2)
	v_subrev_nc_u32_e32 v147, 29, v146
	v_sub_nc_u32_e32 v146, 30, v146
	v_lshlrev_b32_e32 v147, v147, v144
	v_bfe_u32 v144, v144, 2, 5
	s_delay_alu instid0(VALU_DEP_2) | instskip(NEXT) | instid1(VALU_DEP_2)
	v_and_b32_e32 v147, 3, v147
	v_cmp_eq_u32_e32 vcc_lo, 0, v144
	s_delay_alu instid0(VALU_DEP_2) | instskip(NEXT) | instid1(VALU_DEP_1)
	v_dual_cndmask_b32 v144, v144, v146 :: v_dual_cndmask_b32 v145, v145, v147
	v_lshl_add_u32 v144, v144, 23, 0x37800000
	s_delay_alu instid0(VALU_DEP_2) | instskip(NEXT) | instid1(VALU_DEP_1)
	v_lshlrev_b32_e32 v145, 21, v145
	v_or3_b32 v144, v135, v144, v145
.LBB2_696:                              ;   in Loop: Header=BB2_671 Depth=3
	s_or_b32 exec_lo, exec_lo, s37
	s_delay_alu instid0(VALU_DEP_1) | instskip(NEXT) | instid1(VALU_DEP_1)
	v_mul_f32_e32 v144, s36, v144
	v_and_b32_e32 v135, 0x7f800000, v144
	s_delay_alu instid0(VALU_DEP_1)
	v_cmp_ne_u32_e32 vcc_lo, 0x7f800000, v135
	v_mov_b32_e32 v135, 0x80
	s_and_saveexec_b32 s37, vcc_lo
	s_cbranch_execz .LBB2_704
; %bb.697:                              ;   in Loop: Header=BB2_671 Depth=3
	v_mov_b32_e32 v135, 0
	s_mov_b32 s38, exec_lo
	v_cmpx_ne_u32_e32 0, v144
	s_cbranch_execz .LBB2_703
; %bb.698:                              ;   in Loop: Header=BB2_671 Depth=3
	v_bfe_u32 v135, v144, 23, 8
	s_delay_alu instid0(VALU_DEP_1) | instskip(SKIP_1) | instid1(VALU_DEP_2)
	v_sub_nc_u32_e32 v146, 0x70, v135
	v_cmp_gt_u32_e32 vcc_lo, 0x71, v135
	v_dual_cndmask_b32 v146, 0, v146 :: v_dual_and_b32 v145, 0x7fffff, v144
	s_delay_alu instid0(VALU_DEP_1) | instskip(SKIP_2) | instid1(VALU_DEP_4)
	v_or_b32_e32 v147, 0x800000, v145
	v_cmp_eq_u32_e32 vcc_lo, 0, v135
	v_add_nc_u32_e32 v135, 0xffffff91, v135
	v_cndmask_b32_e64 v146, v146, 0x6f, vcc_lo
	s_delay_alu instid0(VALU_DEP_2) | instskip(SKIP_1) | instid1(VALU_DEP_3)
	v_cndmask_b32_e64 v135, v135, 0xffffff92, vcc_lo
	v_cndmask_b32_e32 v145, v147, v145, vcc_lo
	v_lshl_add_u32 v147, 0x200000, v146, -1
	v_lshlrev_b32_e64 v150, v146, 0x100000
	s_delay_alu instid0(VALU_DEP_3) | instskip(SKIP_1) | instid1(VALU_DEP_4)
	v_lshrrev_b32_e32 v148, v146, v145
	v_add_nc_u32_e32 v146, v146, v135
	v_and_b32_e32 v145, v147, v145
	s_delay_alu instid0(VALU_DEP_3) | instskip(NEXT) | instid1(VALU_DEP_2)
	v_bfe_u32 v149, v148, 21, 1
	v_cmp_eq_u32_e64 s14, v145, v150
	s_delay_alu instid0(VALU_DEP_2) | instskip(NEXT) | instid1(VALU_DEP_1)
	v_add_nc_u32_e32 v147, -1, v149
	v_cndmask_b32_e64 v145, 0, v147, s14
	v_lshrrev_b32_e32 v147, 23, v148
	s_mov_b32 s14, exec_lo
	s_delay_alu instid0(VALU_DEP_2) | instskip(NEXT) | instid1(VALU_DEP_2)
	v_add_nc_u32_e32 v145, v145, v148
	v_xor_b32_e32 v147, 1, v147
	s_delay_alu instid0(VALU_DEP_2) | instskip(NEXT) | instid1(VALU_DEP_1)
	v_and_b32_e32 v135, 0x1fffff, v145
	v_add_nc_u32_e32 v145, v135, v148
                                        ; implicit-def: $vgpr135
	s_delay_alu instid0(VALU_DEP_3)
	v_cmpx_ne_u32_e64 v146, v147
	s_xor_b32 s14, exec_lo, s14
; %bb.699:                              ;   in Loop: Header=BB2_671 Depth=3
	s_delay_alu instid0(VALU_DEP_2) | instskip(SKIP_2) | instid1(VALU_DEP_2)
	v_cmp_lt_u32_e32 vcc_lo, 0xffffff, v145
	v_sub_nc_u32_e32 v135, v146, v147
	v_cndmask_b32_e64 v146, 0, 1, vcc_lo
	v_add_co_ci_u32_e32 v135, vcc_lo, 0, v135, vcc_lo
	s_delay_alu instid0(VALU_DEP_2)
	v_lshrrev_b32_e32 v145, v146, v145
; %bb.700:                              ;   in Loop: Header=BB2_671 Depth=3
	s_and_not1_saveexec_b32 s14, s14
; %bb.701:                              ;   in Loop: Header=BB2_671 Depth=3
	s_delay_alu instid0(VALU_DEP_1)
	v_bfe_u32 v135, v145, 23, 1
; %bb.702:                              ;   in Loop: Header=BB2_671 Depth=3
	s_or_b32 exec_lo, exec_lo, s14
	v_lshrrev_b32_e32 v145, 21, v145
	s_delay_alu instid0(VALU_DEP_2) | instskip(SKIP_2) | instid1(VALU_DEP_2)
	v_cmp_gt_i32_e32 vcc_lo, 32, v135
	v_lshrrev_b32_e32 v144, 24, v144
	v_min_i32_e32 v146, 31, v135
	v_dual_cndmask_b32 v145, 3, v145 :: v_dual_and_b32 v144, 0x80, v144
	s_delay_alu instid0(VALU_DEP_1) | instskip(SKIP_1) | instid1(VALU_DEP_2)
	v_or_b32_e32 v135, v135, v145
	v_and_b32_e32 v147, 3, v145
	v_cmp_ne_u32_e32 vcc_lo, 0, v135
	v_lshlrev_b32_e32 v146, 2, v146
	s_delay_alu instid0(VALU_DEP_1) | instskip(NEXT) | instid1(VALU_DEP_1)
	v_or3_b32 v144, v146, v144, v147
	v_cndmask_b32_e32 v135, 0, v144, vcc_lo
.LBB2_703:                              ;   in Loop: Header=BB2_671 Depth=3
	s_or_b32 exec_lo, exec_lo, s38
.LBB2_704:                              ;   in Loop: Header=BB2_671 Depth=3
	s_delay_alu instid0(SALU_CYCLE_1) | instskip(SKIP_3) | instid1(VALU_DEP_1)
	s_or_b32 exec_lo, exec_lo, s37
	v_lshrrev_b32_e32 v144, 16, v8
	s_mov_b32 s14, 0
	s_mov_b32 s38, exec_lo
                                        ; implicit-def: $sgpr37
	v_and_b32_e32 v146, 0xff, v144
	s_delay_alu instid0(VALU_DEP_1)
	v_cmpx_lt_i16_e64 0x7f, v146
	s_xor_b32 s38, exec_lo, s38
	s_cbranch_execnz .LBB2_878
; %bb.705:                              ;   in Loop: Header=BB2_671 Depth=3
	s_or_saveexec_b32 s38, s38
	v_mov_b32_e32 v145, s37
	s_xor_b32 exec_lo, exec_lo, s38
	s_cbranch_execnz .LBB2_881
.LBB2_706:                              ;   in Loop: Header=BB2_671 Depth=3
	s_or_b32 exec_lo, exec_lo, s38
	s_and_saveexec_b32 s37, s14
	s_cbranch_execz .LBB2_708
.LBB2_707:                              ;   in Loop: Header=BB2_671 Depth=3
	v_bfe_u32 v145, v8, 16, 2
	v_lshlrev_b32_e32 v148, 8, v8
	s_delay_alu instid0(VALU_DEP_2) | instskip(NEXT) | instid1(VALU_DEP_1)
	v_clz_i32_u32_e32 v146, v145
	v_min_u32_e32 v146, 32, v146
	s_delay_alu instid0(VALU_DEP_1) | instskip(SKIP_1) | instid1(VALU_DEP_2)
	v_subrev_nc_u32_e32 v147, 29, v146
	v_sub_nc_u32_e32 v146, 30, v146
	v_lshlrev_b32_e32 v144, v147, v144
	v_bfe_u32 v147, v8, 18, 5
	s_delay_alu instid0(VALU_DEP_2) | instskip(NEXT) | instid1(VALU_DEP_2)
	v_and_b32_e32 v144, 3, v144
	v_cmp_eq_u32_e32 vcc_lo, 0, v147
	v_cndmask_b32_e32 v146, v147, v146, vcc_lo
	s_delay_alu instid0(VALU_DEP_3) | instskip(SKIP_1) | instid1(VALU_DEP_3)
	v_cndmask_b32_e32 v144, v145, v144, vcc_lo
	v_and_b32_e32 v145, 0x80000000, v148
	v_lshl_add_u32 v146, v146, 23, 0x37800000
	s_delay_alu instid0(VALU_DEP_3) | instskip(NEXT) | instid1(VALU_DEP_1)
	v_lshlrev_b32_e32 v144, 21, v144
	v_or3_b32 v145, v145, v146, v144
.LBB2_708:                              ;   in Loop: Header=BB2_671 Depth=3
	s_or_b32 exec_lo, exec_lo, s37
	s_delay_alu instid0(VALU_DEP_1) | instskip(NEXT) | instid1(VALU_DEP_1)
	v_mul_f32_e32 v145, s36, v145
	v_and_b32_e32 v144, 0x7f800000, v145
	s_delay_alu instid0(VALU_DEP_1)
	v_cmp_ne_u32_e32 vcc_lo, 0x7f800000, v144
	v_mov_b32_e32 v144, 0x80
	s_and_saveexec_b32 s37, vcc_lo
	s_cbranch_execz .LBB2_716
; %bb.709:                              ;   in Loop: Header=BB2_671 Depth=3
	v_mov_b32_e32 v144, 0
	s_mov_b32 s38, exec_lo
	v_cmpx_ne_u32_e32 0, v145
	s_cbranch_execz .LBB2_715
; %bb.710:                              ;   in Loop: Header=BB2_671 Depth=3
	v_bfe_u32 v144, v145, 23, 8
	s_delay_alu instid0(VALU_DEP_1) | instskip(SKIP_1) | instid1(VALU_DEP_2)
	v_sub_nc_u32_e32 v147, 0x70, v144
	v_cmp_gt_u32_e32 vcc_lo, 0x71, v144
	v_dual_cndmask_b32 v147, 0, v147 :: v_dual_and_b32 v146, 0x7fffff, v145
	s_delay_alu instid0(VALU_DEP_1) | instskip(SKIP_2) | instid1(VALU_DEP_4)
	v_or_b32_e32 v148, 0x800000, v146
	v_cmp_eq_u32_e32 vcc_lo, 0, v144
	v_add_nc_u32_e32 v144, 0xffffff91, v144
	v_cndmask_b32_e64 v147, v147, 0x6f, vcc_lo
	s_delay_alu instid0(VALU_DEP_2) | instskip(SKIP_1) | instid1(VALU_DEP_3)
	v_cndmask_b32_e64 v144, v144, 0xffffff92, vcc_lo
	v_cndmask_b32_e32 v146, v148, v146, vcc_lo
	v_lshl_add_u32 v148, 0x200000, v147, -1
	v_lshlrev_b32_e64 v151, v147, 0x100000
	s_delay_alu instid0(VALU_DEP_3) | instskip(SKIP_1) | instid1(VALU_DEP_4)
	v_lshrrev_b32_e32 v149, v147, v146
	v_add_nc_u32_e32 v147, v147, v144
	v_and_b32_e32 v146, v148, v146
	s_delay_alu instid0(VALU_DEP_3) | instskip(NEXT) | instid1(VALU_DEP_2)
	v_bfe_u32 v150, v149, 21, 1
	v_cmp_eq_u32_e64 s14, v146, v151
	s_delay_alu instid0(VALU_DEP_2) | instskip(NEXT) | instid1(VALU_DEP_1)
	v_add_nc_u32_e32 v148, -1, v150
	v_cndmask_b32_e64 v146, 0, v148, s14
	v_lshrrev_b32_e32 v148, 23, v149
	s_mov_b32 s14, exec_lo
	s_delay_alu instid0(VALU_DEP_2) | instskip(NEXT) | instid1(VALU_DEP_2)
	v_add_nc_u32_e32 v146, v146, v149
	v_xor_b32_e32 v148, 1, v148
	s_delay_alu instid0(VALU_DEP_2) | instskip(NEXT) | instid1(VALU_DEP_1)
	v_and_b32_e32 v144, 0x1fffff, v146
	v_add_nc_u32_e32 v146, v144, v149
                                        ; implicit-def: $vgpr144
	s_delay_alu instid0(VALU_DEP_3)
	v_cmpx_ne_u32_e64 v147, v148
	s_xor_b32 s14, exec_lo, s14
; %bb.711:                              ;   in Loop: Header=BB2_671 Depth=3
	s_delay_alu instid0(VALU_DEP_2) | instskip(SKIP_2) | instid1(VALU_DEP_2)
	v_cmp_lt_u32_e32 vcc_lo, 0xffffff, v146
	v_sub_nc_u32_e32 v144, v147, v148
	v_cndmask_b32_e64 v147, 0, 1, vcc_lo
	v_add_co_ci_u32_e32 v144, vcc_lo, 0, v144, vcc_lo
	s_delay_alu instid0(VALU_DEP_2)
	v_lshrrev_b32_e32 v146, v147, v146
; %bb.712:                              ;   in Loop: Header=BB2_671 Depth=3
	s_and_not1_saveexec_b32 s14, s14
; %bb.713:                              ;   in Loop: Header=BB2_671 Depth=3
	s_delay_alu instid0(VALU_DEP_1)
	v_bfe_u32 v144, v146, 23, 1
; %bb.714:                              ;   in Loop: Header=BB2_671 Depth=3
	s_or_b32 exec_lo, exec_lo, s14
	v_lshrrev_b32_e32 v146, 21, v146
	s_delay_alu instid0(VALU_DEP_2) | instskip(SKIP_2) | instid1(VALU_DEP_2)
	v_cmp_gt_i32_e32 vcc_lo, 32, v144
	v_lshrrev_b32_e32 v145, 24, v145
	v_min_i32_e32 v147, 31, v144
	v_dual_cndmask_b32 v146, 3, v146 :: v_dual_and_b32 v145, 0x80, v145
	s_delay_alu instid0(VALU_DEP_1) | instskip(SKIP_1) | instid1(VALU_DEP_2)
	v_or_b32_e32 v144, v144, v146
	v_and_b32_e32 v148, 3, v146
	v_cmp_ne_u32_e32 vcc_lo, 0, v144
	v_lshlrev_b32_e32 v147, 2, v147
	s_delay_alu instid0(VALU_DEP_1) | instskip(NEXT) | instid1(VALU_DEP_1)
	v_or3_b32 v145, v147, v145, v148
	v_cndmask_b32_e32 v144, 0, v145, vcc_lo
.LBB2_715:                              ;   in Loop: Header=BB2_671 Depth=3
	s_or_b32 exec_lo, exec_lo, s38
.LBB2_716:                              ;   in Loop: Header=BB2_671 Depth=3
	s_delay_alu instid0(SALU_CYCLE_1) | instskip(SKIP_3) | instid1(VALU_DEP_1)
	s_or_b32 exec_lo, exec_lo, s37
	v_lshrrev_b32_e32 v145, 24, v8
	s_mov_b32 s14, 0
	s_mov_b32 s38, exec_lo
                                        ; implicit-def: $sgpr37
	v_cmpx_lt_i16_e64 0x7f, v145
	s_xor_b32 s38, exec_lo, s38
	s_cbranch_execnz .LBB2_882
; %bb.717:                              ;   in Loop: Header=BB2_671 Depth=3
	s_or_saveexec_b32 s38, s38
	v_mov_b32_e32 v146, s37
	s_xor_b32 exec_lo, exec_lo, s38
	s_cbranch_execnz .LBB2_885
.LBB2_718:                              ;   in Loop: Header=BB2_671 Depth=3
	s_or_b32 exec_lo, exec_lo, s38
	s_and_saveexec_b32 s37, s14
	s_cbranch_execz .LBB2_720
.LBB2_719:                              ;   in Loop: Header=BB2_671 Depth=3
	v_bfe_u32 v146, v8, 24, 2
	s_delay_alu instid0(VALU_DEP_1) | instskip(NEXT) | instid1(VALU_DEP_1)
	v_clz_i32_u32_e32 v147, v146
	v_min_u32_e32 v147, 32, v147
	s_delay_alu instid0(VALU_DEP_1) | instskip(SKIP_1) | instid1(VALU_DEP_2)
	v_subrev_nc_u32_e32 v148, 29, v147
	v_sub_nc_u32_e32 v147, 30, v147
	v_lshlrev_b32_e32 v145, v148, v145
	v_bfe_u32 v148, v8, 26, 5
	v_and_b32_e32 v8, 0x80000000, v8
	s_delay_alu instid0(VALU_DEP_3) | instskip(NEXT) | instid1(VALU_DEP_3)
	v_and_b32_e32 v145, 3, v145
	v_cmp_eq_u32_e32 vcc_lo, 0, v148
	v_cndmask_b32_e32 v147, v148, v147, vcc_lo
	s_delay_alu instid0(VALU_DEP_3) | instskip(NEXT) | instid1(VALU_DEP_2)
	v_cndmask_b32_e32 v145, v146, v145, vcc_lo
	v_lshl_add_u32 v146, v147, 23, 0x37800000
	s_delay_alu instid0(VALU_DEP_2) | instskip(NEXT) | instid1(VALU_DEP_1)
	v_lshlrev_b32_e32 v145, 21, v145
	v_or3_b32 v146, v8, v146, v145
.LBB2_720:                              ;   in Loop: Header=BB2_671 Depth=3
	s_or_b32 exec_lo, exec_lo, s37
	s_delay_alu instid0(VALU_DEP_1) | instskip(NEXT) | instid1(VALU_DEP_1)
	v_mul_f32_e32 v145, s36, v146
	v_and_b32_e32 v8, 0x7f800000, v145
	s_delay_alu instid0(VALU_DEP_1)
	v_cmp_ne_u32_e32 vcc_lo, 0x7f800000, v8
	v_mov_b32_e32 v8, 0x80
	s_and_saveexec_b32 s37, vcc_lo
	s_cbranch_execz .LBB2_728
; %bb.721:                              ;   in Loop: Header=BB2_671 Depth=3
	v_mov_b32_e32 v8, 0
	s_mov_b32 s38, exec_lo
	v_cmpx_ne_u32_e32 0, v145
	s_cbranch_execz .LBB2_727
; %bb.722:                              ;   in Loop: Header=BB2_671 Depth=3
	v_bfe_u32 v8, v145, 23, 8
	s_delay_alu instid0(VALU_DEP_1) | instskip(SKIP_1) | instid1(VALU_DEP_2)
	v_sub_nc_u32_e32 v147, 0x70, v8
	v_cmp_gt_u32_e32 vcc_lo, 0x71, v8
	v_dual_cndmask_b32 v147, 0, v147 :: v_dual_and_b32 v146, 0x7fffff, v145
	s_delay_alu instid0(VALU_DEP_1) | instskip(SKIP_2) | instid1(VALU_DEP_4)
	v_or_b32_e32 v148, 0x800000, v146
	v_cmp_eq_u32_e32 vcc_lo, 0, v8
	v_add_nc_u32_e32 v8, 0xffffff91, v8
	v_cndmask_b32_e64 v147, v147, 0x6f, vcc_lo
	s_delay_alu instid0(VALU_DEP_2) | instskip(SKIP_1) | instid1(VALU_DEP_3)
	v_cndmask_b32_e64 v8, v8, 0xffffff92, vcc_lo
	v_cndmask_b32_e32 v146, v148, v146, vcc_lo
	v_lshl_add_u32 v148, 0x200000, v147, -1
	v_lshlrev_b32_e64 v151, v147, 0x100000
	s_delay_alu instid0(VALU_DEP_3) | instskip(SKIP_1) | instid1(VALU_DEP_4)
	v_lshrrev_b32_e32 v149, v147, v146
	v_add_nc_u32_e32 v147, v147, v8
	v_and_b32_e32 v146, v148, v146
	s_delay_alu instid0(VALU_DEP_3) | instskip(NEXT) | instid1(VALU_DEP_2)
	v_bfe_u32 v150, v149, 21, 1
	v_cmp_eq_u32_e64 s14, v146, v151
	s_delay_alu instid0(VALU_DEP_2) | instskip(NEXT) | instid1(VALU_DEP_1)
	v_add_nc_u32_e32 v148, -1, v150
	v_cndmask_b32_e64 v146, 0, v148, s14
	v_lshrrev_b32_e32 v148, 23, v149
	s_mov_b32 s14, exec_lo
	s_delay_alu instid0(VALU_DEP_2) | instskip(NEXT) | instid1(VALU_DEP_2)
	v_add_nc_u32_e32 v146, v146, v149
	v_xor_b32_e32 v148, 1, v148
	s_delay_alu instid0(VALU_DEP_2) | instskip(NEXT) | instid1(VALU_DEP_1)
	v_and_b32_e32 v8, 0x1fffff, v146
	v_add_nc_u32_e32 v146, v8, v149
                                        ; implicit-def: $vgpr8
	s_delay_alu instid0(VALU_DEP_3)
	v_cmpx_ne_u32_e64 v147, v148
	s_xor_b32 s14, exec_lo, s14
; %bb.723:                              ;   in Loop: Header=BB2_671 Depth=3
	s_delay_alu instid0(VALU_DEP_2) | instskip(SKIP_2) | instid1(VALU_DEP_2)
	v_cmp_lt_u32_e32 vcc_lo, 0xffffff, v146
	v_sub_nc_u32_e32 v8, v147, v148
	v_cndmask_b32_e64 v147, 0, 1, vcc_lo
	v_add_co_ci_u32_e32 v8, vcc_lo, 0, v8, vcc_lo
	s_delay_alu instid0(VALU_DEP_2)
	v_lshrrev_b32_e32 v146, v147, v146
; %bb.724:                              ;   in Loop: Header=BB2_671 Depth=3
	s_and_not1_saveexec_b32 s14, s14
; %bb.725:                              ;   in Loop: Header=BB2_671 Depth=3
	s_delay_alu instid0(VALU_DEP_1)
	v_bfe_u32 v8, v146, 23, 1
; %bb.726:                              ;   in Loop: Header=BB2_671 Depth=3
	s_or_b32 exec_lo, exec_lo, s14
	v_lshrrev_b32_e32 v146, 21, v146
	s_delay_alu instid0(VALU_DEP_2) | instskip(SKIP_2) | instid1(VALU_DEP_2)
	v_cmp_gt_i32_e32 vcc_lo, 32, v8
	v_lshrrev_b32_e32 v145, 24, v145
	v_min_i32_e32 v147, 31, v8
	v_dual_cndmask_b32 v146, 3, v146 :: v_dual_and_b32 v145, 0x80, v145
	s_delay_alu instid0(VALU_DEP_1) | instskip(SKIP_1) | instid1(VALU_DEP_2)
	v_or_b32_e32 v8, v8, v146
	v_and_b32_e32 v148, 3, v146
	v_cmp_ne_u32_e32 vcc_lo, 0, v8
	v_lshlrev_b32_e32 v147, 2, v147
	s_delay_alu instid0(VALU_DEP_1) | instskip(NEXT) | instid1(VALU_DEP_1)
	v_or3_b32 v145, v147, v145, v148
	v_cndmask_b32_e32 v8, 0, v145, vcc_lo
.LBB2_727:                              ;   in Loop: Header=BB2_671 Depth=3
	s_or_b32 exec_lo, exec_lo, s38
.LBB2_728:                              ;   in Loop: Header=BB2_671 Depth=3
	s_delay_alu instid0(SALU_CYCLE_1) | instskip(SKIP_3) | instid1(VALU_DEP_1)
	s_or_b32 exec_lo, exec_lo, s37
	v_and_b32_e32 v146, 0xff, v9
	s_mov_b32 s14, 0
	s_mov_b32 s38, exec_lo
                                        ; implicit-def: $sgpr37
	v_cmpx_lt_i16_e64 0x7f, v146
	s_xor_b32 s38, exec_lo, s38
	s_cbranch_execnz .LBB2_886
; %bb.729:                              ;   in Loop: Header=BB2_671 Depth=3
	s_or_saveexec_b32 s38, s38
	v_mov_b32_e32 v145, s37
	s_xor_b32 exec_lo, exec_lo, s38
	s_cbranch_execnz .LBB2_889
.LBB2_730:                              ;   in Loop: Header=BB2_671 Depth=3
	s_or_b32 exec_lo, exec_lo, s38
	s_and_saveexec_b32 s37, s14
	s_cbranch_execz .LBB2_732
.LBB2_731:                              ;   in Loop: Header=BB2_671 Depth=3
	v_bfe_u32 v148, v9, 2, 5
	v_lshlrev_b32_e32 v149, 24, v9
	s_delay_alu instid0(VALU_DEP_2) | instskip(SKIP_1) | instid1(VALU_DEP_1)
	v_cmp_eq_u32_e32 vcc_lo, 0, v148
	v_and_b32_e32 v145, 3, v9
	v_clz_i32_u32_e32 v146, v145
	s_delay_alu instid0(VALU_DEP_1) | instskip(NEXT) | instid1(VALU_DEP_1)
	v_min_u32_e32 v146, 32, v146
	v_subrev_nc_u32_e32 v147, 29, v146
	v_sub_nc_u32_e32 v146, 30, v146
	s_delay_alu instid0(VALU_DEP_1) | instskip(NEXT) | instid1(VALU_DEP_1)
	v_dual_cndmask_b32 v146, v148, v146 :: v_dual_lshlrev_b32 v147, v147, v9
	v_and_b32_e32 v147, 3, v147
	s_delay_alu instid0(VALU_DEP_2) | instskip(NEXT) | instid1(VALU_DEP_2)
	v_lshl_add_u32 v146, v146, 23, 0x37800000
	v_cndmask_b32_e32 v145, v145, v147, vcc_lo
	v_and_b32_e32 v147, 0x80000000, v149
	s_delay_alu instid0(VALU_DEP_2) | instskip(NEXT) | instid1(VALU_DEP_1)
	v_lshlrev_b32_e32 v145, 21, v145
	v_or3_b32 v145, v147, v146, v145
.LBB2_732:                              ;   in Loop: Header=BB2_671 Depth=3
	s_or_b32 exec_lo, exec_lo, s37
	s_delay_alu instid0(VALU_DEP_1) | instskip(NEXT) | instid1(VALU_DEP_1)
	v_mul_f32_e32 v146, s36, v145
	v_and_b32_e32 v145, 0x7f800000, v146
	s_delay_alu instid0(VALU_DEP_1)
	v_cmp_ne_u32_e32 vcc_lo, 0x7f800000, v145
	v_mov_b32_e32 v145, 0x80
	s_and_saveexec_b32 s37, vcc_lo
	s_cbranch_execz .LBB2_740
; %bb.733:                              ;   in Loop: Header=BB2_671 Depth=3
	v_mov_b32_e32 v145, 0
	s_mov_b32 s38, exec_lo
	v_cmpx_ne_u32_e32 0, v146
	s_cbranch_execz .LBB2_739
; %bb.734:                              ;   in Loop: Header=BB2_671 Depth=3
	v_bfe_u32 v145, v146, 23, 8
	s_delay_alu instid0(VALU_DEP_1) | instskip(SKIP_1) | instid1(VALU_DEP_2)
	v_sub_nc_u32_e32 v148, 0x70, v145
	v_cmp_gt_u32_e32 vcc_lo, 0x71, v145
	v_dual_cndmask_b32 v148, 0, v148 :: v_dual_and_b32 v147, 0x7fffff, v146
	s_delay_alu instid0(VALU_DEP_1) | instskip(SKIP_2) | instid1(VALU_DEP_4)
	v_or_b32_e32 v149, 0x800000, v147
	v_cmp_eq_u32_e32 vcc_lo, 0, v145
	v_add_nc_u32_e32 v145, 0xffffff91, v145
	v_cndmask_b32_e64 v148, v148, 0x6f, vcc_lo
	s_delay_alu instid0(VALU_DEP_2) | instskip(SKIP_1) | instid1(VALU_DEP_3)
	v_cndmask_b32_e64 v145, v145, 0xffffff92, vcc_lo
	v_cndmask_b32_e32 v147, v149, v147, vcc_lo
	v_lshl_add_u32 v149, 0x200000, v148, -1
	v_lshlrev_b32_e64 v160, v148, 0x100000
	s_delay_alu instid0(VALU_DEP_3) | instskip(SKIP_1) | instid1(VALU_DEP_4)
	v_lshrrev_b32_e32 v150, v148, v147
	v_add_nc_u32_e32 v148, v148, v145
	v_and_b32_e32 v147, v149, v147
	s_delay_alu instid0(VALU_DEP_3) | instskip(NEXT) | instid1(VALU_DEP_2)
	v_bfe_u32 v151, v150, 21, 1
	v_cmp_eq_u32_e64 s14, v147, v160
	s_delay_alu instid0(VALU_DEP_2) | instskip(NEXT) | instid1(VALU_DEP_1)
	v_add_nc_u32_e32 v149, -1, v151
	v_cndmask_b32_e64 v147, 0, v149, s14
	v_lshrrev_b32_e32 v149, 23, v150
	s_mov_b32 s14, exec_lo
	s_delay_alu instid0(VALU_DEP_2) | instskip(NEXT) | instid1(VALU_DEP_2)
	v_add_nc_u32_e32 v147, v147, v150
	v_xor_b32_e32 v149, 1, v149
	s_delay_alu instid0(VALU_DEP_2) | instskip(NEXT) | instid1(VALU_DEP_1)
	v_and_b32_e32 v145, 0x1fffff, v147
	v_add_nc_u32_e32 v147, v145, v150
                                        ; implicit-def: $vgpr145
	s_delay_alu instid0(VALU_DEP_3)
	v_cmpx_ne_u32_e64 v148, v149
	s_xor_b32 s14, exec_lo, s14
; %bb.735:                              ;   in Loop: Header=BB2_671 Depth=3
	s_delay_alu instid0(VALU_DEP_2) | instskip(SKIP_2) | instid1(VALU_DEP_2)
	v_cmp_lt_u32_e32 vcc_lo, 0xffffff, v147
	v_sub_nc_u32_e32 v145, v148, v149
	v_cndmask_b32_e64 v148, 0, 1, vcc_lo
	v_add_co_ci_u32_e32 v145, vcc_lo, 0, v145, vcc_lo
	s_delay_alu instid0(VALU_DEP_2)
	v_lshrrev_b32_e32 v147, v148, v147
; %bb.736:                              ;   in Loop: Header=BB2_671 Depth=3
	s_and_not1_saveexec_b32 s14, s14
; %bb.737:                              ;   in Loop: Header=BB2_671 Depth=3
	s_delay_alu instid0(VALU_DEP_1)
	v_bfe_u32 v145, v147, 23, 1
; %bb.738:                              ;   in Loop: Header=BB2_671 Depth=3
	s_or_b32 exec_lo, exec_lo, s14
	v_lshrrev_b32_e32 v147, 21, v147
	s_delay_alu instid0(VALU_DEP_2) | instskip(SKIP_2) | instid1(VALU_DEP_2)
	v_cmp_gt_i32_e32 vcc_lo, 32, v145
	v_min_i32_e32 v148, 31, v145
	v_lshrrev_b32_e32 v146, 24, v146
	v_dual_cndmask_b32 v147, 3, v147 :: v_dual_lshlrev_b32 v148, 2, v148
	s_delay_alu instid0(VALU_DEP_2) | instskip(NEXT) | instid1(VALU_DEP_2)
	v_and_b32_e32 v146, 0x80, v146
	v_or_b32_e32 v145, v145, v147
	v_and_b32_e32 v149, 3, v147
	s_delay_alu instid0(VALU_DEP_2) | instskip(SKIP_1) | instid1(VALU_DEP_1)
	v_cmp_ne_u32_e32 vcc_lo, 0, v145
	v_and_b32_e32 v148, 0xfc, v148
	v_or3_b32 v146, v148, v146, v149
	s_delay_alu instid0(VALU_DEP_1)
	v_cndmask_b32_e32 v145, 0, v146, vcc_lo
.LBB2_739:                              ;   in Loop: Header=BB2_671 Depth=3
	s_or_b32 exec_lo, exec_lo, s38
.LBB2_740:                              ;   in Loop: Header=BB2_671 Depth=3
	s_delay_alu instid0(SALU_CYCLE_1) | instskip(SKIP_3) | instid1(VALU_DEP_1)
	s_or_b32 exec_lo, exec_lo, s37
	v_lshrrev_b16 v146, 8, v9
	s_mov_b32 s14, 0
	s_mov_b32 s38, exec_lo
                                        ; implicit-def: $sgpr37
	v_cmpx_lt_i16_e64 0x7f, v146
	s_xor_b32 s38, exec_lo, s38
	s_cbranch_execnz .LBB2_890
; %bb.741:                              ;   in Loop: Header=BB2_671 Depth=3
	s_or_saveexec_b32 s38, s38
	v_mov_b32_e32 v147, s37
	s_xor_b32 exec_lo, exec_lo, s38
	s_cbranch_execnz .LBB2_893
.LBB2_742:                              ;   in Loop: Header=BB2_671 Depth=3
	s_or_b32 exec_lo, exec_lo, s38
	s_and_saveexec_b32 s37, s14
	s_cbranch_execz .LBB2_744
.LBB2_743:                              ;   in Loop: Header=BB2_671 Depth=3
	v_and_b32_e32 v147, 0xffff, v146
	v_lshlrev_b32_e32 v146, 24, v146
	s_delay_alu instid0(VALU_DEP_2) | instskip(NEXT) | instid1(VALU_DEP_2)
	v_and_b32_e32 v148, 3, v147
	v_and_b32_e32 v146, 0x80000000, v146
	s_delay_alu instid0(VALU_DEP_2) | instskip(NEXT) | instid1(VALU_DEP_1)
	v_clz_i32_u32_e32 v149, v148
	v_min_u32_e32 v149, 32, v149
	s_delay_alu instid0(VALU_DEP_1) | instskip(SKIP_1) | instid1(VALU_DEP_2)
	v_subrev_nc_u32_e32 v150, 29, v149
	v_sub_nc_u32_e32 v149, 30, v149
	v_lshlrev_b32_e32 v150, v150, v147
	v_bfe_u32 v147, v147, 2, 5
	s_delay_alu instid0(VALU_DEP_2) | instskip(NEXT) | instid1(VALU_DEP_2)
	v_and_b32_e32 v150, 3, v150
	v_cmp_eq_u32_e32 vcc_lo, 0, v147
	s_delay_alu instid0(VALU_DEP_2) | instskip(NEXT) | instid1(VALU_DEP_1)
	v_dual_cndmask_b32 v147, v147, v149 :: v_dual_cndmask_b32 v148, v148, v150
	v_lshl_add_u32 v147, v147, 23, 0x37800000
	s_delay_alu instid0(VALU_DEP_2) | instskip(NEXT) | instid1(VALU_DEP_1)
	v_lshlrev_b32_e32 v148, 21, v148
	v_or3_b32 v147, v146, v147, v148
.LBB2_744:                              ;   in Loop: Header=BB2_671 Depth=3
	s_or_b32 exec_lo, exec_lo, s37
	s_delay_alu instid0(VALU_DEP_1) | instskip(NEXT) | instid1(VALU_DEP_1)
	v_mul_f32_e32 v147, s36, v147
	v_and_b32_e32 v146, 0x7f800000, v147
	s_delay_alu instid0(VALU_DEP_1)
	v_cmp_ne_u32_e32 vcc_lo, 0x7f800000, v146
	v_mov_b32_e32 v146, 0x8000
	s_and_saveexec_b32 s37, vcc_lo
	s_cbranch_execz .LBB2_752
; %bb.745:                              ;   in Loop: Header=BB2_671 Depth=3
	v_mov_b32_e32 v146, 0
	s_mov_b32 s38, exec_lo
	v_cmpx_ne_u32_e32 0, v147
	s_cbranch_execz .LBB2_751
; %bb.746:                              ;   in Loop: Header=BB2_671 Depth=3
	v_bfe_u32 v146, v147, 23, 8
	s_delay_alu instid0(VALU_DEP_1) | instskip(SKIP_1) | instid1(VALU_DEP_2)
	v_sub_nc_u32_e32 v149, 0x70, v146
	v_cmp_gt_u32_e32 vcc_lo, 0x71, v146
	v_dual_cndmask_b32 v149, 0, v149 :: v_dual_and_b32 v148, 0x7fffff, v147
	s_delay_alu instid0(VALU_DEP_1) | instskip(SKIP_2) | instid1(VALU_DEP_4)
	v_or_b32_e32 v150, 0x800000, v148
	v_cmp_eq_u32_e32 vcc_lo, 0, v146
	v_add_nc_u32_e32 v146, 0xffffff91, v146
	v_cndmask_b32_e64 v149, v149, 0x6f, vcc_lo
	s_delay_alu instid0(VALU_DEP_2) | instskip(SKIP_1) | instid1(VALU_DEP_3)
	v_cndmask_b32_e64 v146, v146, 0xffffff92, vcc_lo
	v_cndmask_b32_e32 v148, v150, v148, vcc_lo
	v_lshl_add_u32 v150, 0x200000, v149, -1
	v_lshlrev_b32_e64 v161, v149, 0x100000
	s_delay_alu instid0(VALU_DEP_3) | instskip(SKIP_1) | instid1(VALU_DEP_4)
	v_lshrrev_b32_e32 v151, v149, v148
	v_add_nc_u32_e32 v149, v149, v146
	v_and_b32_e32 v148, v150, v148
	s_delay_alu instid0(VALU_DEP_3) | instskip(NEXT) | instid1(VALU_DEP_2)
	v_bfe_u32 v160, v151, 21, 1
	v_cmp_eq_u32_e64 s14, v148, v161
	s_delay_alu instid0(VALU_DEP_2) | instskip(NEXT) | instid1(VALU_DEP_1)
	v_add_nc_u32_e32 v150, -1, v160
	v_cndmask_b32_e64 v148, 0, v150, s14
	v_lshrrev_b32_e32 v150, 23, v151
	s_mov_b32 s14, exec_lo
	s_delay_alu instid0(VALU_DEP_2) | instskip(NEXT) | instid1(VALU_DEP_2)
	v_add_nc_u32_e32 v148, v148, v151
	v_xor_b32_e32 v150, 1, v150
	s_delay_alu instid0(VALU_DEP_2) | instskip(NEXT) | instid1(VALU_DEP_1)
	v_and_b32_e32 v146, 0x1fffff, v148
	v_add_nc_u32_e32 v148, v146, v151
                                        ; implicit-def: $vgpr146
	s_delay_alu instid0(VALU_DEP_3)
	v_cmpx_ne_u32_e64 v149, v150
	s_xor_b32 s14, exec_lo, s14
; %bb.747:                              ;   in Loop: Header=BB2_671 Depth=3
	s_delay_alu instid0(VALU_DEP_2) | instskip(SKIP_2) | instid1(VALU_DEP_2)
	v_cmp_lt_u32_e32 vcc_lo, 0xffffff, v148
	v_sub_nc_u32_e32 v146, v149, v150
	v_cndmask_b32_e64 v149, 0, 1, vcc_lo
	v_add_co_ci_u32_e32 v146, vcc_lo, 0, v146, vcc_lo
	s_delay_alu instid0(VALU_DEP_2)
	v_lshrrev_b32_e32 v148, v149, v148
; %bb.748:                              ;   in Loop: Header=BB2_671 Depth=3
	s_and_not1_saveexec_b32 s14, s14
; %bb.749:                              ;   in Loop: Header=BB2_671 Depth=3
	s_delay_alu instid0(VALU_DEP_1)
	v_bfe_u32 v146, v148, 23, 1
; %bb.750:                              ;   in Loop: Header=BB2_671 Depth=3
	s_or_b32 exec_lo, exec_lo, s14
	v_lshrrev_b32_e32 v148, 21, v148
	s_delay_alu instid0(VALU_DEP_2) | instskip(SKIP_2) | instid1(VALU_DEP_2)
	v_cmp_gt_i32_e32 vcc_lo, 32, v146
	v_min_i32_e32 v149, 31, v146
	v_lshrrev_b32_e32 v147, 24, v147
	v_dual_cndmask_b32 v148, 3, v148 :: v_dual_lshlrev_b32 v149, 2, v149
	s_delay_alu instid0(VALU_DEP_2) | instskip(NEXT) | instid1(VALU_DEP_2)
	v_and_b32_e32 v147, 0x80, v147
	v_or_b32_e32 v146, v146, v148
	v_and_b32_e32 v150, 3, v148
	s_delay_alu instid0(VALU_DEP_2) | instskip(SKIP_1) | instid1(VALU_DEP_1)
	v_cmp_ne_u32_e32 vcc_lo, 0, v146
	v_and_b32_e32 v149, 0xfc, v149
	v_or3_b32 v147, v147, v149, v150
	s_delay_alu instid0(VALU_DEP_1) | instskip(NEXT) | instid1(VALU_DEP_1)
	v_lshlrev_b32_e32 v147, 8, v147
	v_cndmask_b32_e32 v146, 0, v147, vcc_lo
.LBB2_751:                              ;   in Loop: Header=BB2_671 Depth=3
	s_or_b32 exec_lo, exec_lo, s38
.LBB2_752:                              ;   in Loop: Header=BB2_671 Depth=3
	s_delay_alu instid0(SALU_CYCLE_1) | instskip(SKIP_3) | instid1(VALU_DEP_1)
	s_or_b32 exec_lo, exec_lo, s37
	v_lshrrev_b32_e32 v147, 16, v9
	s_mov_b32 s14, 0
	s_mov_b32 s38, exec_lo
                                        ; implicit-def: $sgpr37
	v_and_b32_e32 v149, 0xff, v147
	s_delay_alu instid0(VALU_DEP_1)
	v_cmpx_lt_i16_e64 0x7f, v149
	s_xor_b32 s38, exec_lo, s38
	s_cbranch_execnz .LBB2_894
; %bb.753:                              ;   in Loop: Header=BB2_671 Depth=3
	s_or_saveexec_b32 s38, s38
	v_mov_b32_e32 v148, s37
	s_xor_b32 exec_lo, exec_lo, s38
	s_cbranch_execnz .LBB2_897
.LBB2_754:                              ;   in Loop: Header=BB2_671 Depth=3
	s_or_b32 exec_lo, exec_lo, s38
	s_and_saveexec_b32 s37, s14
	s_cbranch_execz .LBB2_756
.LBB2_755:                              ;   in Loop: Header=BB2_671 Depth=3
	v_bfe_u32 v148, v9, 16, 2
	v_lshlrev_b32_e32 v151, 8, v9
	s_delay_alu instid0(VALU_DEP_2) | instskip(NEXT) | instid1(VALU_DEP_1)
	v_clz_i32_u32_e32 v149, v148
	v_min_u32_e32 v149, 32, v149
	s_delay_alu instid0(VALU_DEP_1) | instskip(SKIP_1) | instid1(VALU_DEP_2)
	v_subrev_nc_u32_e32 v150, 29, v149
	v_sub_nc_u32_e32 v149, 30, v149
	v_lshlrev_b32_e32 v147, v150, v147
	v_bfe_u32 v150, v9, 18, 5
	s_delay_alu instid0(VALU_DEP_2) | instskip(NEXT) | instid1(VALU_DEP_2)
	v_and_b32_e32 v147, 3, v147
	v_cmp_eq_u32_e32 vcc_lo, 0, v150
	v_cndmask_b32_e32 v149, v150, v149, vcc_lo
	s_delay_alu instid0(VALU_DEP_3) | instskip(SKIP_1) | instid1(VALU_DEP_3)
	v_cndmask_b32_e32 v147, v148, v147, vcc_lo
	v_and_b32_e32 v148, 0x80000000, v151
	v_lshl_add_u32 v149, v149, 23, 0x37800000
	s_delay_alu instid0(VALU_DEP_3) | instskip(NEXT) | instid1(VALU_DEP_1)
	v_lshlrev_b32_e32 v147, 21, v147
	v_or3_b32 v148, v148, v149, v147
.LBB2_756:                              ;   in Loop: Header=BB2_671 Depth=3
	s_or_b32 exec_lo, exec_lo, s37
	s_delay_alu instid0(VALU_DEP_1) | instskip(NEXT) | instid1(VALU_DEP_1)
	v_mul_f32_e32 v148, s36, v148
	v_and_b32_e32 v147, 0x7f800000, v148
	s_delay_alu instid0(VALU_DEP_1)
	v_cmp_ne_u32_e32 vcc_lo, 0x7f800000, v147
	v_mov_b32_e32 v147, 0x80
	s_and_saveexec_b32 s37, vcc_lo
	s_cbranch_execz .LBB2_764
; %bb.757:                              ;   in Loop: Header=BB2_671 Depth=3
	v_mov_b32_e32 v147, 0
	s_mov_b32 s38, exec_lo
	v_cmpx_ne_u32_e32 0, v148
	s_cbranch_execz .LBB2_763
; %bb.758:                              ;   in Loop: Header=BB2_671 Depth=3
	v_bfe_u32 v147, v148, 23, 8
	s_delay_alu instid0(VALU_DEP_1) | instskip(SKIP_1) | instid1(VALU_DEP_2)
	v_sub_nc_u32_e32 v150, 0x70, v147
	v_cmp_gt_u32_e32 vcc_lo, 0x71, v147
	v_dual_cndmask_b32 v150, 0, v150 :: v_dual_and_b32 v149, 0x7fffff, v148
	s_delay_alu instid0(VALU_DEP_1) | instskip(SKIP_2) | instid1(VALU_DEP_4)
	v_or_b32_e32 v151, 0x800000, v149
	v_cmp_eq_u32_e32 vcc_lo, 0, v147
	v_add_nc_u32_e32 v147, 0xffffff91, v147
	v_cndmask_b32_e64 v150, v150, 0x6f, vcc_lo
	s_delay_alu instid0(VALU_DEP_2) | instskip(SKIP_1) | instid1(VALU_DEP_3)
	v_cndmask_b32_e64 v147, v147, 0xffffff92, vcc_lo
	v_cndmask_b32_e32 v149, v151, v149, vcc_lo
	v_lshl_add_u32 v151, 0x200000, v150, -1
	v_lshlrev_b32_e64 v162, v150, 0x100000
	s_delay_alu instid0(VALU_DEP_3) | instskip(SKIP_1) | instid1(VALU_DEP_4)
	v_lshrrev_b32_e32 v160, v150, v149
	v_add_nc_u32_e32 v150, v150, v147
	v_and_b32_e32 v149, v151, v149
	s_delay_alu instid0(VALU_DEP_3) | instskip(NEXT) | instid1(VALU_DEP_2)
	v_bfe_u32 v161, v160, 21, 1
	v_cmp_eq_u32_e64 s14, v149, v162
	s_delay_alu instid0(VALU_DEP_2) | instskip(NEXT) | instid1(VALU_DEP_1)
	v_add_nc_u32_e32 v151, -1, v161
	v_cndmask_b32_e64 v149, 0, v151, s14
	v_lshrrev_b32_e32 v151, 23, v160
	s_mov_b32 s14, exec_lo
	s_delay_alu instid0(VALU_DEP_2) | instskip(NEXT) | instid1(VALU_DEP_2)
	v_add_nc_u32_e32 v149, v149, v160
	v_xor_b32_e32 v151, 1, v151
	s_delay_alu instid0(VALU_DEP_2) | instskip(NEXT) | instid1(VALU_DEP_1)
	v_and_b32_e32 v147, 0x1fffff, v149
	v_add_nc_u32_e32 v149, v147, v160
                                        ; implicit-def: $vgpr147
	s_delay_alu instid0(VALU_DEP_3)
	v_cmpx_ne_u32_e64 v150, v151
	s_xor_b32 s14, exec_lo, s14
; %bb.759:                              ;   in Loop: Header=BB2_671 Depth=3
	s_delay_alu instid0(VALU_DEP_2) | instskip(SKIP_2) | instid1(VALU_DEP_2)
	v_cmp_lt_u32_e32 vcc_lo, 0xffffff, v149
	v_sub_nc_u32_e32 v147, v150, v151
	v_cndmask_b32_e64 v150, 0, 1, vcc_lo
	v_add_co_ci_u32_e32 v147, vcc_lo, 0, v147, vcc_lo
	s_delay_alu instid0(VALU_DEP_2)
	v_lshrrev_b32_e32 v149, v150, v149
; %bb.760:                              ;   in Loop: Header=BB2_671 Depth=3
	s_and_not1_saveexec_b32 s14, s14
; %bb.761:                              ;   in Loop: Header=BB2_671 Depth=3
	s_delay_alu instid0(VALU_DEP_1)
	v_bfe_u32 v147, v149, 23, 1
; %bb.762:                              ;   in Loop: Header=BB2_671 Depth=3
	s_or_b32 exec_lo, exec_lo, s14
	v_lshrrev_b32_e32 v149, 21, v149
	s_delay_alu instid0(VALU_DEP_2) | instskip(SKIP_2) | instid1(VALU_DEP_2)
	v_cmp_gt_i32_e32 vcc_lo, 32, v147
	v_min_i32_e32 v150, 31, v147
	v_lshrrev_b32_e32 v148, 24, v148
	v_dual_cndmask_b32 v149, 3, v149 :: v_dual_lshlrev_b32 v150, 2, v150
	s_delay_alu instid0(VALU_DEP_2) | instskip(NEXT) | instid1(VALU_DEP_2)
	v_and_b32_e32 v148, 0x80, v148
	v_or_b32_e32 v147, v147, v149
	v_and_b32_e32 v151, 3, v149
	s_delay_alu instid0(VALU_DEP_2) | instskip(SKIP_1) | instid1(VALU_DEP_1)
	v_cmp_ne_u32_e32 vcc_lo, 0, v147
	v_and_b32_e32 v150, 0xfc, v150
	v_or3_b32 v148, v150, v148, v151
	s_delay_alu instid0(VALU_DEP_1)
	v_cndmask_b32_e32 v147, 0, v148, vcc_lo
.LBB2_763:                              ;   in Loop: Header=BB2_671 Depth=3
	s_or_b32 exec_lo, exec_lo, s38
.LBB2_764:                              ;   in Loop: Header=BB2_671 Depth=3
	s_delay_alu instid0(SALU_CYCLE_1) | instskip(SKIP_3) | instid1(VALU_DEP_1)
	s_or_b32 exec_lo, exec_lo, s37
	v_lshrrev_b32_e32 v148, 24, v9
	s_mov_b32 s14, 0
	s_mov_b32 s38, exec_lo
                                        ; implicit-def: $sgpr37
	v_cmpx_lt_i16_e64 0x7f, v148
	s_xor_b32 s38, exec_lo, s38
	s_cbranch_execnz .LBB2_898
; %bb.765:                              ;   in Loop: Header=BB2_671 Depth=3
	s_or_saveexec_b32 s38, s38
	v_mov_b32_e32 v149, s37
	s_xor_b32 exec_lo, exec_lo, s38
	s_cbranch_execnz .LBB2_901
.LBB2_766:                              ;   in Loop: Header=BB2_671 Depth=3
	s_or_b32 exec_lo, exec_lo, s38
	s_and_saveexec_b32 s37, s14
	s_cbranch_execz .LBB2_768
.LBB2_767:                              ;   in Loop: Header=BB2_671 Depth=3
	v_bfe_u32 v149, v9, 24, 2
	s_delay_alu instid0(VALU_DEP_1) | instskip(NEXT) | instid1(VALU_DEP_1)
	v_clz_i32_u32_e32 v150, v149
	v_min_u32_e32 v150, 32, v150
	s_delay_alu instid0(VALU_DEP_1) | instskip(SKIP_1) | instid1(VALU_DEP_2)
	v_subrev_nc_u32_e32 v151, 29, v150
	v_sub_nc_u32_e32 v150, 30, v150
	v_lshlrev_b32_e32 v148, v151, v148
	v_bfe_u32 v151, v9, 26, 5
	v_and_b32_e32 v9, 0x80000000, v9
	s_delay_alu instid0(VALU_DEP_3) | instskip(NEXT) | instid1(VALU_DEP_3)
	v_and_b32_e32 v148, 3, v148
	v_cmp_eq_u32_e32 vcc_lo, 0, v151
	v_cndmask_b32_e32 v150, v151, v150, vcc_lo
	s_delay_alu instid0(VALU_DEP_3) | instskip(NEXT) | instid1(VALU_DEP_2)
	v_cndmask_b32_e32 v148, v149, v148, vcc_lo
	v_lshl_add_u32 v149, v150, 23, 0x37800000
	s_delay_alu instid0(VALU_DEP_2) | instskip(NEXT) | instid1(VALU_DEP_1)
	v_lshlrev_b32_e32 v148, 21, v148
	v_or3_b32 v149, v9, v149, v148
.LBB2_768:                              ;   in Loop: Header=BB2_671 Depth=3
	s_or_b32 exec_lo, exec_lo, s37
	s_delay_alu instid0(VALU_DEP_1) | instskip(NEXT) | instid1(VALU_DEP_1)
	v_mul_f32_e32 v148, s36, v149
	v_and_b32_e32 v9, 0x7f800000, v148
	s_delay_alu instid0(VALU_DEP_1)
	v_cmp_ne_u32_e32 vcc_lo, 0x7f800000, v9
	v_mov_b32_e32 v9, 0x8000
	s_and_saveexec_b32 s37, vcc_lo
	s_cbranch_execz .LBB2_776
; %bb.769:                              ;   in Loop: Header=BB2_671 Depth=3
	v_mov_b32_e32 v9, 0
	s_mov_b32 s38, exec_lo
	v_cmpx_ne_u32_e32 0, v148
	s_cbranch_execz .LBB2_775
; %bb.770:                              ;   in Loop: Header=BB2_671 Depth=3
	v_bfe_u32 v9, v148, 23, 8
	s_delay_alu instid0(VALU_DEP_1) | instskip(SKIP_1) | instid1(VALU_DEP_2)
	v_sub_nc_u32_e32 v150, 0x70, v9
	v_cmp_gt_u32_e32 vcc_lo, 0x71, v9
	v_dual_cndmask_b32 v150, 0, v150 :: v_dual_and_b32 v149, 0x7fffff, v148
	s_delay_alu instid0(VALU_DEP_1) | instskip(SKIP_2) | instid1(VALU_DEP_4)
	v_or_b32_e32 v151, 0x800000, v149
	v_cmp_eq_u32_e32 vcc_lo, 0, v9
	v_add_nc_u32_e32 v9, 0xffffff91, v9
	v_cndmask_b32_e64 v150, v150, 0x6f, vcc_lo
	s_delay_alu instid0(VALU_DEP_4) | instskip(NEXT) | instid1(VALU_DEP_3)
	v_cndmask_b32_e32 v149, v151, v149, vcc_lo
	v_cndmask_b32_e64 v9, v9, 0xffffff92, vcc_lo
	s_delay_alu instid0(VALU_DEP_3) | instskip(NEXT) | instid1(VALU_DEP_3)
	v_lshl_add_u32 v151, 0x200000, v150, -1
	v_lshrrev_b32_e32 v160, v150, v149
	v_lshlrev_b32_e64 v162, v150, 0x100000
	s_delay_alu instid0(VALU_DEP_4) | instskip(NEXT) | instid1(VALU_DEP_4)
	v_add_nc_u32_e32 v150, v150, v9
	v_and_b32_e32 v149, v151, v149
	s_delay_alu instid0(VALU_DEP_4) | instskip(NEXT) | instid1(VALU_DEP_2)
	v_bfe_u32 v161, v160, 21, 1
	v_cmp_eq_u32_e64 s14, v149, v162
	s_delay_alu instid0(VALU_DEP_2) | instskip(NEXT) | instid1(VALU_DEP_1)
	v_add_nc_u32_e32 v151, -1, v161
	v_cndmask_b32_e64 v149, 0, v151, s14
	v_lshrrev_b32_e32 v151, 23, v160
	s_mov_b32 s14, exec_lo
	s_delay_alu instid0(VALU_DEP_2) | instskip(NEXT) | instid1(VALU_DEP_2)
	v_add_nc_u32_e32 v149, v149, v160
	v_xor_b32_e32 v151, 1, v151
	s_delay_alu instid0(VALU_DEP_2) | instskip(NEXT) | instid1(VALU_DEP_1)
	v_and_b32_e32 v9, 0x1fffff, v149
	v_add_nc_u32_e32 v149, v9, v160
                                        ; implicit-def: $vgpr9
	s_delay_alu instid0(VALU_DEP_3)
	v_cmpx_ne_u32_e64 v150, v151
	s_xor_b32 s14, exec_lo, s14
; %bb.771:                              ;   in Loop: Header=BB2_671 Depth=3
	s_delay_alu instid0(VALU_DEP_2) | instskip(SKIP_2) | instid1(VALU_DEP_2)
	v_cmp_lt_u32_e32 vcc_lo, 0xffffff, v149
	v_sub_nc_u32_e32 v9, v150, v151
	v_cndmask_b32_e64 v150, 0, 1, vcc_lo
	v_add_co_ci_u32_e32 v9, vcc_lo, 0, v9, vcc_lo
	s_delay_alu instid0(VALU_DEP_2)
	v_lshrrev_b32_e32 v149, v150, v149
; %bb.772:                              ;   in Loop: Header=BB2_671 Depth=3
	s_and_not1_saveexec_b32 s14, s14
; %bb.773:                              ;   in Loop: Header=BB2_671 Depth=3
	s_delay_alu instid0(VALU_DEP_1)
	v_bfe_u32 v9, v149, 23, 1
; %bb.774:                              ;   in Loop: Header=BB2_671 Depth=3
	s_or_b32 exec_lo, exec_lo, s14
	v_lshrrev_b32_e32 v149, 21, v149
	s_delay_alu instid0(VALU_DEP_2) | instskip(SKIP_2) | instid1(VALU_DEP_2)
	v_cmp_gt_i32_e32 vcc_lo, 32, v9
	v_min_i32_e32 v150, 31, v9
	v_lshrrev_b32_e32 v148, 24, v148
	v_dual_cndmask_b32 v149, 3, v149 :: v_dual_lshlrev_b32 v150, 2, v150
	s_delay_alu instid0(VALU_DEP_2) | instskip(NEXT) | instid1(VALU_DEP_2)
	v_and_b32_e32 v148, 0x80, v148
	v_or_b32_e32 v9, v9, v149
	v_and_b32_e32 v151, 3, v149
	s_delay_alu instid0(VALU_DEP_2) | instskip(SKIP_1) | instid1(VALU_DEP_1)
	v_cmp_ne_u32_e32 vcc_lo, 0, v9
	v_and_b32_e32 v150, 0xfc, v150
	v_or3_b32 v148, v148, v150, v151
	s_delay_alu instid0(VALU_DEP_1) | instskip(NEXT) | instid1(VALU_DEP_1)
	v_lshlrev_b32_e32 v148, 8, v148
	v_cndmask_b32_e32 v9, 0, v148, vcc_lo
.LBB2_775:                              ;   in Loop: Header=BB2_671 Depth=3
	s_or_b32 exec_lo, exec_lo, s38
.LBB2_776:                              ;   in Loop: Header=BB2_671 Depth=3
	s_delay_alu instid0(SALU_CYCLE_1) | instskip(SKIP_3) | instid1(VALU_DEP_1)
	s_or_b32 exec_lo, exec_lo, s37
	v_and_b32_e32 v149, 0xff, v10
	s_mov_b32 s14, 0
	s_mov_b32 s38, exec_lo
                                        ; implicit-def: $sgpr37
	v_cmpx_lt_i16_e64 0x7f, v149
	s_xor_b32 s38, exec_lo, s38
	s_cbranch_execnz .LBB2_902
; %bb.777:                              ;   in Loop: Header=BB2_671 Depth=3
	s_or_saveexec_b32 s38, s38
	v_mov_b32_e32 v148, s37
	s_xor_b32 exec_lo, exec_lo, s38
	s_cbranch_execnz .LBB2_905
.LBB2_778:                              ;   in Loop: Header=BB2_671 Depth=3
	s_or_b32 exec_lo, exec_lo, s38
	s_and_saveexec_b32 s37, s14
	s_cbranch_execz .LBB2_780
.LBB2_779:                              ;   in Loop: Header=BB2_671 Depth=3
	v_bfe_u32 v151, v10, 2, 5
	v_lshlrev_b32_e32 v160, 24, v10
	s_delay_alu instid0(VALU_DEP_2) | instskip(SKIP_1) | instid1(VALU_DEP_1)
	v_cmp_eq_u32_e32 vcc_lo, 0, v151
	v_and_b32_e32 v148, 3, v10
	v_clz_i32_u32_e32 v149, v148
	s_delay_alu instid0(VALU_DEP_1) | instskip(NEXT) | instid1(VALU_DEP_1)
	v_min_u32_e32 v149, 32, v149
	v_subrev_nc_u32_e32 v150, 29, v149
	v_sub_nc_u32_e32 v149, 30, v149
	s_delay_alu instid0(VALU_DEP_1) | instskip(NEXT) | instid1(VALU_DEP_1)
	v_dual_cndmask_b32 v149, v151, v149 :: v_dual_lshlrev_b32 v150, v150, v10
	v_and_b32_e32 v150, 3, v150
	s_delay_alu instid0(VALU_DEP_2) | instskip(NEXT) | instid1(VALU_DEP_2)
	v_lshl_add_u32 v149, v149, 23, 0x37800000
	v_cndmask_b32_e32 v148, v148, v150, vcc_lo
	v_and_b32_e32 v150, 0x80000000, v160
	s_delay_alu instid0(VALU_DEP_2) | instskip(NEXT) | instid1(VALU_DEP_1)
	v_lshlrev_b32_e32 v148, 21, v148
	v_or3_b32 v148, v150, v149, v148
.LBB2_780:                              ;   in Loop: Header=BB2_671 Depth=3
	s_or_b32 exec_lo, exec_lo, s37
	s_delay_alu instid0(VALU_DEP_1) | instskip(NEXT) | instid1(VALU_DEP_1)
	v_mul_f32_e32 v149, s36, v148
	v_and_b32_e32 v148, 0x7f800000, v149
	s_delay_alu instid0(VALU_DEP_1)
	v_cmp_ne_u32_e32 vcc_lo, 0x7f800000, v148
	v_mov_b32_e32 v148, 0x80
	s_and_saveexec_b32 s37, vcc_lo
	s_cbranch_execz .LBB2_788
; %bb.781:                              ;   in Loop: Header=BB2_671 Depth=3
	v_mov_b32_e32 v148, 0
	s_mov_b32 s38, exec_lo
	v_cmpx_ne_u32_e32 0, v149
	s_cbranch_execz .LBB2_787
; %bb.782:                              ;   in Loop: Header=BB2_671 Depth=3
	v_bfe_u32 v148, v149, 23, 8
	s_delay_alu instid0(VALU_DEP_1) | instskip(SKIP_1) | instid1(VALU_DEP_2)
	v_sub_nc_u32_e32 v151, 0x70, v148
	v_cmp_gt_u32_e32 vcc_lo, 0x71, v148
	v_dual_cndmask_b32 v151, 0, v151 :: v_dual_and_b32 v150, 0x7fffff, v149
	s_delay_alu instid0(VALU_DEP_1) | instskip(SKIP_2) | instid1(VALU_DEP_4)
	v_or_b32_e32 v160, 0x800000, v150
	v_cmp_eq_u32_e32 vcc_lo, 0, v148
	v_add_nc_u32_e32 v148, 0xffffff91, v148
	v_cndmask_b32_e64 v151, v151, 0x6f, vcc_lo
	s_delay_alu instid0(VALU_DEP_2) | instskip(SKIP_1) | instid1(VALU_DEP_3)
	v_cndmask_b32_e64 v148, v148, 0xffffff92, vcc_lo
	v_cndmask_b32_e32 v150, v160, v150, vcc_lo
	v_lshl_add_u32 v160, 0x200000, v151, -1
	v_lshlrev_b32_e64 v163, v151, 0x100000
	s_delay_alu instid0(VALU_DEP_3) | instskip(SKIP_1) | instid1(VALU_DEP_4)
	v_lshrrev_b32_e32 v161, v151, v150
	v_add_nc_u32_e32 v151, v151, v148
	v_and_b32_e32 v150, v160, v150
	s_delay_alu instid0(VALU_DEP_3) | instskip(NEXT) | instid1(VALU_DEP_2)
	v_bfe_u32 v162, v161, 21, 1
	v_cmp_eq_u32_e64 s14, v150, v163
	s_delay_alu instid0(VALU_DEP_2) | instskip(NEXT) | instid1(VALU_DEP_1)
	v_add_nc_u32_e32 v160, -1, v162
	v_cndmask_b32_e64 v150, 0, v160, s14
	v_lshrrev_b32_e32 v160, 23, v161
	s_mov_b32 s14, exec_lo
	s_delay_alu instid0(VALU_DEP_2) | instskip(NEXT) | instid1(VALU_DEP_2)
	v_add_nc_u32_e32 v150, v150, v161
	v_xor_b32_e32 v160, 1, v160
	s_delay_alu instid0(VALU_DEP_2) | instskip(NEXT) | instid1(VALU_DEP_1)
	v_and_b32_e32 v148, 0x1fffff, v150
	v_add_nc_u32_e32 v150, v148, v161
                                        ; implicit-def: $vgpr148
	s_delay_alu instid0(VALU_DEP_3)
	v_cmpx_ne_u32_e64 v151, v160
	s_xor_b32 s14, exec_lo, s14
; %bb.783:                              ;   in Loop: Header=BB2_671 Depth=3
	s_delay_alu instid0(VALU_DEP_2) | instskip(SKIP_2) | instid1(VALU_DEP_2)
	v_cmp_lt_u32_e32 vcc_lo, 0xffffff, v150
	v_sub_nc_u32_e32 v148, v151, v160
	v_cndmask_b32_e64 v151, 0, 1, vcc_lo
	v_add_co_ci_u32_e32 v148, vcc_lo, 0, v148, vcc_lo
	s_delay_alu instid0(VALU_DEP_2)
	v_lshrrev_b32_e32 v150, v151, v150
; %bb.784:                              ;   in Loop: Header=BB2_671 Depth=3
	s_and_not1_saveexec_b32 s14, s14
; %bb.785:                              ;   in Loop: Header=BB2_671 Depth=3
	s_delay_alu instid0(VALU_DEP_1)
	v_bfe_u32 v148, v150, 23, 1
; %bb.786:                              ;   in Loop: Header=BB2_671 Depth=3
	s_or_b32 exec_lo, exec_lo, s14
	v_lshrrev_b32_e32 v150, 21, v150
	s_delay_alu instid0(VALU_DEP_2) | instskip(SKIP_2) | instid1(VALU_DEP_2)
	v_cmp_gt_i32_e32 vcc_lo, 32, v148
	v_lshrrev_b32_e32 v149, 24, v149
	v_min_i32_e32 v151, 31, v148
	v_dual_cndmask_b32 v150, 3, v150 :: v_dual_and_b32 v149, 0x80, v149
	s_delay_alu instid0(VALU_DEP_1) | instskip(SKIP_1) | instid1(VALU_DEP_2)
	v_or_b32_e32 v148, v148, v150
	v_and_b32_e32 v160, 3, v150
	v_cmp_ne_u32_e32 vcc_lo, 0, v148
	v_lshlrev_b32_e32 v151, 2, v151
	s_delay_alu instid0(VALU_DEP_1) | instskip(NEXT) | instid1(VALU_DEP_1)
	v_or3_b32 v149, v151, v149, v160
	v_cndmask_b32_e32 v148, 0, v149, vcc_lo
.LBB2_787:                              ;   in Loop: Header=BB2_671 Depth=3
	s_or_b32 exec_lo, exec_lo, s38
.LBB2_788:                              ;   in Loop: Header=BB2_671 Depth=3
	s_delay_alu instid0(SALU_CYCLE_1) | instskip(SKIP_3) | instid1(VALU_DEP_1)
	s_or_b32 exec_lo, exec_lo, s37
	v_lshrrev_b16 v149, 8, v10
	s_mov_b32 s14, 0
	s_mov_b32 s38, exec_lo
                                        ; implicit-def: $sgpr37
	v_cmpx_lt_i16_e64 0x7f, v149
	s_xor_b32 s38, exec_lo, s38
	s_cbranch_execnz .LBB2_906
; %bb.789:                              ;   in Loop: Header=BB2_671 Depth=3
	s_or_saveexec_b32 s38, s38
	v_mov_b32_e32 v150, s37
	s_xor_b32 exec_lo, exec_lo, s38
	s_cbranch_execnz .LBB2_909
.LBB2_790:                              ;   in Loop: Header=BB2_671 Depth=3
	s_or_b32 exec_lo, exec_lo, s38
	s_and_saveexec_b32 s37, s14
	s_cbranch_execz .LBB2_792
.LBB2_791:                              ;   in Loop: Header=BB2_671 Depth=3
	v_and_b32_e32 v150, 0xffff, v149
	v_lshlrev_b32_e32 v149, 24, v149
	s_delay_alu instid0(VALU_DEP_2) | instskip(NEXT) | instid1(VALU_DEP_2)
	v_and_b32_e32 v151, 3, v150
	v_and_b32_e32 v149, 0x80000000, v149
	s_delay_alu instid0(VALU_DEP_2) | instskip(NEXT) | instid1(VALU_DEP_1)
	v_clz_i32_u32_e32 v160, v151
	v_min_u32_e32 v160, 32, v160
	s_delay_alu instid0(VALU_DEP_1) | instskip(SKIP_1) | instid1(VALU_DEP_2)
	v_subrev_nc_u32_e32 v161, 29, v160
	v_sub_nc_u32_e32 v160, 30, v160
	v_lshlrev_b32_e32 v161, v161, v150
	v_bfe_u32 v150, v150, 2, 5
	s_delay_alu instid0(VALU_DEP_2) | instskip(NEXT) | instid1(VALU_DEP_2)
	v_and_b32_e32 v161, 3, v161
	v_cmp_eq_u32_e32 vcc_lo, 0, v150
	s_delay_alu instid0(VALU_DEP_2) | instskip(NEXT) | instid1(VALU_DEP_1)
	v_dual_cndmask_b32 v150, v150, v160 :: v_dual_cndmask_b32 v151, v151, v161
	v_lshl_add_u32 v150, v150, 23, 0x37800000
	s_delay_alu instid0(VALU_DEP_2) | instskip(NEXT) | instid1(VALU_DEP_1)
	v_lshlrev_b32_e32 v151, 21, v151
	v_or3_b32 v150, v149, v150, v151
.LBB2_792:                              ;   in Loop: Header=BB2_671 Depth=3
	s_or_b32 exec_lo, exec_lo, s37
	s_delay_alu instid0(VALU_DEP_1) | instskip(NEXT) | instid1(VALU_DEP_1)
	v_mul_f32_e32 v150, s36, v150
	v_and_b32_e32 v149, 0x7f800000, v150
	s_delay_alu instid0(VALU_DEP_1)
	v_cmp_ne_u32_e32 vcc_lo, 0x7f800000, v149
	v_mov_b32_e32 v149, 0x80
	s_and_saveexec_b32 s37, vcc_lo
	s_cbranch_execz .LBB2_800
; %bb.793:                              ;   in Loop: Header=BB2_671 Depth=3
	v_mov_b32_e32 v149, 0
	s_mov_b32 s38, exec_lo
	v_cmpx_ne_u32_e32 0, v150
	s_cbranch_execz .LBB2_799
; %bb.794:                              ;   in Loop: Header=BB2_671 Depth=3
	v_bfe_u32 v149, v150, 23, 8
	s_delay_alu instid0(VALU_DEP_1) | instskip(SKIP_1) | instid1(VALU_DEP_2)
	v_sub_nc_u32_e32 v160, 0x70, v149
	v_cmp_gt_u32_e32 vcc_lo, 0x71, v149
	v_dual_cndmask_b32 v160, 0, v160 :: v_dual_and_b32 v151, 0x7fffff, v150
	s_delay_alu instid0(VALU_DEP_1) | instskip(SKIP_2) | instid1(VALU_DEP_4)
	v_or_b32_e32 v161, 0x800000, v151
	v_cmp_eq_u32_e32 vcc_lo, 0, v149
	v_add_nc_u32_e32 v149, 0xffffff91, v149
	v_cndmask_b32_e64 v160, v160, 0x6f, vcc_lo
	s_delay_alu instid0(VALU_DEP_2) | instskip(SKIP_1) | instid1(VALU_DEP_3)
	v_cndmask_b32_e64 v149, v149, 0xffffff92, vcc_lo
	v_cndmask_b32_e32 v151, v161, v151, vcc_lo
	v_lshl_add_u32 v161, 0x200000, v160, -1
	v_lshlrev_b32_e64 v164, v160, 0x100000
	s_delay_alu instid0(VALU_DEP_3) | instskip(SKIP_1) | instid1(VALU_DEP_4)
	v_lshrrev_b32_e32 v162, v160, v151
	v_add_nc_u32_e32 v160, v160, v149
	v_and_b32_e32 v151, v161, v151
	s_delay_alu instid0(VALU_DEP_3) | instskip(NEXT) | instid1(VALU_DEP_2)
	v_bfe_u32 v163, v162, 21, 1
	v_cmp_eq_u32_e64 s14, v151, v164
	s_delay_alu instid0(VALU_DEP_2) | instskip(NEXT) | instid1(VALU_DEP_1)
	v_add_nc_u32_e32 v161, -1, v163
	v_cndmask_b32_e64 v151, 0, v161, s14
	v_lshrrev_b32_e32 v161, 23, v162
	s_mov_b32 s14, exec_lo
	s_delay_alu instid0(VALU_DEP_2) | instskip(NEXT) | instid1(VALU_DEP_2)
	v_add_nc_u32_e32 v151, v151, v162
	v_xor_b32_e32 v161, 1, v161
	s_delay_alu instid0(VALU_DEP_2) | instskip(NEXT) | instid1(VALU_DEP_1)
	v_and_b32_e32 v149, 0x1fffff, v151
	v_add_nc_u32_e32 v151, v149, v162
                                        ; implicit-def: $vgpr149
	s_delay_alu instid0(VALU_DEP_3)
	v_cmpx_ne_u32_e64 v160, v161
	s_xor_b32 s14, exec_lo, s14
; %bb.795:                              ;   in Loop: Header=BB2_671 Depth=3
	s_delay_alu instid0(VALU_DEP_2) | instskip(SKIP_2) | instid1(VALU_DEP_2)
	v_cmp_lt_u32_e32 vcc_lo, 0xffffff, v151
	v_sub_nc_u32_e32 v149, v160, v161
	v_cndmask_b32_e64 v160, 0, 1, vcc_lo
	v_add_co_ci_u32_e32 v149, vcc_lo, 0, v149, vcc_lo
	s_delay_alu instid0(VALU_DEP_2)
	v_lshrrev_b32_e32 v151, v160, v151
; %bb.796:                              ;   in Loop: Header=BB2_671 Depth=3
	s_and_not1_saveexec_b32 s14, s14
; %bb.797:                              ;   in Loop: Header=BB2_671 Depth=3
	s_delay_alu instid0(VALU_DEP_1)
	v_bfe_u32 v149, v151, 23, 1
; %bb.798:                              ;   in Loop: Header=BB2_671 Depth=3
	s_or_b32 exec_lo, exec_lo, s14
	v_lshrrev_b32_e32 v151, 21, v151
	s_delay_alu instid0(VALU_DEP_2) | instskip(SKIP_2) | instid1(VALU_DEP_2)
	v_cmp_gt_i32_e32 vcc_lo, 32, v149
	v_lshrrev_b32_e32 v150, 24, v150
	v_min_i32_e32 v160, 31, v149
	v_dual_cndmask_b32 v151, 3, v151 :: v_dual_and_b32 v150, 0x80, v150
	s_delay_alu instid0(VALU_DEP_1) | instskip(SKIP_1) | instid1(VALU_DEP_2)
	v_or_b32_e32 v149, v149, v151
	v_and_b32_e32 v161, 3, v151
	v_cmp_ne_u32_e32 vcc_lo, 0, v149
	v_lshlrev_b32_e32 v160, 2, v160
	s_delay_alu instid0(VALU_DEP_1) | instskip(NEXT) | instid1(VALU_DEP_1)
	v_or3_b32 v150, v160, v150, v161
	v_cndmask_b32_e32 v149, 0, v150, vcc_lo
.LBB2_799:                              ;   in Loop: Header=BB2_671 Depth=3
	s_or_b32 exec_lo, exec_lo, s38
.LBB2_800:                              ;   in Loop: Header=BB2_671 Depth=3
	s_delay_alu instid0(SALU_CYCLE_1) | instskip(SKIP_3) | instid1(VALU_DEP_1)
	s_or_b32 exec_lo, exec_lo, s37
	v_lshrrev_b32_e32 v150, 16, v10
	s_mov_b32 s14, 0
	s_mov_b32 s38, exec_lo
                                        ; implicit-def: $sgpr37
	v_and_b32_e32 v160, 0xff, v150
	s_delay_alu instid0(VALU_DEP_1)
	v_cmpx_lt_i16_e64 0x7f, v160
	s_xor_b32 s38, exec_lo, s38
	s_cbranch_execnz .LBB2_910
; %bb.801:                              ;   in Loop: Header=BB2_671 Depth=3
	s_or_saveexec_b32 s38, s38
	v_mov_b32_e32 v151, s37
	s_xor_b32 exec_lo, exec_lo, s38
	s_cbranch_execnz .LBB2_913
.LBB2_802:                              ;   in Loop: Header=BB2_671 Depth=3
	s_or_b32 exec_lo, exec_lo, s38
	s_and_saveexec_b32 s37, s14
	s_cbranch_execz .LBB2_804
.LBB2_803:                              ;   in Loop: Header=BB2_671 Depth=3
	v_bfe_u32 v151, v10, 16, 2
	v_lshlrev_b32_e32 v162, 8, v10
	s_delay_alu instid0(VALU_DEP_2) | instskip(NEXT) | instid1(VALU_DEP_1)
	v_clz_i32_u32_e32 v160, v151
	v_min_u32_e32 v160, 32, v160
	s_delay_alu instid0(VALU_DEP_1) | instskip(SKIP_1) | instid1(VALU_DEP_2)
	v_subrev_nc_u32_e32 v161, 29, v160
	v_sub_nc_u32_e32 v160, 30, v160
	v_lshlrev_b32_e32 v150, v161, v150
	v_bfe_u32 v161, v10, 18, 5
	s_delay_alu instid0(VALU_DEP_2) | instskip(NEXT) | instid1(VALU_DEP_2)
	v_and_b32_e32 v150, 3, v150
	v_cmp_eq_u32_e32 vcc_lo, 0, v161
	v_cndmask_b32_e32 v160, v161, v160, vcc_lo
	s_delay_alu instid0(VALU_DEP_3) | instskip(SKIP_1) | instid1(VALU_DEP_3)
	v_cndmask_b32_e32 v150, v151, v150, vcc_lo
	v_and_b32_e32 v151, 0x80000000, v162
	v_lshl_add_u32 v160, v160, 23, 0x37800000
	s_delay_alu instid0(VALU_DEP_3) | instskip(NEXT) | instid1(VALU_DEP_1)
	v_lshlrev_b32_e32 v150, 21, v150
	v_or3_b32 v151, v151, v160, v150
.LBB2_804:                              ;   in Loop: Header=BB2_671 Depth=3
	s_or_b32 exec_lo, exec_lo, s37
	s_delay_alu instid0(VALU_DEP_1) | instskip(NEXT) | instid1(VALU_DEP_1)
	v_mul_f32_e32 v151, s36, v151
	v_and_b32_e32 v150, 0x7f800000, v151
	s_delay_alu instid0(VALU_DEP_1)
	v_cmp_ne_u32_e32 vcc_lo, 0x7f800000, v150
	v_mov_b32_e32 v150, 0x80
	s_and_saveexec_b32 s37, vcc_lo
	s_cbranch_execz .LBB2_812
; %bb.805:                              ;   in Loop: Header=BB2_671 Depth=3
	v_mov_b32_e32 v150, 0
	s_mov_b32 s38, exec_lo
	v_cmpx_ne_u32_e32 0, v151
	s_cbranch_execz .LBB2_811
; %bb.806:                              ;   in Loop: Header=BB2_671 Depth=3
	v_bfe_u32 v150, v151, 23, 8
	s_delay_alu instid0(VALU_DEP_1) | instskip(SKIP_1) | instid1(VALU_DEP_2)
	v_sub_nc_u32_e32 v161, 0x70, v150
	v_cmp_gt_u32_e32 vcc_lo, 0x71, v150
	v_dual_cndmask_b32 v161, 0, v161 :: v_dual_and_b32 v160, 0x7fffff, v151
	s_delay_alu instid0(VALU_DEP_1) | instskip(SKIP_2) | instid1(VALU_DEP_4)
	v_or_b32_e32 v162, 0x800000, v160
	v_cmp_eq_u32_e32 vcc_lo, 0, v150
	v_add_nc_u32_e32 v150, 0xffffff91, v150
	v_cndmask_b32_e64 v161, v161, 0x6f, vcc_lo
	s_delay_alu instid0(VALU_DEP_2) | instskip(SKIP_1) | instid1(VALU_DEP_3)
	v_cndmask_b32_e64 v150, v150, 0xffffff92, vcc_lo
	v_cndmask_b32_e32 v160, v162, v160, vcc_lo
	v_lshl_add_u32 v162, 0x200000, v161, -1
	v_lshlrev_b32_e64 v165, v161, 0x100000
	s_delay_alu instid0(VALU_DEP_3) | instskip(SKIP_1) | instid1(VALU_DEP_4)
	v_lshrrev_b32_e32 v163, v161, v160
	v_add_nc_u32_e32 v161, v161, v150
	v_and_b32_e32 v160, v162, v160
	s_delay_alu instid0(VALU_DEP_3) | instskip(NEXT) | instid1(VALU_DEP_2)
	v_bfe_u32 v164, v163, 21, 1
	v_cmp_eq_u32_e64 s14, v160, v165
	s_delay_alu instid0(VALU_DEP_2) | instskip(NEXT) | instid1(VALU_DEP_1)
	v_add_nc_u32_e32 v162, -1, v164
	v_cndmask_b32_e64 v160, 0, v162, s14
	v_lshrrev_b32_e32 v162, 23, v163
	s_mov_b32 s14, exec_lo
	s_delay_alu instid0(VALU_DEP_2) | instskip(NEXT) | instid1(VALU_DEP_2)
	v_add_nc_u32_e32 v160, v160, v163
	v_xor_b32_e32 v162, 1, v162
	s_delay_alu instid0(VALU_DEP_2) | instskip(NEXT) | instid1(VALU_DEP_1)
	v_and_b32_e32 v150, 0x1fffff, v160
	v_add_nc_u32_e32 v160, v150, v163
                                        ; implicit-def: $vgpr150
	s_delay_alu instid0(VALU_DEP_3)
	v_cmpx_ne_u32_e64 v161, v162
	s_xor_b32 s14, exec_lo, s14
; %bb.807:                              ;   in Loop: Header=BB2_671 Depth=3
	s_delay_alu instid0(VALU_DEP_2) | instskip(SKIP_2) | instid1(VALU_DEP_2)
	v_cmp_lt_u32_e32 vcc_lo, 0xffffff, v160
	v_sub_nc_u32_e32 v150, v161, v162
	v_cndmask_b32_e64 v161, 0, 1, vcc_lo
	v_add_co_ci_u32_e32 v150, vcc_lo, 0, v150, vcc_lo
	s_delay_alu instid0(VALU_DEP_2)
	v_lshrrev_b32_e32 v160, v161, v160
; %bb.808:                              ;   in Loop: Header=BB2_671 Depth=3
	s_and_not1_saveexec_b32 s14, s14
; %bb.809:                              ;   in Loop: Header=BB2_671 Depth=3
	s_delay_alu instid0(VALU_DEP_1)
	v_bfe_u32 v150, v160, 23, 1
; %bb.810:                              ;   in Loop: Header=BB2_671 Depth=3
	s_or_b32 exec_lo, exec_lo, s14
	v_lshrrev_b32_e32 v160, 21, v160
	s_delay_alu instid0(VALU_DEP_2) | instskip(SKIP_2) | instid1(VALU_DEP_2)
	v_cmp_gt_i32_e32 vcc_lo, 32, v150
	v_lshrrev_b32_e32 v151, 24, v151
	v_min_i32_e32 v161, 31, v150
	v_dual_cndmask_b32 v160, 3, v160 :: v_dual_and_b32 v151, 0x80, v151
	s_delay_alu instid0(VALU_DEP_1) | instskip(SKIP_1) | instid1(VALU_DEP_2)
	v_or_b32_e32 v150, v150, v160
	v_and_b32_e32 v162, 3, v160
	v_cmp_ne_u32_e32 vcc_lo, 0, v150
	v_lshlrev_b32_e32 v161, 2, v161
	s_delay_alu instid0(VALU_DEP_1) | instskip(NEXT) | instid1(VALU_DEP_1)
	v_or3_b32 v151, v161, v151, v162
	v_cndmask_b32_e32 v150, 0, v151, vcc_lo
.LBB2_811:                              ;   in Loop: Header=BB2_671 Depth=3
	s_or_b32 exec_lo, exec_lo, s38
.LBB2_812:                              ;   in Loop: Header=BB2_671 Depth=3
	s_delay_alu instid0(SALU_CYCLE_1) | instskip(SKIP_3) | instid1(VALU_DEP_1)
	s_or_b32 exec_lo, exec_lo, s37
	v_lshrrev_b32_e32 v151, 24, v10
	s_mov_b32 s14, 0
	s_mov_b32 s38, exec_lo
                                        ; implicit-def: $sgpr37
	v_cmpx_lt_i16_e64 0x7f, v151
	s_xor_b32 s38, exec_lo, s38
	s_cbranch_execnz .LBB2_914
; %bb.813:                              ;   in Loop: Header=BB2_671 Depth=3
	s_or_saveexec_b32 s38, s38
	v_mov_b32_e32 v160, s37
	s_xor_b32 exec_lo, exec_lo, s38
	s_cbranch_execnz .LBB2_917
.LBB2_814:                              ;   in Loop: Header=BB2_671 Depth=3
	s_or_b32 exec_lo, exec_lo, s38
	s_and_saveexec_b32 s37, s14
	s_cbranch_execz .LBB2_816
.LBB2_815:                              ;   in Loop: Header=BB2_671 Depth=3
	v_bfe_u32 v160, v10, 24, 2
	s_delay_alu instid0(VALU_DEP_1) | instskip(NEXT) | instid1(VALU_DEP_1)
	v_clz_i32_u32_e32 v161, v160
	v_min_u32_e32 v161, 32, v161
	s_delay_alu instid0(VALU_DEP_1) | instskip(SKIP_1) | instid1(VALU_DEP_2)
	v_subrev_nc_u32_e32 v162, 29, v161
	v_sub_nc_u32_e32 v161, 30, v161
	v_lshlrev_b32_e32 v151, v162, v151
	v_bfe_u32 v162, v10, 26, 5
	v_and_b32_e32 v10, 0x80000000, v10
	s_delay_alu instid0(VALU_DEP_3) | instskip(NEXT) | instid1(VALU_DEP_3)
	v_and_b32_e32 v151, 3, v151
	v_cmp_eq_u32_e32 vcc_lo, 0, v162
	v_cndmask_b32_e32 v161, v162, v161, vcc_lo
	s_delay_alu instid0(VALU_DEP_3) | instskip(NEXT) | instid1(VALU_DEP_2)
	v_cndmask_b32_e32 v151, v160, v151, vcc_lo
	v_lshl_add_u32 v160, v161, 23, 0x37800000
	s_delay_alu instid0(VALU_DEP_2) | instskip(NEXT) | instid1(VALU_DEP_1)
	v_lshlrev_b32_e32 v151, 21, v151
	v_or3_b32 v160, v10, v160, v151
.LBB2_816:                              ;   in Loop: Header=BB2_671 Depth=3
	s_or_b32 exec_lo, exec_lo, s37
	s_delay_alu instid0(VALU_DEP_1) | instskip(NEXT) | instid1(VALU_DEP_1)
	v_mul_f32_e32 v151, s36, v160
	v_and_b32_e32 v10, 0x7f800000, v151
	s_delay_alu instid0(VALU_DEP_1)
	v_cmp_ne_u32_e32 vcc_lo, 0x7f800000, v10
	v_mov_b32_e32 v10, 0x80
	s_and_saveexec_b32 s37, vcc_lo
	s_cbranch_execz .LBB2_824
; %bb.817:                              ;   in Loop: Header=BB2_671 Depth=3
	v_mov_b32_e32 v10, 0
	s_mov_b32 s38, exec_lo
	v_cmpx_ne_u32_e32 0, v151
	s_cbranch_execz .LBB2_823
; %bb.818:                              ;   in Loop: Header=BB2_671 Depth=3
	v_bfe_u32 v10, v151, 23, 8
	s_delay_alu instid0(VALU_DEP_1) | instskip(SKIP_1) | instid1(VALU_DEP_2)
	v_sub_nc_u32_e32 v161, 0x70, v10
	v_cmp_gt_u32_e32 vcc_lo, 0x71, v10
	v_dual_cndmask_b32 v161, 0, v161 :: v_dual_and_b32 v160, 0x7fffff, v151
	s_delay_alu instid0(VALU_DEP_1) | instskip(SKIP_2) | instid1(VALU_DEP_4)
	v_or_b32_e32 v162, 0x800000, v160
	v_cmp_eq_u32_e32 vcc_lo, 0, v10
	v_add_nc_u32_e32 v10, 0xffffff91, v10
	v_cndmask_b32_e64 v161, v161, 0x6f, vcc_lo
	s_delay_alu instid0(VALU_DEP_2) | instskip(SKIP_1) | instid1(VALU_DEP_3)
	v_cndmask_b32_e64 v10, v10, 0xffffff92, vcc_lo
	v_cndmask_b32_e32 v160, v162, v160, vcc_lo
	v_lshl_add_u32 v162, 0x200000, v161, -1
	v_lshlrev_b32_e64 v165, v161, 0x100000
	s_delay_alu instid0(VALU_DEP_3) | instskip(SKIP_1) | instid1(VALU_DEP_4)
	v_lshrrev_b32_e32 v163, v161, v160
	v_add_nc_u32_e32 v161, v161, v10
	v_and_b32_e32 v160, v162, v160
	s_delay_alu instid0(VALU_DEP_3) | instskip(NEXT) | instid1(VALU_DEP_2)
	v_bfe_u32 v164, v163, 21, 1
	v_cmp_eq_u32_e64 s14, v160, v165
	s_delay_alu instid0(VALU_DEP_2) | instskip(NEXT) | instid1(VALU_DEP_1)
	v_add_nc_u32_e32 v162, -1, v164
	v_cndmask_b32_e64 v160, 0, v162, s14
	v_lshrrev_b32_e32 v162, 23, v163
	s_mov_b32 s14, exec_lo
	s_delay_alu instid0(VALU_DEP_2) | instskip(NEXT) | instid1(VALU_DEP_2)
	v_add_nc_u32_e32 v160, v160, v163
	v_xor_b32_e32 v162, 1, v162
	s_delay_alu instid0(VALU_DEP_2) | instskip(NEXT) | instid1(VALU_DEP_1)
	v_and_b32_e32 v10, 0x1fffff, v160
	v_add_nc_u32_e32 v160, v10, v163
                                        ; implicit-def: $vgpr10
	s_delay_alu instid0(VALU_DEP_3)
	v_cmpx_ne_u32_e64 v161, v162
	s_xor_b32 s14, exec_lo, s14
; %bb.819:                              ;   in Loop: Header=BB2_671 Depth=3
	s_delay_alu instid0(VALU_DEP_2) | instskip(SKIP_2) | instid1(VALU_DEP_2)
	v_cmp_lt_u32_e32 vcc_lo, 0xffffff, v160
	v_sub_nc_u32_e32 v10, v161, v162
	v_cndmask_b32_e64 v161, 0, 1, vcc_lo
	v_add_co_ci_u32_e32 v10, vcc_lo, 0, v10, vcc_lo
	s_delay_alu instid0(VALU_DEP_2)
	v_lshrrev_b32_e32 v160, v161, v160
; %bb.820:                              ;   in Loop: Header=BB2_671 Depth=3
	s_and_not1_saveexec_b32 s14, s14
; %bb.821:                              ;   in Loop: Header=BB2_671 Depth=3
	s_delay_alu instid0(VALU_DEP_1)
	v_bfe_u32 v10, v160, 23, 1
; %bb.822:                              ;   in Loop: Header=BB2_671 Depth=3
	s_or_b32 exec_lo, exec_lo, s14
	v_lshrrev_b32_e32 v160, 21, v160
	s_delay_alu instid0(VALU_DEP_2) | instskip(SKIP_2) | instid1(VALU_DEP_2)
	v_cmp_gt_i32_e32 vcc_lo, 32, v10
	v_lshrrev_b32_e32 v151, 24, v151
	v_min_i32_e32 v161, 31, v10
	v_dual_cndmask_b32 v160, 3, v160 :: v_dual_and_b32 v151, 0x80, v151
	s_delay_alu instid0(VALU_DEP_1) | instskip(SKIP_1) | instid1(VALU_DEP_2)
	v_or_b32_e32 v10, v10, v160
	v_and_b32_e32 v162, 3, v160
	v_cmp_ne_u32_e32 vcc_lo, 0, v10
	v_lshlrev_b32_e32 v161, 2, v161
	s_delay_alu instid0(VALU_DEP_1) | instskip(NEXT) | instid1(VALU_DEP_1)
	v_or3_b32 v151, v161, v151, v162
	v_cndmask_b32_e32 v10, 0, v151, vcc_lo
.LBB2_823:                              ;   in Loop: Header=BB2_671 Depth=3
	s_or_b32 exec_lo, exec_lo, s38
.LBB2_824:                              ;   in Loop: Header=BB2_671 Depth=3
	s_delay_alu instid0(SALU_CYCLE_1) | instskip(SKIP_3) | instid1(VALU_DEP_1)
	s_or_b32 exec_lo, exec_lo, s37
	v_and_b32_e32 v160, 0xff, v11
	s_mov_b32 s14, 0
	s_mov_b32 s38, exec_lo
                                        ; implicit-def: $sgpr37
	v_cmpx_lt_i16_e64 0x7f, v160
	s_xor_b32 s38, exec_lo, s38
	s_cbranch_execnz .LBB2_918
; %bb.825:                              ;   in Loop: Header=BB2_671 Depth=3
	s_or_saveexec_b32 s38, s38
	v_mov_b32_e32 v151, s37
	s_xor_b32 exec_lo, exec_lo, s38
	s_cbranch_execnz .LBB2_921
.LBB2_826:                              ;   in Loop: Header=BB2_671 Depth=3
	s_or_b32 exec_lo, exec_lo, s38
	s_and_saveexec_b32 s37, s14
	s_cbranch_execz .LBB2_828
.LBB2_827:                              ;   in Loop: Header=BB2_671 Depth=3
	v_bfe_u32 v162, v11, 2, 5
	v_lshlrev_b32_e32 v163, 24, v11
	s_delay_alu instid0(VALU_DEP_2) | instskip(SKIP_1) | instid1(VALU_DEP_1)
	v_cmp_eq_u32_e32 vcc_lo, 0, v162
	v_and_b32_e32 v151, 3, v11
	v_clz_i32_u32_e32 v160, v151
	s_delay_alu instid0(VALU_DEP_1) | instskip(NEXT) | instid1(VALU_DEP_1)
	v_min_u32_e32 v160, 32, v160
	v_subrev_nc_u32_e32 v161, 29, v160
	v_sub_nc_u32_e32 v160, 30, v160
	s_delay_alu instid0(VALU_DEP_1) | instskip(NEXT) | instid1(VALU_DEP_1)
	v_dual_cndmask_b32 v160, v162, v160 :: v_dual_lshlrev_b32 v161, v161, v11
	v_and_b32_e32 v161, 3, v161
	s_delay_alu instid0(VALU_DEP_2) | instskip(NEXT) | instid1(VALU_DEP_2)
	v_lshl_add_u32 v160, v160, 23, 0x37800000
	v_cndmask_b32_e32 v151, v151, v161, vcc_lo
	v_and_b32_e32 v161, 0x80000000, v163
	s_delay_alu instid0(VALU_DEP_2) | instskip(NEXT) | instid1(VALU_DEP_1)
	v_lshlrev_b32_e32 v151, 21, v151
	v_or3_b32 v151, v161, v160, v151
.LBB2_828:                              ;   in Loop: Header=BB2_671 Depth=3
	s_or_b32 exec_lo, exec_lo, s37
	s_delay_alu instid0(VALU_DEP_1) | instskip(NEXT) | instid1(VALU_DEP_1)
	v_mul_f32_e32 v160, s36, v151
	v_and_b32_e32 v151, 0x7f800000, v160
	s_delay_alu instid0(VALU_DEP_1)
	v_cmp_ne_u32_e32 vcc_lo, 0x7f800000, v151
	v_mov_b32_e32 v151, 0x80
	s_and_saveexec_b32 s37, vcc_lo
	s_cbranch_execz .LBB2_836
; %bb.829:                              ;   in Loop: Header=BB2_671 Depth=3
	v_mov_b32_e32 v151, 0
	s_mov_b32 s38, exec_lo
	v_cmpx_ne_u32_e32 0, v160
	s_cbranch_execz .LBB2_835
; %bb.830:                              ;   in Loop: Header=BB2_671 Depth=3
	v_bfe_u32 v151, v160, 23, 8
	s_delay_alu instid0(VALU_DEP_1) | instskip(SKIP_1) | instid1(VALU_DEP_2)
	v_sub_nc_u32_e32 v162, 0x70, v151
	v_cmp_gt_u32_e32 vcc_lo, 0x71, v151
	v_dual_cndmask_b32 v162, 0, v162 :: v_dual_and_b32 v161, 0x7fffff, v160
	s_delay_alu instid0(VALU_DEP_1) | instskip(SKIP_2) | instid1(VALU_DEP_4)
	v_or_b32_e32 v163, 0x800000, v161
	v_cmp_eq_u32_e32 vcc_lo, 0, v151
	v_add_nc_u32_e32 v151, 0xffffff91, v151
	v_cndmask_b32_e64 v162, v162, 0x6f, vcc_lo
	s_delay_alu instid0(VALU_DEP_2) | instskip(SKIP_1) | instid1(VALU_DEP_3)
	v_cndmask_b32_e64 v151, v151, 0xffffff92, vcc_lo
	v_cndmask_b32_e32 v161, v163, v161, vcc_lo
	v_lshl_add_u32 v163, 0x200000, v162, -1
	v_lshlrev_b32_e64 v166, v162, 0x100000
	s_delay_alu instid0(VALU_DEP_3) | instskip(SKIP_1) | instid1(VALU_DEP_4)
	v_lshrrev_b32_e32 v164, v162, v161
	v_add_nc_u32_e32 v162, v162, v151
	v_and_b32_e32 v161, v163, v161
	s_delay_alu instid0(VALU_DEP_3) | instskip(NEXT) | instid1(VALU_DEP_2)
	v_bfe_u32 v165, v164, 21, 1
	v_cmp_eq_u32_e64 s14, v161, v166
	s_delay_alu instid0(VALU_DEP_2) | instskip(NEXT) | instid1(VALU_DEP_1)
	v_add_nc_u32_e32 v163, -1, v165
	v_cndmask_b32_e64 v161, 0, v163, s14
	v_lshrrev_b32_e32 v163, 23, v164
	s_mov_b32 s14, exec_lo
	s_delay_alu instid0(VALU_DEP_2) | instskip(NEXT) | instid1(VALU_DEP_2)
	v_add_nc_u32_e32 v161, v161, v164
	v_xor_b32_e32 v163, 1, v163
	s_delay_alu instid0(VALU_DEP_2) | instskip(NEXT) | instid1(VALU_DEP_1)
	v_and_b32_e32 v151, 0x1fffff, v161
	v_add_nc_u32_e32 v161, v151, v164
                                        ; implicit-def: $vgpr151
	s_delay_alu instid0(VALU_DEP_3)
	v_cmpx_ne_u32_e64 v162, v163
	s_xor_b32 s14, exec_lo, s14
; %bb.831:                              ;   in Loop: Header=BB2_671 Depth=3
	s_delay_alu instid0(VALU_DEP_2) | instskip(SKIP_2) | instid1(VALU_DEP_2)
	v_cmp_lt_u32_e32 vcc_lo, 0xffffff, v161
	v_sub_nc_u32_e32 v151, v162, v163
	v_cndmask_b32_e64 v162, 0, 1, vcc_lo
	v_add_co_ci_u32_e32 v151, vcc_lo, 0, v151, vcc_lo
	s_delay_alu instid0(VALU_DEP_2)
	v_lshrrev_b32_e32 v161, v162, v161
; %bb.832:                              ;   in Loop: Header=BB2_671 Depth=3
	s_and_not1_saveexec_b32 s14, s14
; %bb.833:                              ;   in Loop: Header=BB2_671 Depth=3
	s_delay_alu instid0(VALU_DEP_1)
	v_bfe_u32 v151, v161, 23, 1
; %bb.834:                              ;   in Loop: Header=BB2_671 Depth=3
	s_or_b32 exec_lo, exec_lo, s14
	v_lshrrev_b32_e32 v161, 21, v161
	s_delay_alu instid0(VALU_DEP_2) | instskip(SKIP_2) | instid1(VALU_DEP_2)
	v_cmp_gt_i32_e32 vcc_lo, 32, v151
	v_min_i32_e32 v162, 31, v151
	v_lshrrev_b32_e32 v160, 24, v160
	v_dual_cndmask_b32 v161, 3, v161 :: v_dual_lshlrev_b32 v162, 2, v162
	s_delay_alu instid0(VALU_DEP_2) | instskip(NEXT) | instid1(VALU_DEP_2)
	v_and_b32_e32 v160, 0x80, v160
	v_or_b32_e32 v151, v151, v161
	v_and_b32_e32 v163, 3, v161
	s_delay_alu instid0(VALU_DEP_2) | instskip(SKIP_1) | instid1(VALU_DEP_1)
	v_cmp_ne_u32_e32 vcc_lo, 0, v151
	v_and_b32_e32 v162, 0xfc, v162
	v_or3_b32 v160, v162, v160, v163
	s_delay_alu instid0(VALU_DEP_1)
	v_cndmask_b32_e32 v151, 0, v160, vcc_lo
.LBB2_835:                              ;   in Loop: Header=BB2_671 Depth=3
	s_or_b32 exec_lo, exec_lo, s38
.LBB2_836:                              ;   in Loop: Header=BB2_671 Depth=3
	s_delay_alu instid0(SALU_CYCLE_1) | instskip(SKIP_3) | instid1(VALU_DEP_1)
	s_or_b32 exec_lo, exec_lo, s37
	v_lshrrev_b16 v160, 8, v11
	s_mov_b32 s14, 0
	s_mov_b32 s38, exec_lo
                                        ; implicit-def: $sgpr37
	v_cmpx_lt_i16_e64 0x7f, v160
	s_xor_b32 s38, exec_lo, s38
	s_cbranch_execnz .LBB2_922
; %bb.837:                              ;   in Loop: Header=BB2_671 Depth=3
	s_or_saveexec_b32 s38, s38
	v_mov_b32_e32 v161, s37
	s_xor_b32 exec_lo, exec_lo, s38
	s_cbranch_execnz .LBB2_925
.LBB2_838:                              ;   in Loop: Header=BB2_671 Depth=3
	s_or_b32 exec_lo, exec_lo, s38
	s_and_saveexec_b32 s37, s14
	s_cbranch_execz .LBB2_840
.LBB2_839:                              ;   in Loop: Header=BB2_671 Depth=3
	v_and_b32_e32 v161, 0xffff, v160
	v_lshlrev_b32_e32 v160, 24, v160
	s_delay_alu instid0(VALU_DEP_2) | instskip(NEXT) | instid1(VALU_DEP_2)
	v_and_b32_e32 v162, 3, v161
	v_and_b32_e32 v160, 0x80000000, v160
	s_delay_alu instid0(VALU_DEP_2) | instskip(NEXT) | instid1(VALU_DEP_1)
	v_clz_i32_u32_e32 v163, v162
	v_min_u32_e32 v163, 32, v163
	s_delay_alu instid0(VALU_DEP_1) | instskip(SKIP_1) | instid1(VALU_DEP_2)
	v_subrev_nc_u32_e32 v164, 29, v163
	v_sub_nc_u32_e32 v163, 30, v163
	v_lshlrev_b32_e32 v164, v164, v161
	v_bfe_u32 v161, v161, 2, 5
	s_delay_alu instid0(VALU_DEP_2) | instskip(NEXT) | instid1(VALU_DEP_2)
	v_and_b32_e32 v164, 3, v164
	v_cmp_eq_u32_e32 vcc_lo, 0, v161
	s_delay_alu instid0(VALU_DEP_2) | instskip(NEXT) | instid1(VALU_DEP_1)
	v_dual_cndmask_b32 v161, v161, v163 :: v_dual_cndmask_b32 v162, v162, v164
	v_lshl_add_u32 v161, v161, 23, 0x37800000
	s_delay_alu instid0(VALU_DEP_2) | instskip(NEXT) | instid1(VALU_DEP_1)
	v_lshlrev_b32_e32 v162, 21, v162
	v_or3_b32 v161, v160, v161, v162
.LBB2_840:                              ;   in Loop: Header=BB2_671 Depth=3
	s_or_b32 exec_lo, exec_lo, s37
	s_delay_alu instid0(VALU_DEP_1) | instskip(NEXT) | instid1(VALU_DEP_1)
	v_mul_f32_e32 v161, s36, v161
	v_and_b32_e32 v160, 0x7f800000, v161
	s_delay_alu instid0(VALU_DEP_1)
	v_cmp_ne_u32_e32 vcc_lo, 0x7f800000, v160
	v_mov_b32_e32 v160, 0x8000
	s_and_saveexec_b32 s37, vcc_lo
	s_cbranch_execz .LBB2_848
; %bb.841:                              ;   in Loop: Header=BB2_671 Depth=3
	v_mov_b32_e32 v160, 0
	s_mov_b32 s38, exec_lo
	v_cmpx_ne_u32_e32 0, v161
	s_cbranch_execz .LBB2_847
; %bb.842:                              ;   in Loop: Header=BB2_671 Depth=3
	v_bfe_u32 v160, v161, 23, 8
	s_delay_alu instid0(VALU_DEP_1) | instskip(SKIP_1) | instid1(VALU_DEP_2)
	v_sub_nc_u32_e32 v163, 0x70, v160
	v_cmp_gt_u32_e32 vcc_lo, 0x71, v160
	v_dual_cndmask_b32 v163, 0, v163 :: v_dual_and_b32 v162, 0x7fffff, v161
	s_delay_alu instid0(VALU_DEP_1) | instskip(SKIP_2) | instid1(VALU_DEP_4)
	v_or_b32_e32 v164, 0x800000, v162
	v_cmp_eq_u32_e32 vcc_lo, 0, v160
	v_add_nc_u32_e32 v160, 0xffffff91, v160
	v_cndmask_b32_e64 v163, v163, 0x6f, vcc_lo
	s_delay_alu instid0(VALU_DEP_2) | instskip(SKIP_1) | instid1(VALU_DEP_3)
	v_cndmask_b32_e64 v160, v160, 0xffffff92, vcc_lo
	v_cndmask_b32_e32 v162, v164, v162, vcc_lo
	v_lshl_add_u32 v164, 0x200000, v163, -1
	v_lshlrev_b32_e64 v167, v163, 0x100000
	s_delay_alu instid0(VALU_DEP_3) | instskip(SKIP_1) | instid1(VALU_DEP_4)
	v_lshrrev_b32_e32 v165, v163, v162
	v_add_nc_u32_e32 v163, v163, v160
	v_and_b32_e32 v162, v164, v162
	s_delay_alu instid0(VALU_DEP_3) | instskip(NEXT) | instid1(VALU_DEP_2)
	v_bfe_u32 v166, v165, 21, 1
	v_cmp_eq_u32_e64 s14, v162, v167
	s_delay_alu instid0(VALU_DEP_2) | instskip(NEXT) | instid1(VALU_DEP_1)
	v_add_nc_u32_e32 v164, -1, v166
	v_cndmask_b32_e64 v162, 0, v164, s14
	v_lshrrev_b32_e32 v164, 23, v165
	s_mov_b32 s14, exec_lo
	s_delay_alu instid0(VALU_DEP_2) | instskip(NEXT) | instid1(VALU_DEP_2)
	v_add_nc_u32_e32 v162, v162, v165
	v_xor_b32_e32 v164, 1, v164
	s_delay_alu instid0(VALU_DEP_2) | instskip(NEXT) | instid1(VALU_DEP_1)
	v_and_b32_e32 v160, 0x1fffff, v162
	v_add_nc_u32_e32 v162, v160, v165
                                        ; implicit-def: $vgpr160
	s_delay_alu instid0(VALU_DEP_3)
	v_cmpx_ne_u32_e64 v163, v164
	s_xor_b32 s14, exec_lo, s14
; %bb.843:                              ;   in Loop: Header=BB2_671 Depth=3
	s_delay_alu instid0(VALU_DEP_2) | instskip(SKIP_2) | instid1(VALU_DEP_2)
	v_cmp_lt_u32_e32 vcc_lo, 0xffffff, v162
	v_sub_nc_u32_e32 v160, v163, v164
	v_cndmask_b32_e64 v163, 0, 1, vcc_lo
	v_add_co_ci_u32_e32 v160, vcc_lo, 0, v160, vcc_lo
	s_delay_alu instid0(VALU_DEP_2)
	v_lshrrev_b32_e32 v162, v163, v162
; %bb.844:                              ;   in Loop: Header=BB2_671 Depth=3
	s_and_not1_saveexec_b32 s14, s14
; %bb.845:                              ;   in Loop: Header=BB2_671 Depth=3
	s_delay_alu instid0(VALU_DEP_1)
	v_bfe_u32 v160, v162, 23, 1
; %bb.846:                              ;   in Loop: Header=BB2_671 Depth=3
	s_or_b32 exec_lo, exec_lo, s14
	v_lshrrev_b32_e32 v162, 21, v162
	s_delay_alu instid0(VALU_DEP_2) | instskip(SKIP_2) | instid1(VALU_DEP_2)
	v_cmp_gt_i32_e32 vcc_lo, 32, v160
	v_min_i32_e32 v163, 31, v160
	v_lshrrev_b32_e32 v161, 24, v161
	v_dual_cndmask_b32 v162, 3, v162 :: v_dual_lshlrev_b32 v163, 2, v163
	s_delay_alu instid0(VALU_DEP_2) | instskip(NEXT) | instid1(VALU_DEP_2)
	v_and_b32_e32 v161, 0x80, v161
	v_or_b32_e32 v160, v160, v162
	v_and_b32_e32 v164, 3, v162
	s_delay_alu instid0(VALU_DEP_2) | instskip(SKIP_1) | instid1(VALU_DEP_1)
	v_cmp_ne_u32_e32 vcc_lo, 0, v160
	v_and_b32_e32 v163, 0xfc, v163
	v_or3_b32 v161, v161, v163, v164
	s_delay_alu instid0(VALU_DEP_1) | instskip(NEXT) | instid1(VALU_DEP_1)
	v_lshlrev_b32_e32 v161, 8, v161
	v_cndmask_b32_e32 v160, 0, v161, vcc_lo
.LBB2_847:                              ;   in Loop: Header=BB2_671 Depth=3
	s_or_b32 exec_lo, exec_lo, s38
.LBB2_848:                              ;   in Loop: Header=BB2_671 Depth=3
	s_delay_alu instid0(SALU_CYCLE_1) | instskip(SKIP_3) | instid1(VALU_DEP_1)
	s_or_b32 exec_lo, exec_lo, s37
	v_lshrrev_b32_e32 v161, 16, v11
	s_mov_b32 s14, 0
	s_mov_b32 s38, exec_lo
                                        ; implicit-def: $sgpr37
	v_and_b32_e32 v163, 0xff, v161
	s_delay_alu instid0(VALU_DEP_1)
	v_cmpx_lt_i16_e64 0x7f, v163
	s_xor_b32 s38, exec_lo, s38
	s_cbranch_execnz .LBB2_926
; %bb.849:                              ;   in Loop: Header=BB2_671 Depth=3
	s_or_saveexec_b32 s38, s38
	v_mov_b32_e32 v162, s37
	s_xor_b32 exec_lo, exec_lo, s38
	s_cbranch_execnz .LBB2_929
.LBB2_850:                              ;   in Loop: Header=BB2_671 Depth=3
	s_or_b32 exec_lo, exec_lo, s38
	s_and_saveexec_b32 s37, s14
	s_cbranch_execz .LBB2_852
.LBB2_851:                              ;   in Loop: Header=BB2_671 Depth=3
	v_bfe_u32 v162, v11, 16, 2
	v_lshlrev_b32_e32 v165, 8, v11
	s_delay_alu instid0(VALU_DEP_2) | instskip(NEXT) | instid1(VALU_DEP_1)
	v_clz_i32_u32_e32 v163, v162
	v_min_u32_e32 v163, 32, v163
	s_delay_alu instid0(VALU_DEP_1) | instskip(SKIP_1) | instid1(VALU_DEP_2)
	v_subrev_nc_u32_e32 v164, 29, v163
	v_sub_nc_u32_e32 v163, 30, v163
	v_lshlrev_b32_e32 v161, v164, v161
	v_bfe_u32 v164, v11, 18, 5
	s_delay_alu instid0(VALU_DEP_2) | instskip(NEXT) | instid1(VALU_DEP_2)
	v_and_b32_e32 v161, 3, v161
	v_cmp_eq_u32_e32 vcc_lo, 0, v164
	v_cndmask_b32_e32 v163, v164, v163, vcc_lo
	s_delay_alu instid0(VALU_DEP_3) | instskip(SKIP_1) | instid1(VALU_DEP_3)
	v_cndmask_b32_e32 v161, v162, v161, vcc_lo
	v_and_b32_e32 v162, 0x80000000, v165
	v_lshl_add_u32 v163, v163, 23, 0x37800000
	s_delay_alu instid0(VALU_DEP_3) | instskip(NEXT) | instid1(VALU_DEP_1)
	v_lshlrev_b32_e32 v161, 21, v161
	v_or3_b32 v162, v162, v163, v161
.LBB2_852:                              ;   in Loop: Header=BB2_671 Depth=3
	s_or_b32 exec_lo, exec_lo, s37
	s_delay_alu instid0(VALU_DEP_1) | instskip(NEXT) | instid1(VALU_DEP_1)
	v_mul_f32_e32 v162, s36, v162
	v_and_b32_e32 v161, 0x7f800000, v162
	s_delay_alu instid0(VALU_DEP_1)
	v_cmp_ne_u32_e32 vcc_lo, 0x7f800000, v161
	v_mov_b32_e32 v161, 0x80
	s_and_saveexec_b32 s37, vcc_lo
	s_cbranch_execz .LBB2_860
; %bb.853:                              ;   in Loop: Header=BB2_671 Depth=3
	v_mov_b32_e32 v161, 0
	s_mov_b32 s38, exec_lo
	v_cmpx_ne_u32_e32 0, v162
	s_cbranch_execz .LBB2_859
; %bb.854:                              ;   in Loop: Header=BB2_671 Depth=3
	v_bfe_u32 v161, v162, 23, 8
	s_delay_alu instid0(VALU_DEP_1) | instskip(SKIP_1) | instid1(VALU_DEP_2)
	v_sub_nc_u32_e32 v164, 0x70, v161
	v_cmp_gt_u32_e32 vcc_lo, 0x71, v161
	v_dual_cndmask_b32 v164, 0, v164 :: v_dual_and_b32 v163, 0x7fffff, v162
	s_delay_alu instid0(VALU_DEP_1) | instskip(SKIP_2) | instid1(VALU_DEP_4)
	v_or_b32_e32 v165, 0x800000, v163
	v_cmp_eq_u32_e32 vcc_lo, 0, v161
	v_add_nc_u32_e32 v161, 0xffffff91, v161
	v_cndmask_b32_e64 v164, v164, 0x6f, vcc_lo
	s_delay_alu instid0(VALU_DEP_2) | instskip(SKIP_1) | instid1(VALU_DEP_3)
	v_cndmask_b32_e64 v161, v161, 0xffffff92, vcc_lo
	v_cndmask_b32_e32 v163, v165, v163, vcc_lo
	v_lshl_add_u32 v165, 0x200000, v164, -1
	v_lshlrev_b32_e64 v176, v164, 0x100000
	s_delay_alu instid0(VALU_DEP_3) | instskip(SKIP_1) | instid1(VALU_DEP_4)
	v_lshrrev_b32_e32 v166, v164, v163
	v_add_nc_u32_e32 v164, v164, v161
	v_and_b32_e32 v163, v165, v163
	s_delay_alu instid0(VALU_DEP_3) | instskip(NEXT) | instid1(VALU_DEP_2)
	v_bfe_u32 v167, v166, 21, 1
	v_cmp_eq_u32_e64 s14, v163, v176
	s_delay_alu instid0(VALU_DEP_2) | instskip(NEXT) | instid1(VALU_DEP_1)
	v_add_nc_u32_e32 v165, -1, v167
	v_cndmask_b32_e64 v163, 0, v165, s14
	v_lshrrev_b32_e32 v165, 23, v166
	s_mov_b32 s14, exec_lo
	s_delay_alu instid0(VALU_DEP_2) | instskip(NEXT) | instid1(VALU_DEP_2)
	v_add_nc_u32_e32 v163, v163, v166
	v_xor_b32_e32 v165, 1, v165
	s_delay_alu instid0(VALU_DEP_2) | instskip(NEXT) | instid1(VALU_DEP_1)
	v_and_b32_e32 v161, 0x1fffff, v163
	v_add_nc_u32_e32 v163, v161, v166
                                        ; implicit-def: $vgpr161
	s_delay_alu instid0(VALU_DEP_3)
	v_cmpx_ne_u32_e64 v164, v165
	s_xor_b32 s14, exec_lo, s14
; %bb.855:                              ;   in Loop: Header=BB2_671 Depth=3
	s_delay_alu instid0(VALU_DEP_2) | instskip(SKIP_2) | instid1(VALU_DEP_2)
	v_cmp_lt_u32_e32 vcc_lo, 0xffffff, v163
	v_sub_nc_u32_e32 v161, v164, v165
	v_cndmask_b32_e64 v164, 0, 1, vcc_lo
	v_add_co_ci_u32_e32 v161, vcc_lo, 0, v161, vcc_lo
	s_delay_alu instid0(VALU_DEP_2)
	v_lshrrev_b32_e32 v163, v164, v163
; %bb.856:                              ;   in Loop: Header=BB2_671 Depth=3
	s_and_not1_saveexec_b32 s14, s14
; %bb.857:                              ;   in Loop: Header=BB2_671 Depth=3
	s_delay_alu instid0(VALU_DEP_1)
	v_bfe_u32 v161, v163, 23, 1
; %bb.858:                              ;   in Loop: Header=BB2_671 Depth=3
	s_or_b32 exec_lo, exec_lo, s14
	v_lshrrev_b32_e32 v163, 21, v163
	s_delay_alu instid0(VALU_DEP_2) | instskip(SKIP_2) | instid1(VALU_DEP_2)
	v_cmp_gt_i32_e32 vcc_lo, 32, v161
	v_min_i32_e32 v164, 31, v161
	v_lshrrev_b32_e32 v162, 24, v162
	v_dual_cndmask_b32 v163, 3, v163 :: v_dual_lshlrev_b32 v164, 2, v164
	s_delay_alu instid0(VALU_DEP_2) | instskip(NEXT) | instid1(VALU_DEP_2)
	v_and_b32_e32 v162, 0x80, v162
	v_or_b32_e32 v161, v161, v163
	v_and_b32_e32 v165, 3, v163
	s_delay_alu instid0(VALU_DEP_2) | instskip(SKIP_1) | instid1(VALU_DEP_1)
	v_cmp_ne_u32_e32 vcc_lo, 0, v161
	v_and_b32_e32 v164, 0xfc, v164
	v_or3_b32 v162, v164, v162, v165
	s_delay_alu instid0(VALU_DEP_1)
	v_cndmask_b32_e32 v161, 0, v162, vcc_lo
.LBB2_859:                              ;   in Loop: Header=BB2_671 Depth=3
	s_or_b32 exec_lo, exec_lo, s38
.LBB2_860:                              ;   in Loop: Header=BB2_671 Depth=3
	s_delay_alu instid0(SALU_CYCLE_1) | instskip(SKIP_3) | instid1(VALU_DEP_1)
	s_or_b32 exec_lo, exec_lo, s37
	v_lshrrev_b32_e32 v162, 24, v11
	s_mov_b32 s14, 0
	s_mov_b32 s38, exec_lo
                                        ; implicit-def: $sgpr37
	v_cmpx_lt_i16_e64 0x7f, v162
	s_xor_b32 s38, exec_lo, s38
	s_cbranch_execnz .LBB2_930
; %bb.861:                              ;   in Loop: Header=BB2_671 Depth=3
	s_or_saveexec_b32 s38, s38
	v_mov_b32_e32 v163, s37
	s_xor_b32 exec_lo, exec_lo, s38
	s_cbranch_execnz .LBB2_933
.LBB2_862:                              ;   in Loop: Header=BB2_671 Depth=3
	s_or_b32 exec_lo, exec_lo, s38
	s_and_saveexec_b32 s37, s14
	s_cbranch_execz .LBB2_864
.LBB2_863:                              ;   in Loop: Header=BB2_671 Depth=3
	v_bfe_u32 v163, v11, 24, 2
	s_delay_alu instid0(VALU_DEP_1) | instskip(NEXT) | instid1(VALU_DEP_1)
	v_clz_i32_u32_e32 v164, v163
	v_min_u32_e32 v164, 32, v164
	s_delay_alu instid0(VALU_DEP_1) | instskip(SKIP_1) | instid1(VALU_DEP_2)
	v_subrev_nc_u32_e32 v165, 29, v164
	v_sub_nc_u32_e32 v164, 30, v164
	v_lshlrev_b32_e32 v162, v165, v162
	v_bfe_u32 v165, v11, 26, 5
	v_and_b32_e32 v11, 0x80000000, v11
	s_delay_alu instid0(VALU_DEP_3) | instskip(NEXT) | instid1(VALU_DEP_3)
	v_and_b32_e32 v162, 3, v162
	v_cmp_eq_u32_e32 vcc_lo, 0, v165
	v_cndmask_b32_e32 v164, v165, v164, vcc_lo
	s_delay_alu instid0(VALU_DEP_3) | instskip(NEXT) | instid1(VALU_DEP_2)
	v_cndmask_b32_e32 v162, v163, v162, vcc_lo
	v_lshl_add_u32 v163, v164, 23, 0x37800000
	s_delay_alu instid0(VALU_DEP_2) | instskip(NEXT) | instid1(VALU_DEP_1)
	v_lshlrev_b32_e32 v162, 21, v162
	v_or3_b32 v163, v11, v163, v162
.LBB2_864:                              ;   in Loop: Header=BB2_671 Depth=3
	s_or_b32 exec_lo, exec_lo, s37
	s_delay_alu instid0(VALU_DEP_1) | instskip(NEXT) | instid1(VALU_DEP_1)
	v_mul_f32_e32 v11, s36, v163
	v_and_b32_e32 v162, 0x7f800000, v11
	s_delay_alu instid0(VALU_DEP_1)
	v_cmp_ne_u32_e32 vcc_lo, 0x7f800000, v162
	v_mov_b32_e32 v162, 0x8000
	s_and_saveexec_b32 s36, vcc_lo
	s_cbranch_execz .LBB2_670
; %bb.865:                              ;   in Loop: Header=BB2_671 Depth=3
	v_mov_b32_e32 v162, 0
	s_mov_b32 s37, exec_lo
	v_cmpx_ne_u32_e32 0, v11
	s_cbranch_execz .LBB2_669
; %bb.866:                              ;   in Loop: Header=BB2_671 Depth=3
	v_bfe_u32 v162, v11, 23, 8
	s_delay_alu instid0(VALU_DEP_1) | instskip(SKIP_1) | instid1(VALU_DEP_2)
	v_sub_nc_u32_e32 v164, 0x70, v162
	v_cmp_gt_u32_e32 vcc_lo, 0x71, v162
	v_dual_cndmask_b32 v164, 0, v164 :: v_dual_and_b32 v163, 0x7fffff, v11
	s_delay_alu instid0(VALU_DEP_1) | instskip(SKIP_2) | instid1(VALU_DEP_4)
	v_or_b32_e32 v165, 0x800000, v163
	v_cmp_eq_u32_e32 vcc_lo, 0, v162
	v_add_nc_u32_e32 v162, 0xffffff91, v162
	v_cndmask_b32_e64 v164, v164, 0x6f, vcc_lo
	s_delay_alu instid0(VALU_DEP_4) | instskip(NEXT) | instid1(VALU_DEP_3)
	v_cndmask_b32_e32 v163, v165, v163, vcc_lo
	v_cndmask_b32_e64 v162, v162, 0xffffff92, vcc_lo
	s_delay_alu instid0(VALU_DEP_3) | instskip(NEXT) | instid1(VALU_DEP_3)
	v_lshl_add_u32 v165, 0x200000, v164, -1
	v_lshrrev_b32_e32 v166, v164, v163
	v_lshlrev_b32_e64 v176, v164, 0x100000
	s_delay_alu instid0(VALU_DEP_4) | instskip(NEXT) | instid1(VALU_DEP_4)
	v_add_nc_u32_e32 v164, v164, v162
	v_and_b32_e32 v163, v165, v163
	s_delay_alu instid0(VALU_DEP_4) | instskip(NEXT) | instid1(VALU_DEP_2)
	v_bfe_u32 v167, v166, 21, 1
	v_cmp_eq_u32_e64 s14, v163, v176
	s_delay_alu instid0(VALU_DEP_2) | instskip(NEXT) | instid1(VALU_DEP_1)
	v_add_nc_u32_e32 v165, -1, v167
	v_cndmask_b32_e64 v163, 0, v165, s14
	v_lshrrev_b32_e32 v165, 23, v166
	s_mov_b32 s14, exec_lo
	s_delay_alu instid0(VALU_DEP_2) | instskip(NEXT) | instid1(VALU_DEP_2)
	v_add_nc_u32_e32 v163, v163, v166
	v_xor_b32_e32 v165, 1, v165
	s_delay_alu instid0(VALU_DEP_2) | instskip(NEXT) | instid1(VALU_DEP_1)
	v_and_b32_e32 v162, 0x1fffff, v163
	v_add_nc_u32_e32 v163, v162, v166
                                        ; implicit-def: $vgpr162
	s_delay_alu instid0(VALU_DEP_3)
	v_cmpx_ne_u32_e64 v164, v165
	s_xor_b32 s14, exec_lo, s14
; %bb.867:                              ;   in Loop: Header=BB2_671 Depth=3
	s_delay_alu instid0(VALU_DEP_2) | instskip(SKIP_2) | instid1(VALU_DEP_2)
	v_cmp_lt_u32_e32 vcc_lo, 0xffffff, v163
	v_sub_nc_u32_e32 v162, v164, v165
	v_cndmask_b32_e64 v164, 0, 1, vcc_lo
	v_add_co_ci_u32_e32 v162, vcc_lo, 0, v162, vcc_lo
	s_delay_alu instid0(VALU_DEP_2)
	v_lshrrev_b32_e32 v163, v164, v163
; %bb.868:                              ;   in Loop: Header=BB2_671 Depth=3
	s_and_not1_saveexec_b32 s14, s14
	s_cbranch_execz .LBB2_668
; %bb.869:                              ;   in Loop: Header=BB2_671 Depth=3
	s_delay_alu instid0(VALU_DEP_1)
	v_bfe_u32 v162, v163, 23, 1
	s_branch .LBB2_668
.LBB2_870:                              ;   in Loop: Header=BB2_671 Depth=3
	s_mov_b32 s14, -1
	s_mov_b32 s39, exec_lo
                                        ; implicit-def: $sgpr37
	v_cmpx_eq_u16_e64 0x80, v135
; %bb.871:                              ;   in Loop: Header=BB2_671 Depth=3
	s_mov_b32 s37, 0x7f800001
	s_xor_b32 s14, exec_lo, -1
; %bb.872:                              ;   in Loop: Header=BB2_671 Depth=3
	s_or_b32 exec_lo, exec_lo, s39
	s_delay_alu instid0(SALU_CYCLE_1)
	s_and_b32 s14, s14, exec_lo
                                        ; implicit-def: $vgpr135
	s_or_saveexec_b32 s38, s38
	v_mov_b32_e32 v134, s37
	s_xor_b32 exec_lo, exec_lo, s38
	s_cbranch_execz .LBB2_682
.LBB2_873:                              ;   in Loop: Header=BB2_671 Depth=3
	v_cmp_ne_u16_e64 vcc_lo, 0, v135
	v_mov_b32_e32 v134, 0
	s_and_not1_b32 s14, s14, exec_lo
	s_delay_alu instid0(VALU_DEP_2) | instskip(NEXT) | instid1(SALU_CYCLE_1)
	s_and_b32 vcc_lo, vcc_lo, exec_lo
	s_or_b32 s14, s14, vcc_lo
	s_or_b32 exec_lo, exec_lo, s38
	s_and_saveexec_b32 s37, s14
	s_cbranch_execnz .LBB2_683
	s_branch .LBB2_684
.LBB2_874:                              ;   in Loop: Header=BB2_671 Depth=3
	s_mov_b32 s14, -1
	s_mov_b32 s39, exec_lo
                                        ; implicit-def: $sgpr37
	v_cmpx_eq_u16_e64 0x80, v135
; %bb.875:                              ;   in Loop: Header=BB2_671 Depth=3
	s_mov_b32 s37, 0x7f800001
	s_xor_b32 s14, exec_lo, -1
; %bb.876:                              ;   in Loop: Header=BB2_671 Depth=3
	s_or_b32 exec_lo, exec_lo, s39
	s_delay_alu instid0(SALU_CYCLE_1)
	s_and_b32 s14, s14, exec_lo
	s_or_saveexec_b32 s38, s38
	v_mov_b32_e32 v144, s37
	s_xor_b32 exec_lo, exec_lo, s38
	s_cbranch_execz .LBB2_694
.LBB2_877:                              ;   in Loop: Header=BB2_671 Depth=3
	v_cmp_ne_u16_e64 vcc_lo, 0, v135
	v_mov_b32_e32 v144, 0
	s_and_not1_b32 s14, s14, exec_lo
	s_delay_alu instid0(VALU_DEP_2) | instskip(NEXT) | instid1(SALU_CYCLE_1)
	s_and_b32 vcc_lo, vcc_lo, exec_lo
	s_or_b32 s14, s14, vcc_lo
	s_or_b32 exec_lo, exec_lo, s38
	s_and_saveexec_b32 s37, s14
	s_cbranch_execnz .LBB2_695
	s_branch .LBB2_696
.LBB2_878:                              ;   in Loop: Header=BB2_671 Depth=3
	s_mov_b32 s14, -1
	s_mov_b32 s39, exec_lo
                                        ; implicit-def: $sgpr37
	v_cmpx_eq_u16_e64 0x80, v146
; %bb.879:                              ;   in Loop: Header=BB2_671 Depth=3
	s_mov_b32 s37, 0x7f800001
	s_xor_b32 s14, exec_lo, -1
; %bb.880:                              ;   in Loop: Header=BB2_671 Depth=3
	s_or_b32 exec_lo, exec_lo, s39
	s_delay_alu instid0(SALU_CYCLE_1)
	s_and_b32 s14, s14, exec_lo
                                        ; implicit-def: $vgpr146
	s_or_saveexec_b32 s38, s38
	v_mov_b32_e32 v145, s37
	s_xor_b32 exec_lo, exec_lo, s38
	s_cbranch_execz .LBB2_706
.LBB2_881:                              ;   in Loop: Header=BB2_671 Depth=3
	v_cmp_ne_u16_e64 vcc_lo, 0, v146
	v_mov_b32_e32 v145, 0
	s_and_not1_b32 s14, s14, exec_lo
	s_delay_alu instid0(VALU_DEP_2) | instskip(NEXT) | instid1(SALU_CYCLE_1)
	s_and_b32 vcc_lo, vcc_lo, exec_lo
	s_or_b32 s14, s14, vcc_lo
	s_or_b32 exec_lo, exec_lo, s38
	s_and_saveexec_b32 s37, s14
	s_cbranch_execnz .LBB2_707
	s_branch .LBB2_708
.LBB2_882:                              ;   in Loop: Header=BB2_671 Depth=3
	s_mov_b32 s14, -1
	s_mov_b32 s39, exec_lo
                                        ; implicit-def: $sgpr37
	v_cmpx_eq_u16_e64 0x80, v145
; %bb.883:                              ;   in Loop: Header=BB2_671 Depth=3
	s_mov_b32 s37, 0x7f800001
	s_xor_b32 s14, exec_lo, -1
; %bb.884:                              ;   in Loop: Header=BB2_671 Depth=3
	s_or_b32 exec_lo, exec_lo, s39
	s_delay_alu instid0(SALU_CYCLE_1)
	s_and_b32 s14, s14, exec_lo
	s_or_saveexec_b32 s38, s38
	v_mov_b32_e32 v146, s37
	s_xor_b32 exec_lo, exec_lo, s38
	s_cbranch_execz .LBB2_718
.LBB2_885:                              ;   in Loop: Header=BB2_671 Depth=3
	v_cmp_ne_u16_e64 vcc_lo, 0, v145
	v_mov_b32_e32 v146, 0
	s_and_not1_b32 s14, s14, exec_lo
	s_delay_alu instid0(VALU_DEP_2) | instskip(NEXT) | instid1(SALU_CYCLE_1)
	s_and_b32 vcc_lo, vcc_lo, exec_lo
	s_or_b32 s14, s14, vcc_lo
	s_or_b32 exec_lo, exec_lo, s38
	s_and_saveexec_b32 s37, s14
	s_cbranch_execnz .LBB2_719
	s_branch .LBB2_720
.LBB2_886:                              ;   in Loop: Header=BB2_671 Depth=3
	s_mov_b32 s14, -1
	s_mov_b32 s39, exec_lo
                                        ; implicit-def: $sgpr37
	v_cmpx_eq_u16_e64 0x80, v146
; %bb.887:                              ;   in Loop: Header=BB2_671 Depth=3
	s_mov_b32 s37, 0x7f800001
	s_xor_b32 s14, exec_lo, -1
; %bb.888:                              ;   in Loop: Header=BB2_671 Depth=3
	s_or_b32 exec_lo, exec_lo, s39
	s_delay_alu instid0(SALU_CYCLE_1)
	s_and_b32 s14, s14, exec_lo
                                        ; implicit-def: $vgpr146
	s_or_saveexec_b32 s38, s38
	v_mov_b32_e32 v145, s37
	s_xor_b32 exec_lo, exec_lo, s38
	s_cbranch_execz .LBB2_730
.LBB2_889:                              ;   in Loop: Header=BB2_671 Depth=3
	v_cmp_ne_u16_e64 vcc_lo, 0, v146
	v_mov_b32_e32 v145, 0
	s_and_not1_b32 s14, s14, exec_lo
	s_delay_alu instid0(VALU_DEP_2) | instskip(NEXT) | instid1(SALU_CYCLE_1)
	s_and_b32 vcc_lo, vcc_lo, exec_lo
	s_or_b32 s14, s14, vcc_lo
	s_or_b32 exec_lo, exec_lo, s38
	s_and_saveexec_b32 s37, s14
	s_cbranch_execnz .LBB2_731
	s_branch .LBB2_732
.LBB2_890:                              ;   in Loop: Header=BB2_671 Depth=3
	s_mov_b32 s14, -1
	s_mov_b32 s39, exec_lo
                                        ; implicit-def: $sgpr37
	v_cmpx_eq_u16_e64 0x80, v146
; %bb.891:                              ;   in Loop: Header=BB2_671 Depth=3
	s_mov_b32 s37, 0x7f800001
	s_xor_b32 s14, exec_lo, -1
; %bb.892:                              ;   in Loop: Header=BB2_671 Depth=3
	s_or_b32 exec_lo, exec_lo, s39
	s_delay_alu instid0(SALU_CYCLE_1)
	s_and_b32 s14, s14, exec_lo
	s_or_saveexec_b32 s38, s38
	v_mov_b32_e32 v147, s37
	s_xor_b32 exec_lo, exec_lo, s38
	s_cbranch_execz .LBB2_742
.LBB2_893:                              ;   in Loop: Header=BB2_671 Depth=3
	v_cmp_ne_u16_e64 vcc_lo, 0, v146
	v_mov_b32_e32 v147, 0
	s_and_not1_b32 s14, s14, exec_lo
	s_delay_alu instid0(VALU_DEP_2) | instskip(NEXT) | instid1(SALU_CYCLE_1)
	s_and_b32 vcc_lo, vcc_lo, exec_lo
	s_or_b32 s14, s14, vcc_lo
	s_or_b32 exec_lo, exec_lo, s38
	s_and_saveexec_b32 s37, s14
	s_cbranch_execnz .LBB2_743
	s_branch .LBB2_744
.LBB2_894:                              ;   in Loop: Header=BB2_671 Depth=3
	s_mov_b32 s14, -1
	s_mov_b32 s39, exec_lo
                                        ; implicit-def: $sgpr37
	v_cmpx_eq_u16_e64 0x80, v149
; %bb.895:                              ;   in Loop: Header=BB2_671 Depth=3
	s_mov_b32 s37, 0x7f800001
	s_xor_b32 s14, exec_lo, -1
; %bb.896:                              ;   in Loop: Header=BB2_671 Depth=3
	s_or_b32 exec_lo, exec_lo, s39
	s_delay_alu instid0(SALU_CYCLE_1)
	s_and_b32 s14, s14, exec_lo
                                        ; implicit-def: $vgpr149
	s_or_saveexec_b32 s38, s38
	v_mov_b32_e32 v148, s37
	s_xor_b32 exec_lo, exec_lo, s38
	s_cbranch_execz .LBB2_754
.LBB2_897:                              ;   in Loop: Header=BB2_671 Depth=3
	v_cmp_ne_u16_e64 vcc_lo, 0, v149
	v_mov_b32_e32 v148, 0
	s_and_not1_b32 s14, s14, exec_lo
	s_delay_alu instid0(VALU_DEP_2) | instskip(NEXT) | instid1(SALU_CYCLE_1)
	s_and_b32 vcc_lo, vcc_lo, exec_lo
	s_or_b32 s14, s14, vcc_lo
	s_or_b32 exec_lo, exec_lo, s38
	s_and_saveexec_b32 s37, s14
	s_cbranch_execnz .LBB2_755
	s_branch .LBB2_756
.LBB2_898:                              ;   in Loop: Header=BB2_671 Depth=3
	s_mov_b32 s14, -1
	s_mov_b32 s39, exec_lo
                                        ; implicit-def: $sgpr37
	v_cmpx_eq_u16_e64 0x80, v148
; %bb.899:                              ;   in Loop: Header=BB2_671 Depth=3
	s_mov_b32 s37, 0x7f800001
	s_xor_b32 s14, exec_lo, -1
; %bb.900:                              ;   in Loop: Header=BB2_671 Depth=3
	s_or_b32 exec_lo, exec_lo, s39
	s_delay_alu instid0(SALU_CYCLE_1)
	s_and_b32 s14, s14, exec_lo
	s_or_saveexec_b32 s38, s38
	v_mov_b32_e32 v149, s37
	s_xor_b32 exec_lo, exec_lo, s38
	s_cbranch_execz .LBB2_766
.LBB2_901:                              ;   in Loop: Header=BB2_671 Depth=3
	v_cmp_ne_u16_e64 vcc_lo, 0, v148
	v_mov_b32_e32 v149, 0
	s_and_not1_b32 s14, s14, exec_lo
	s_delay_alu instid0(VALU_DEP_2) | instskip(NEXT) | instid1(SALU_CYCLE_1)
	s_and_b32 vcc_lo, vcc_lo, exec_lo
	s_or_b32 s14, s14, vcc_lo
	s_or_b32 exec_lo, exec_lo, s38
	s_and_saveexec_b32 s37, s14
	s_cbranch_execnz .LBB2_767
	s_branch .LBB2_768
.LBB2_902:                              ;   in Loop: Header=BB2_671 Depth=3
	s_mov_b32 s14, -1
	s_mov_b32 s39, exec_lo
                                        ; implicit-def: $sgpr37
	v_cmpx_eq_u16_e64 0x80, v149
; %bb.903:                              ;   in Loop: Header=BB2_671 Depth=3
	s_mov_b32 s37, 0x7f800001
	s_xor_b32 s14, exec_lo, -1
; %bb.904:                              ;   in Loop: Header=BB2_671 Depth=3
	s_or_b32 exec_lo, exec_lo, s39
	s_delay_alu instid0(SALU_CYCLE_1)
	s_and_b32 s14, s14, exec_lo
                                        ; implicit-def: $vgpr149
	s_or_saveexec_b32 s38, s38
	v_mov_b32_e32 v148, s37
	s_xor_b32 exec_lo, exec_lo, s38
	s_cbranch_execz .LBB2_778
.LBB2_905:                              ;   in Loop: Header=BB2_671 Depth=3
	v_cmp_ne_u16_e64 vcc_lo, 0, v149
	v_mov_b32_e32 v148, 0
	s_and_not1_b32 s14, s14, exec_lo
	s_delay_alu instid0(VALU_DEP_2) | instskip(NEXT) | instid1(SALU_CYCLE_1)
	s_and_b32 vcc_lo, vcc_lo, exec_lo
	s_or_b32 s14, s14, vcc_lo
	s_or_b32 exec_lo, exec_lo, s38
	s_and_saveexec_b32 s37, s14
	s_cbranch_execnz .LBB2_779
	s_branch .LBB2_780
.LBB2_906:                              ;   in Loop: Header=BB2_671 Depth=3
	s_mov_b32 s14, -1
	s_mov_b32 s39, exec_lo
                                        ; implicit-def: $sgpr37
	v_cmpx_eq_u16_e64 0x80, v149
; %bb.907:                              ;   in Loop: Header=BB2_671 Depth=3
	s_mov_b32 s37, 0x7f800001
	s_xor_b32 s14, exec_lo, -1
; %bb.908:                              ;   in Loop: Header=BB2_671 Depth=3
	s_or_b32 exec_lo, exec_lo, s39
	s_delay_alu instid0(SALU_CYCLE_1)
	s_and_b32 s14, s14, exec_lo
	s_or_saveexec_b32 s38, s38
	v_mov_b32_e32 v150, s37
	s_xor_b32 exec_lo, exec_lo, s38
	s_cbranch_execz .LBB2_790
.LBB2_909:                              ;   in Loop: Header=BB2_671 Depth=3
	v_cmp_ne_u16_e64 vcc_lo, 0, v149
	v_mov_b32_e32 v150, 0
	s_and_not1_b32 s14, s14, exec_lo
	s_delay_alu instid0(VALU_DEP_2) | instskip(NEXT) | instid1(SALU_CYCLE_1)
	s_and_b32 vcc_lo, vcc_lo, exec_lo
	s_or_b32 s14, s14, vcc_lo
	s_or_b32 exec_lo, exec_lo, s38
	s_and_saveexec_b32 s37, s14
	s_cbranch_execnz .LBB2_791
	s_branch .LBB2_792
.LBB2_910:                              ;   in Loop: Header=BB2_671 Depth=3
	s_mov_b32 s14, -1
	s_mov_b32 s39, exec_lo
                                        ; implicit-def: $sgpr37
	v_cmpx_eq_u16_e64 0x80, v160
; %bb.911:                              ;   in Loop: Header=BB2_671 Depth=3
	s_mov_b32 s37, 0x7f800001
	s_xor_b32 s14, exec_lo, -1
; %bb.912:                              ;   in Loop: Header=BB2_671 Depth=3
	s_or_b32 exec_lo, exec_lo, s39
	s_delay_alu instid0(SALU_CYCLE_1)
	s_and_b32 s14, s14, exec_lo
                                        ; implicit-def: $vgpr160
	s_or_saveexec_b32 s38, s38
	v_mov_b32_e32 v151, s37
	s_xor_b32 exec_lo, exec_lo, s38
	s_cbranch_execz .LBB2_802
.LBB2_913:                              ;   in Loop: Header=BB2_671 Depth=3
	v_cmp_ne_u16_e64 vcc_lo, 0, v160
	v_mov_b32_e32 v151, 0
	s_and_not1_b32 s14, s14, exec_lo
	s_delay_alu instid0(VALU_DEP_2) | instskip(NEXT) | instid1(SALU_CYCLE_1)
	s_and_b32 vcc_lo, vcc_lo, exec_lo
	s_or_b32 s14, s14, vcc_lo
	s_or_b32 exec_lo, exec_lo, s38
	s_and_saveexec_b32 s37, s14
	s_cbranch_execnz .LBB2_803
	s_branch .LBB2_804
.LBB2_914:                              ;   in Loop: Header=BB2_671 Depth=3
	s_mov_b32 s14, -1
	s_mov_b32 s39, exec_lo
                                        ; implicit-def: $sgpr37
	v_cmpx_eq_u16_e64 0x80, v151
; %bb.915:                              ;   in Loop: Header=BB2_671 Depth=3
	s_mov_b32 s37, 0x7f800001
	s_xor_b32 s14, exec_lo, -1
; %bb.916:                              ;   in Loop: Header=BB2_671 Depth=3
	s_or_b32 exec_lo, exec_lo, s39
	s_delay_alu instid0(SALU_CYCLE_1)
	s_and_b32 s14, s14, exec_lo
	s_or_saveexec_b32 s38, s38
	v_mov_b32_e32 v160, s37
	s_xor_b32 exec_lo, exec_lo, s38
	s_cbranch_execz .LBB2_814
.LBB2_917:                              ;   in Loop: Header=BB2_671 Depth=3
	v_cmp_ne_u16_e64 vcc_lo, 0, v151
	v_mov_b32_e32 v160, 0
	s_and_not1_b32 s14, s14, exec_lo
	s_delay_alu instid0(VALU_DEP_2) | instskip(NEXT) | instid1(SALU_CYCLE_1)
	s_and_b32 vcc_lo, vcc_lo, exec_lo
	s_or_b32 s14, s14, vcc_lo
	s_or_b32 exec_lo, exec_lo, s38
	s_and_saveexec_b32 s37, s14
	s_cbranch_execnz .LBB2_815
	s_branch .LBB2_816
.LBB2_918:                              ;   in Loop: Header=BB2_671 Depth=3
	s_mov_b32 s14, -1
	s_mov_b32 s39, exec_lo
                                        ; implicit-def: $sgpr37
	v_cmpx_eq_u16_e64 0x80, v160
; %bb.919:                              ;   in Loop: Header=BB2_671 Depth=3
	s_mov_b32 s37, 0x7f800001
	s_xor_b32 s14, exec_lo, -1
; %bb.920:                              ;   in Loop: Header=BB2_671 Depth=3
	s_or_b32 exec_lo, exec_lo, s39
	s_delay_alu instid0(SALU_CYCLE_1)
	s_and_b32 s14, s14, exec_lo
                                        ; implicit-def: $vgpr160
	s_or_saveexec_b32 s38, s38
	v_mov_b32_e32 v151, s37
	s_xor_b32 exec_lo, exec_lo, s38
	s_cbranch_execz .LBB2_826
.LBB2_921:                              ;   in Loop: Header=BB2_671 Depth=3
	v_cmp_ne_u16_e64 vcc_lo, 0, v160
	v_mov_b32_e32 v151, 0
	s_and_not1_b32 s14, s14, exec_lo
	s_delay_alu instid0(VALU_DEP_2) | instskip(NEXT) | instid1(SALU_CYCLE_1)
	s_and_b32 vcc_lo, vcc_lo, exec_lo
	s_or_b32 s14, s14, vcc_lo
	s_or_b32 exec_lo, exec_lo, s38
	s_and_saveexec_b32 s37, s14
	s_cbranch_execnz .LBB2_827
	s_branch .LBB2_828
.LBB2_922:                              ;   in Loop: Header=BB2_671 Depth=3
	s_mov_b32 s14, -1
	s_mov_b32 s39, exec_lo
                                        ; implicit-def: $sgpr37
	v_cmpx_eq_u16_e64 0x80, v160
; %bb.923:                              ;   in Loop: Header=BB2_671 Depth=3
	s_mov_b32 s37, 0x7f800001
	s_xor_b32 s14, exec_lo, -1
; %bb.924:                              ;   in Loop: Header=BB2_671 Depth=3
	s_or_b32 exec_lo, exec_lo, s39
	s_delay_alu instid0(SALU_CYCLE_1)
	s_and_b32 s14, s14, exec_lo
	s_or_saveexec_b32 s38, s38
	v_mov_b32_e32 v161, s37
	s_xor_b32 exec_lo, exec_lo, s38
	s_cbranch_execz .LBB2_838
.LBB2_925:                              ;   in Loop: Header=BB2_671 Depth=3
	v_cmp_ne_u16_e64 vcc_lo, 0, v160
	v_mov_b32_e32 v161, 0
	s_and_not1_b32 s14, s14, exec_lo
	s_delay_alu instid0(VALU_DEP_2) | instskip(NEXT) | instid1(SALU_CYCLE_1)
	s_and_b32 vcc_lo, vcc_lo, exec_lo
	s_or_b32 s14, s14, vcc_lo
	s_or_b32 exec_lo, exec_lo, s38
	s_and_saveexec_b32 s37, s14
	s_cbranch_execnz .LBB2_839
	s_branch .LBB2_840
.LBB2_926:                              ;   in Loop: Header=BB2_671 Depth=3
	s_mov_b32 s14, -1
	s_mov_b32 s39, exec_lo
                                        ; implicit-def: $sgpr37
	v_cmpx_eq_u16_e64 0x80, v163
; %bb.927:                              ;   in Loop: Header=BB2_671 Depth=3
	s_mov_b32 s37, 0x7f800001
	s_xor_b32 s14, exec_lo, -1
; %bb.928:                              ;   in Loop: Header=BB2_671 Depth=3
	s_or_b32 exec_lo, exec_lo, s39
	s_delay_alu instid0(SALU_CYCLE_1)
	s_and_b32 s14, s14, exec_lo
                                        ; implicit-def: $vgpr163
	s_or_saveexec_b32 s38, s38
	v_mov_b32_e32 v162, s37
	s_xor_b32 exec_lo, exec_lo, s38
	s_cbranch_execz .LBB2_850
.LBB2_929:                              ;   in Loop: Header=BB2_671 Depth=3
	v_cmp_ne_u16_e64 vcc_lo, 0, v163
	v_mov_b32_e32 v162, 0
	s_and_not1_b32 s14, s14, exec_lo
	s_delay_alu instid0(VALU_DEP_2) | instskip(NEXT) | instid1(SALU_CYCLE_1)
	s_and_b32 vcc_lo, vcc_lo, exec_lo
	s_or_b32 s14, s14, vcc_lo
	s_or_b32 exec_lo, exec_lo, s38
	s_and_saveexec_b32 s37, s14
	s_cbranch_execnz .LBB2_851
	s_branch .LBB2_852
.LBB2_930:                              ;   in Loop: Header=BB2_671 Depth=3
	s_mov_b32 s14, -1
	s_mov_b32 s39, exec_lo
                                        ; implicit-def: $sgpr37
	v_cmpx_eq_u16_e64 0x80, v162
; %bb.931:                              ;   in Loop: Header=BB2_671 Depth=3
	s_mov_b32 s37, 0x7f800001
	s_xor_b32 s14, exec_lo, -1
; %bb.932:                              ;   in Loop: Header=BB2_671 Depth=3
	s_or_b32 exec_lo, exec_lo, s39
	s_delay_alu instid0(SALU_CYCLE_1)
	s_and_b32 s14, s14, exec_lo
	s_or_saveexec_b32 s38, s38
	v_mov_b32_e32 v163, s37
	s_xor_b32 exec_lo, exec_lo, s38
	s_cbranch_execz .LBB2_862
.LBB2_933:                              ;   in Loop: Header=BB2_671 Depth=3
	v_cmp_ne_u16_e64 vcc_lo, 0, v162
	v_mov_b32_e32 v163, 0
	s_and_not1_b32 s14, s14, exec_lo
	s_delay_alu instid0(VALU_DEP_2) | instskip(NEXT) | instid1(SALU_CYCLE_1)
	s_and_b32 vcc_lo, vcc_lo, exec_lo
	s_or_b32 s14, s14, vcc_lo
	s_or_b32 exec_lo, exec_lo, s38
	s_and_saveexec_b32 s37, s14
	s_cbranch_execnz .LBB2_863
	s_branch .LBB2_864
.LBB2_934:                              ;   in Loop: Header=BB2_59 Depth=2
	s_or_b32 exec_lo, exec_lo, s34
.LBB2_935:                              ;   in Loop: Header=BB2_59 Depth=2
	s_delay_alu instid0(SALU_CYCLE_1) | instskip(SKIP_4) | instid1(VALU_DEP_2)
	s_or_b32 exec_lo, exec_lo, s31
	v_and_b32_e32 v8, 15, v51
	v_mov_b32_e32 v64, 0
	s_mov_b32 s14, 0
	s_mov_b32 s31, exec_lo
                                        ; implicit-def: $vgpr130
                                        ; implicit-def: $vgpr10
	v_cndmask_b32_e64 v65, v128, v8, s13
	s_delay_alu instid0(VALU_DEP_1)
	v_cmpx_ne_u32_e32 0, v65
	s_cbranch_execz .LBB2_937
; %bb.936:                              ;   in Loop: Header=BB2_59 Depth=2
	v_cmp_lt_i32_e32 vcc_lo, 0, v129
	v_sub_nc_u32_e32 v8, v128, v8
	s_mov_b32 s14, exec_lo
	v_cndmask_b32_e32 v9, 0, v71, vcc_lo
	s_delay_alu instid0(VALU_DEP_2) | instskip(NEXT) | instid1(VALU_DEP_2)
	v_cndmask_b32_e64 v8, 0, v8, s13
	v_sub_nc_u32_e32 v9, v9, v129
	s_delay_alu instid0(VALU_DEP_2) | instskip(NEXT) | instid1(VALU_DEP_2)
	v_add3_u32 v64, v2, v66, v8
	v_lshl_add_u32 v130, v9, 5, v67
	s_delay_alu instid0(VALU_DEP_1) | instskip(NEXT) | instid1(VALU_DEP_1)
	v_ashrrev_i32_e32 v9, 31, v130
	v_lshrrev_b32_e32 v9, 27, v9
	s_delay_alu instid0(VALU_DEP_1) | instskip(NEXT) | instid1(VALU_DEP_1)
	v_add_nc_u32_e32 v9, v130, v9
	v_ashrrev_i32_e32 v10, 5, v9
.LBB2_937:                              ;   in Loop: Header=BB2_59 Depth=2
	s_or_b32 exec_lo, exec_lo, s31
	s_delay_alu instid0(SALU_CYCLE_1)
	s_and_b32 s13, s14, exec_lo
.LBB2_938:                              ;   in Loop: Header=BB2_59 Depth=2
	s_or_b32 exec_lo, exec_lo, s30
.LBB2_939:                              ;   in Loop: Header=BB2_59 Depth=2
	s_and_saveexec_b32 s14, s13
	s_cbranch_execz .LBB2_1115
; %bb.940:                              ;   in Loop: Header=BB2_59 Depth=2
	s_delay_alu instid0(VALU_DEP_1) | instskip(SKIP_1) | instid1(VALU_DEP_1)
	v_ashrrev_i32_e32 v2, 31, v65
	s_mov_b32 s30, exec_lo
	v_lshrrev_b32_e32 v2, 24, v2
	s_delay_alu instid0(VALU_DEP_1) | instskip(NEXT) | instid1(VALU_DEP_1)
	v_add_nc_u32_e32 v2, v65, v2
	v_ashrrev_i32_e32 v66, 8, v2
	s_delay_alu instid0(VALU_DEP_1) | instskip(NEXT) | instid1(VALU_DEP_1)
	v_sub_nc_u32_e32 v2, v66, v10
	v_cmpx_lt_i32_e32 0, v2
	s_cbranch_execz .LBB2_1083
; %bb.941:                              ;   in Loop: Header=BB2_59 Depth=2
	s_cbranch_execz .LBB2_942
; %bb.8001:
	s_getpc_b64 s[48:49]
.Lpost_getpc33:
	s_add_u32 s48, s48, (.LBB2_7525-.Lpost_getpc33)&4294967295
	s_addc_u32 s49, s49, (.LBB2_7525-.Lpost_getpc33)>>32
	s_setpc_b64 s[48:49]
.LBB2_942:                              ;   in Loop: Header=BB2_59 Depth=2
	v_ashrrev_i32_e32 v8, 31, v130
	v_lshlrev_b32_e32 v10, 8, v10
	s_mov_b32 s31, 0
	s_delay_alu instid0(VALU_DEP_2) | instskip(NEXT) | instid1(VALU_DEP_1)
	v_lshrrev_b32_e32 v8, 27, v8
	v_add_nc_u32_e32 v11, v130, v8
	ds_load_b64 v[8:9], v0
	v_and_b32_e32 v11, 0xffffffe0, v11
	s_delay_alu instid0(VALU_DEP_1) | instskip(NEXT) | instid1(VALU_DEP_1)
	v_sub_nc_u32_e32 v11, v130, v11
	v_add3_u32 v67, v64, v11, v10
	s_delay_alu instid0(VALU_DEP_1)
	v_ashrrev_i32_e32 v128, 31, v67
	s_waitcnt lgkmcnt(0)
	v_dual_mov_b32 v11, v9 :: v_dual_mov_b32 v10, v8
.LBB2_943:                              ;   Parent Loop BB2_51 Depth=1
                                        ;     Parent Loop BB2_59 Depth=2
                                        ; =>    This Inner Loop Header: Depth=3
	s_cbranch_execz .LBB2_944
; %bb.8003:
	s_getpc_b64 s[48:49]
.Lpost_getpc34:
	s_add_u32 s48, s48, (.LBB2_7527-.Lpost_getpc34)&4294967295
	s_addc_u32 s49, s49, (.LBB2_7527-.Lpost_getpc34)>>32
	s_setpc_b64 s[48:49]
.LBB2_944:                              ;   in Loop: Header=BB2_943 Depth=3
	ds_load_b64 v[54:55], v0
	s_waitcnt lgkmcnt(0)
	v_and_b32_e32 v55, 0xff, v54
	v_readfirstlane_b32 s13, v54
	s_delay_alu instid0(VALU_DEP_2)
	v_cmp_gt_i16_e32 vcc_lo, 0x80, v55
	s_cbranch_vccnz .LBB2_948
; %bb.945:                              ;   in Loop: Header=BB2_943 Depth=3
	v_cmp_eq_u16_e32 vcc_lo, 0x80, v55
	s_mov_b32 s34, -1
                                        ; implicit-def: $sgpr35
	s_cbranch_vccz .LBB2_947
; %bb.946:                              ;   in Loop: Header=BB2_943 Depth=3
	s_mov_b32 s34, 0
	s_mov_b32 s35, 0x7f800001
.LBB2_947:                              ;   in Loop: Header=BB2_943 Depth=3
	s_mov_b32 vcc_lo, 0
	s_branch .LBB2_949
.LBB2_948:                              ;   in Loop: Header=BB2_943 Depth=3
	s_mov_b32 vcc_lo, -1
	s_mov_b32 s34, 0
                                        ; implicit-def: $sgpr35
.LBB2_949:                              ;   in Loop: Header=BB2_943 Depth=3
	s_and_b32 vcc_lo, exec_lo, vcc_lo
	s_cbranch_vccz .LBB2_951
; %bb.950:                              ;   in Loop: Header=BB2_943 Depth=3
	v_cmp_ne_u16_e64 s34, 0, v55
	s_mov_b32 s35, 0
.LBB2_951:                              ;   in Loop: Header=BB2_943 Depth=3
	s_delay_alu instid0(SALU_CYCLE_1) | instskip(NEXT) | instid1(VALU_DEP_2)
	v_mov_b32_e32 v129, s35
	s_and_not1_b32 vcc_lo, exec_lo, s34
	s_cbranch_vccnz .LBB2_953
; %bb.952:                              ;   in Loop: Header=BB2_943 Depth=3
	s_and_b32 vcc_lo, s13, 3
	s_bfe_u32 s35, s13, 0x50002
	s_clz_i32_u32 s34, vcc_lo
	v_lshlrev_b32_e32 v54, 24, v54
	s_min_u32 s34, s34, 32
	s_delay_alu instid0(SALU_CYCLE_1)
	s_sub_i32 s36, s34, 29
	s_sub_i32 s34, 30, s34
	s_lshl_b32 s13, s13, s36
	v_and_b32_e32 v54, 0x80000000, v54
	s_and_b32 s13, s13, 3
	s_cmp_eq_u32 s35, 0
	s_cselect_b32 s34, s34, s35
	s_cselect_b32 s13, s13, vcc_lo
	s_lshl_b32 vcc_lo, s34, 23
	s_lshl_b32 s13, s13, 21
	s_add_i32 vcc_lo, vcc_lo, 0x37800000
	s_delay_alu instid0(SALU_CYCLE_1) | instskip(NEXT) | instid1(VALU_DEP_1)
	v_or_b32_e32 v54, vcc_lo, v54
	v_or_b32_e32 v129, s13, v54
.LBB2_953:                              ;   in Loop: Header=BB2_943 Depth=3
	v_add_co_u32 v54, vcc_lo, v67, v10
	v_add_co_ci_u32_e32 v55, vcc_lo, v128, v11, vcc_lo
	s_mov_b32 s13, 0
	s_mov_b32 s35, exec_lo
                                        ; implicit-def: $sgpr34
	flat_load_u8 v131, v[54:55] slc dlc
	s_waitcnt vmcnt(0) lgkmcnt(0)
	v_cmpx_lt_i16_e64 0x7f, v131
	s_xor_b32 s35, exec_lo, s35
	s_cbranch_execnz .LBB2_1050
; %bb.954:                              ;   in Loop: Header=BB2_943 Depth=3
	s_or_saveexec_b32 s35, s35
	v_mov_b32_e32 v132, s34
	s_xor_b32 exec_lo, exec_lo, s35
	s_cbranch_execnz .LBB2_1053
.LBB2_955:                              ;   in Loop: Header=BB2_943 Depth=3
	s_or_b32 exec_lo, exec_lo, s35
	s_and_saveexec_b32 s34, s13
	s_cbranch_execz .LBB2_957
.LBB2_956:                              ;   in Loop: Header=BB2_943 Depth=3
	v_and_b32_e32 v132, 0xffff, v131
	v_lshlrev_b32_e32 v131, 24, v131
	s_delay_alu instid0(VALU_DEP_2) | instskip(NEXT) | instid1(VALU_DEP_2)
	v_and_b32_e32 v133, 3, v132
	v_and_b32_e32 v131, 0x80000000, v131
	s_delay_alu instid0(VALU_DEP_2) | instskip(NEXT) | instid1(VALU_DEP_1)
	v_clz_i32_u32_e32 v134, v133
	v_min_u32_e32 v134, 32, v134
	s_delay_alu instid0(VALU_DEP_1) | instskip(SKIP_1) | instid1(VALU_DEP_2)
	v_subrev_nc_u32_e32 v135, 29, v134
	v_sub_nc_u32_e32 v134, 30, v134
	v_lshlrev_b32_e32 v135, v135, v132
	v_bfe_u32 v132, v132, 2, 5
	s_delay_alu instid0(VALU_DEP_2) | instskip(NEXT) | instid1(VALU_DEP_2)
	v_and_b32_e32 v135, 3, v135
	v_cmp_eq_u32_e32 vcc_lo, 0, v132
	s_delay_alu instid0(VALU_DEP_2) | instskip(NEXT) | instid1(VALU_DEP_1)
	v_dual_cndmask_b32 v132, v132, v134 :: v_dual_cndmask_b32 v133, v133, v135
	v_lshl_add_u32 v132, v132, 23, 0x37800000
	s_delay_alu instid0(VALU_DEP_2) | instskip(NEXT) | instid1(VALU_DEP_1)
	v_lshlrev_b32_e32 v133, 21, v133
	v_or3_b32 v132, v131, v132, v133
.LBB2_957:                              ;   in Loop: Header=BB2_943 Depth=3
	s_or_b32 exec_lo, exec_lo, s34
	s_delay_alu instid0(VALU_DEP_1) | instskip(NEXT) | instid1(VALU_DEP_1)
	v_mul_f32_e32 v132, v129, v132
	v_and_b32_e32 v131, 0x7f800000, v132
	s_delay_alu instid0(VALU_DEP_1)
	v_cmp_ne_u32_e32 vcc_lo, 0x7f800000, v131
	v_mov_b32_e32 v131, 0x80
	s_and_saveexec_b32 s34, vcc_lo
	s_cbranch_execz .LBB2_965
; %bb.958:                              ;   in Loop: Header=BB2_943 Depth=3
	v_mov_b32_e32 v131, 0
	s_mov_b32 s35, exec_lo
	v_cmpx_ne_u32_e32 0, v132
	s_cbranch_execz .LBB2_964
; %bb.959:                              ;   in Loop: Header=BB2_943 Depth=3
	v_bfe_u32 v131, v132, 23, 8
	s_delay_alu instid0(VALU_DEP_1) | instskip(SKIP_1) | instid1(VALU_DEP_2)
	v_sub_nc_u32_e32 v134, 0x70, v131
	v_cmp_gt_u32_e32 vcc_lo, 0x71, v131
	v_dual_cndmask_b32 v134, 0, v134 :: v_dual_and_b32 v133, 0x7fffff, v132
	s_delay_alu instid0(VALU_DEP_1) | instskip(SKIP_2) | instid1(VALU_DEP_4)
	v_or_b32_e32 v135, 0x800000, v133
	v_cmp_eq_u32_e32 vcc_lo, 0, v131
	v_add_nc_u32_e32 v131, 0xffffff91, v131
	v_cndmask_b32_e64 v134, v134, 0x6f, vcc_lo
	s_delay_alu instid0(VALU_DEP_2) | instskip(SKIP_1) | instid1(VALU_DEP_3)
	v_cndmask_b32_e64 v131, v131, 0xffffff92, vcc_lo
	v_cndmask_b32_e32 v133, v135, v133, vcc_lo
	v_lshl_add_u32 v135, 0x200000, v134, -1
	v_lshlrev_b32_e64 v146, v134, 0x100000
	s_delay_alu instid0(VALU_DEP_3) | instskip(SKIP_1) | instid1(VALU_DEP_4)
	v_lshrrev_b32_e32 v144, v134, v133
	v_add_nc_u32_e32 v134, v134, v131
	v_and_b32_e32 v133, v135, v133
	s_delay_alu instid0(VALU_DEP_3) | instskip(NEXT) | instid1(VALU_DEP_2)
	v_bfe_u32 v145, v144, 21, 1
	v_cmp_eq_u32_e64 s13, v133, v146
	s_delay_alu instid0(VALU_DEP_2) | instskip(NEXT) | instid1(VALU_DEP_1)
	v_add_nc_u32_e32 v135, -1, v145
	v_cndmask_b32_e64 v133, 0, v135, s13
	v_lshrrev_b32_e32 v135, 23, v144
	s_mov_b32 s13, exec_lo
	s_delay_alu instid0(VALU_DEP_2) | instskip(NEXT) | instid1(VALU_DEP_2)
	v_add_nc_u32_e32 v133, v133, v144
	v_xor_b32_e32 v135, 1, v135
	s_delay_alu instid0(VALU_DEP_2) | instskip(NEXT) | instid1(VALU_DEP_1)
	v_and_b32_e32 v131, 0x1fffff, v133
	v_add_nc_u32_e32 v133, v131, v144
                                        ; implicit-def: $vgpr131
	s_delay_alu instid0(VALU_DEP_3)
	v_cmpx_ne_u32_e64 v134, v135
	s_xor_b32 s13, exec_lo, s13
; %bb.960:                              ;   in Loop: Header=BB2_943 Depth=3
	s_delay_alu instid0(VALU_DEP_2) | instskip(SKIP_2) | instid1(VALU_DEP_2)
	v_cmp_lt_u32_e32 vcc_lo, 0xffffff, v133
	v_sub_nc_u32_e32 v131, v134, v135
	v_cndmask_b32_e64 v134, 0, 1, vcc_lo
	v_add_co_ci_u32_e32 v131, vcc_lo, 0, v131, vcc_lo
	s_delay_alu instid0(VALU_DEP_2)
	v_lshrrev_b32_e32 v133, v134, v133
; %bb.961:                              ;   in Loop: Header=BB2_943 Depth=3
	s_and_not1_saveexec_b32 s13, s13
; %bb.962:                              ;   in Loop: Header=BB2_943 Depth=3
	s_delay_alu instid0(VALU_DEP_1)
	v_bfe_u32 v131, v133, 23, 1
; %bb.963:                              ;   in Loop: Header=BB2_943 Depth=3
	s_or_b32 exec_lo, exec_lo, s13
	v_lshrrev_b32_e32 v133, 21, v133
	s_delay_alu instid0(VALU_DEP_2) | instskip(SKIP_2) | instid1(VALU_DEP_2)
	v_cmp_gt_i32_e32 vcc_lo, 32, v131
	v_lshrrev_b32_e32 v132, 24, v132
	v_min_i32_e32 v134, 31, v131
	v_dual_cndmask_b32 v133, 3, v133 :: v_dual_and_b32 v132, 0x80, v132
	s_delay_alu instid0(VALU_DEP_1) | instskip(SKIP_1) | instid1(VALU_DEP_2)
	v_or_b32_e32 v131, v131, v133
	v_and_b32_e32 v135, 3, v133
	v_cmp_ne_u32_e32 vcc_lo, 0, v131
	v_lshlrev_b32_e32 v134, 2, v134
	s_delay_alu instid0(VALU_DEP_1) | instskip(NEXT) | instid1(VALU_DEP_1)
	v_or3_b32 v132, v134, v132, v135
	v_cndmask_b32_e32 v131, 0, v132, vcc_lo
.LBB2_964:                              ;   in Loop: Header=BB2_943 Depth=3
	s_or_b32 exec_lo, exec_lo, s35
.LBB2_965:                              ;   in Loop: Header=BB2_943 Depth=3
	s_delay_alu instid0(SALU_CYCLE_1)
	s_or_b32 exec_lo, exec_lo, s34
	flat_load_u8 v132, v[54:55] offset:32 slc dlc
	s_mov_b32 s13, 0
	s_mov_b32 s35, exec_lo
                                        ; implicit-def: $sgpr34
	s_waitcnt vmcnt(0) lgkmcnt(0)
	v_cmpx_lt_i16_e64 0x7f, v132
	s_xor_b32 s35, exec_lo, s35
	s_cbranch_execnz .LBB2_1054
; %bb.966:                              ;   in Loop: Header=BB2_943 Depth=3
	s_or_saveexec_b32 s35, s35
	v_mov_b32_e32 v133, s34
	s_xor_b32 exec_lo, exec_lo, s35
	s_cbranch_execnz .LBB2_1057
.LBB2_967:                              ;   in Loop: Header=BB2_943 Depth=3
	s_or_b32 exec_lo, exec_lo, s35
	s_and_saveexec_b32 s34, s13
	s_cbranch_execz .LBB2_969
.LBB2_968:                              ;   in Loop: Header=BB2_943 Depth=3
	v_and_b32_e32 v133, 0xffff, v132
	v_lshlrev_b32_e32 v132, 24, v132
	s_delay_alu instid0(VALU_DEP_2) | instskip(NEXT) | instid1(VALU_DEP_2)
	v_and_b32_e32 v134, 3, v133
	v_and_b32_e32 v132, 0x80000000, v132
	s_delay_alu instid0(VALU_DEP_2) | instskip(NEXT) | instid1(VALU_DEP_1)
	v_clz_i32_u32_e32 v135, v134
	v_min_u32_e32 v135, 32, v135
	s_delay_alu instid0(VALU_DEP_1) | instskip(SKIP_1) | instid1(VALU_DEP_2)
	v_subrev_nc_u32_e32 v144, 29, v135
	v_sub_nc_u32_e32 v135, 30, v135
	v_lshlrev_b32_e32 v144, v144, v133
	v_bfe_u32 v133, v133, 2, 5
	s_delay_alu instid0(VALU_DEP_2) | instskip(NEXT) | instid1(VALU_DEP_2)
	v_and_b32_e32 v144, 3, v144
	v_cmp_eq_u32_e32 vcc_lo, 0, v133
	s_delay_alu instid0(VALU_DEP_2) | instskip(NEXT) | instid1(VALU_DEP_1)
	v_dual_cndmask_b32 v133, v133, v135 :: v_dual_cndmask_b32 v134, v134, v144
	v_lshl_add_u32 v133, v133, 23, 0x37800000
	s_delay_alu instid0(VALU_DEP_2) | instskip(NEXT) | instid1(VALU_DEP_1)
	v_lshlrev_b32_e32 v134, 21, v134
	v_or3_b32 v133, v132, v133, v134
.LBB2_969:                              ;   in Loop: Header=BB2_943 Depth=3
	s_or_b32 exec_lo, exec_lo, s34
	s_delay_alu instid0(VALU_DEP_1) | instskip(NEXT) | instid1(VALU_DEP_1)
	v_mul_f32_e32 v133, v129, v133
	v_and_b32_e32 v132, 0x7f800000, v133
	s_delay_alu instid0(VALU_DEP_1)
	v_cmp_ne_u32_e32 vcc_lo, 0x7f800000, v132
	v_mov_b32_e32 v132, 0x80
	s_and_saveexec_b32 s34, vcc_lo
	s_cbranch_execz .LBB2_977
; %bb.970:                              ;   in Loop: Header=BB2_943 Depth=3
	v_mov_b32_e32 v132, 0
	s_mov_b32 s35, exec_lo
	v_cmpx_ne_u32_e32 0, v133
	s_cbranch_execz .LBB2_976
; %bb.971:                              ;   in Loop: Header=BB2_943 Depth=3
	v_bfe_u32 v132, v133, 23, 8
	s_delay_alu instid0(VALU_DEP_1) | instskip(SKIP_1) | instid1(VALU_DEP_2)
	v_sub_nc_u32_e32 v135, 0x70, v132
	v_cmp_gt_u32_e32 vcc_lo, 0x71, v132
	v_dual_cndmask_b32 v135, 0, v135 :: v_dual_and_b32 v134, 0x7fffff, v133
	s_delay_alu instid0(VALU_DEP_1) | instskip(SKIP_2) | instid1(VALU_DEP_4)
	v_or_b32_e32 v144, 0x800000, v134
	v_cmp_eq_u32_e32 vcc_lo, 0, v132
	v_add_nc_u32_e32 v132, 0xffffff91, v132
	v_cndmask_b32_e64 v135, v135, 0x6f, vcc_lo
	s_delay_alu instid0(VALU_DEP_2) | instskip(SKIP_1) | instid1(VALU_DEP_3)
	v_cndmask_b32_e64 v132, v132, 0xffffff92, vcc_lo
	v_cndmask_b32_e32 v134, v144, v134, vcc_lo
	v_lshl_add_u32 v144, 0x200000, v135, -1
	v_lshlrev_b32_e64 v147, v135, 0x100000
	s_delay_alu instid0(VALU_DEP_3) | instskip(SKIP_1) | instid1(VALU_DEP_4)
	v_lshrrev_b32_e32 v145, v135, v134
	v_add_nc_u32_e32 v135, v135, v132
	v_and_b32_e32 v134, v144, v134
	s_delay_alu instid0(VALU_DEP_3) | instskip(NEXT) | instid1(VALU_DEP_2)
	v_bfe_u32 v146, v145, 21, 1
	v_cmp_eq_u32_e64 s13, v134, v147
	s_delay_alu instid0(VALU_DEP_2) | instskip(NEXT) | instid1(VALU_DEP_1)
	v_add_nc_u32_e32 v144, -1, v146
	v_cndmask_b32_e64 v134, 0, v144, s13
	v_lshrrev_b32_e32 v144, 23, v145
	s_mov_b32 s13, exec_lo
	s_delay_alu instid0(VALU_DEP_2) | instskip(NEXT) | instid1(VALU_DEP_2)
	v_add_nc_u32_e32 v134, v134, v145
	v_xor_b32_e32 v144, 1, v144
	s_delay_alu instid0(VALU_DEP_2) | instskip(NEXT) | instid1(VALU_DEP_1)
	v_and_b32_e32 v132, 0x1fffff, v134
	v_add_nc_u32_e32 v134, v132, v145
                                        ; implicit-def: $vgpr132
	s_delay_alu instid0(VALU_DEP_3)
	v_cmpx_ne_u32_e64 v135, v144
	s_xor_b32 s13, exec_lo, s13
; %bb.972:                              ;   in Loop: Header=BB2_943 Depth=3
	s_delay_alu instid0(VALU_DEP_2) | instskip(SKIP_2) | instid1(VALU_DEP_2)
	v_cmp_lt_u32_e32 vcc_lo, 0xffffff, v134
	v_sub_nc_u32_e32 v132, v135, v144
	v_cndmask_b32_e64 v135, 0, 1, vcc_lo
	v_add_co_ci_u32_e32 v132, vcc_lo, 0, v132, vcc_lo
	s_delay_alu instid0(VALU_DEP_2)
	v_lshrrev_b32_e32 v134, v135, v134
; %bb.973:                              ;   in Loop: Header=BB2_943 Depth=3
	s_and_not1_saveexec_b32 s13, s13
; %bb.974:                              ;   in Loop: Header=BB2_943 Depth=3
	s_delay_alu instid0(VALU_DEP_1)
	v_bfe_u32 v132, v134, 23, 1
; %bb.975:                              ;   in Loop: Header=BB2_943 Depth=3
	s_or_b32 exec_lo, exec_lo, s13
	v_lshrrev_b32_e32 v134, 21, v134
	s_delay_alu instid0(VALU_DEP_2) | instskip(SKIP_2) | instid1(VALU_DEP_2)
	v_cmp_gt_i32_e32 vcc_lo, 32, v132
	v_lshrrev_b32_e32 v133, 24, v133
	v_min_i32_e32 v135, 31, v132
	v_dual_cndmask_b32 v134, 3, v134 :: v_dual_and_b32 v133, 0x80, v133
	s_delay_alu instid0(VALU_DEP_1) | instskip(SKIP_1) | instid1(VALU_DEP_2)
	v_or_b32_e32 v132, v132, v134
	v_and_b32_e32 v144, 3, v134
	v_cmp_ne_u32_e32 vcc_lo, 0, v132
	v_lshlrev_b32_e32 v135, 2, v135
	s_delay_alu instid0(VALU_DEP_1) | instskip(NEXT) | instid1(VALU_DEP_1)
	v_or3_b32 v133, v135, v133, v144
	v_cndmask_b32_e32 v132, 0, v133, vcc_lo
.LBB2_976:                              ;   in Loop: Header=BB2_943 Depth=3
	s_or_b32 exec_lo, exec_lo, s35
.LBB2_977:                              ;   in Loop: Header=BB2_943 Depth=3
	s_delay_alu instid0(SALU_CYCLE_1)
	s_or_b32 exec_lo, exec_lo, s34
	flat_load_u8 v133, v[54:55] offset:64 slc dlc
	s_mov_b32 s13, 0
	s_mov_b32 s35, exec_lo
                                        ; implicit-def: $sgpr34
	s_waitcnt vmcnt(0) lgkmcnt(0)
	v_cmpx_lt_i16_e64 0x7f, v133
	s_xor_b32 s35, exec_lo, s35
	s_cbranch_execnz .LBB2_1058
; %bb.978:                              ;   in Loop: Header=BB2_943 Depth=3
	s_or_saveexec_b32 s35, s35
	v_mov_b32_e32 v134, s34
	s_xor_b32 exec_lo, exec_lo, s35
	s_cbranch_execnz .LBB2_1061
.LBB2_979:                              ;   in Loop: Header=BB2_943 Depth=3
	s_or_b32 exec_lo, exec_lo, s35
	s_and_saveexec_b32 s34, s13
	s_cbranch_execz .LBB2_981
.LBB2_980:                              ;   in Loop: Header=BB2_943 Depth=3
	v_and_b32_e32 v134, 0xffff, v133
	v_lshlrev_b32_e32 v133, 24, v133
	s_delay_alu instid0(VALU_DEP_2) | instskip(NEXT) | instid1(VALU_DEP_2)
	v_and_b32_e32 v135, 3, v134
	v_and_b32_e32 v133, 0x80000000, v133
	s_delay_alu instid0(VALU_DEP_2) | instskip(NEXT) | instid1(VALU_DEP_1)
	v_clz_i32_u32_e32 v144, v135
	v_min_u32_e32 v144, 32, v144
	s_delay_alu instid0(VALU_DEP_1) | instskip(SKIP_1) | instid1(VALU_DEP_2)
	v_subrev_nc_u32_e32 v145, 29, v144
	v_sub_nc_u32_e32 v144, 30, v144
	v_lshlrev_b32_e32 v145, v145, v134
	v_bfe_u32 v134, v134, 2, 5
	s_delay_alu instid0(VALU_DEP_2) | instskip(NEXT) | instid1(VALU_DEP_2)
	v_and_b32_e32 v145, 3, v145
	v_cmp_eq_u32_e32 vcc_lo, 0, v134
	s_delay_alu instid0(VALU_DEP_2) | instskip(NEXT) | instid1(VALU_DEP_1)
	v_dual_cndmask_b32 v134, v134, v144 :: v_dual_cndmask_b32 v135, v135, v145
	v_lshl_add_u32 v134, v134, 23, 0x37800000
	s_delay_alu instid0(VALU_DEP_2) | instskip(NEXT) | instid1(VALU_DEP_1)
	v_lshlrev_b32_e32 v135, 21, v135
	v_or3_b32 v134, v133, v134, v135
.LBB2_981:                              ;   in Loop: Header=BB2_943 Depth=3
	s_or_b32 exec_lo, exec_lo, s34
	s_delay_alu instid0(VALU_DEP_1) | instskip(NEXT) | instid1(VALU_DEP_1)
	v_mul_f32_e32 v134, v129, v134
	v_and_b32_e32 v133, 0x7f800000, v134
	s_delay_alu instid0(VALU_DEP_1)
	v_cmp_ne_u32_e32 vcc_lo, 0x7f800000, v133
	v_mov_b32_e32 v133, 0x80
	s_and_saveexec_b32 s34, vcc_lo
	s_cbranch_execz .LBB2_989
; %bb.982:                              ;   in Loop: Header=BB2_943 Depth=3
	v_mov_b32_e32 v133, 0
	s_mov_b32 s35, exec_lo
	v_cmpx_ne_u32_e32 0, v134
	s_cbranch_execz .LBB2_988
; %bb.983:                              ;   in Loop: Header=BB2_943 Depth=3
	v_bfe_u32 v133, v134, 23, 8
	s_delay_alu instid0(VALU_DEP_1) | instskip(SKIP_1) | instid1(VALU_DEP_2)
	v_sub_nc_u32_e32 v144, 0x70, v133
	v_cmp_gt_u32_e32 vcc_lo, 0x71, v133
	v_dual_cndmask_b32 v144, 0, v144 :: v_dual_and_b32 v135, 0x7fffff, v134
	s_delay_alu instid0(VALU_DEP_1) | instskip(SKIP_2) | instid1(VALU_DEP_4)
	v_or_b32_e32 v145, 0x800000, v135
	v_cmp_eq_u32_e32 vcc_lo, 0, v133
	v_add_nc_u32_e32 v133, 0xffffff91, v133
	v_cndmask_b32_e64 v144, v144, 0x6f, vcc_lo
	s_delay_alu instid0(VALU_DEP_2) | instskip(SKIP_1) | instid1(VALU_DEP_3)
	v_cndmask_b32_e64 v133, v133, 0xffffff92, vcc_lo
	v_cndmask_b32_e32 v135, v145, v135, vcc_lo
	v_lshl_add_u32 v145, 0x200000, v144, -1
	v_lshlrev_b32_e64 v148, v144, 0x100000
	s_delay_alu instid0(VALU_DEP_3) | instskip(SKIP_1) | instid1(VALU_DEP_4)
	v_lshrrev_b32_e32 v146, v144, v135
	v_add_nc_u32_e32 v144, v144, v133
	v_and_b32_e32 v135, v145, v135
	s_delay_alu instid0(VALU_DEP_3) | instskip(NEXT) | instid1(VALU_DEP_2)
	v_bfe_u32 v147, v146, 21, 1
	v_cmp_eq_u32_e64 s13, v135, v148
	s_delay_alu instid0(VALU_DEP_2) | instskip(NEXT) | instid1(VALU_DEP_1)
	v_add_nc_u32_e32 v145, -1, v147
	v_cndmask_b32_e64 v135, 0, v145, s13
	v_lshrrev_b32_e32 v145, 23, v146
	s_mov_b32 s13, exec_lo
	s_delay_alu instid0(VALU_DEP_2) | instskip(NEXT) | instid1(VALU_DEP_2)
	v_add_nc_u32_e32 v135, v135, v146
	v_xor_b32_e32 v145, 1, v145
	s_delay_alu instid0(VALU_DEP_2) | instskip(NEXT) | instid1(VALU_DEP_1)
	v_and_b32_e32 v133, 0x1fffff, v135
	v_add_nc_u32_e32 v135, v133, v146
                                        ; implicit-def: $vgpr133
	s_delay_alu instid0(VALU_DEP_3)
	v_cmpx_ne_u32_e64 v144, v145
	s_xor_b32 s13, exec_lo, s13
; %bb.984:                              ;   in Loop: Header=BB2_943 Depth=3
	s_delay_alu instid0(VALU_DEP_2) | instskip(SKIP_2) | instid1(VALU_DEP_2)
	v_cmp_lt_u32_e32 vcc_lo, 0xffffff, v135
	v_sub_nc_u32_e32 v133, v144, v145
	v_cndmask_b32_e64 v144, 0, 1, vcc_lo
	v_add_co_ci_u32_e32 v133, vcc_lo, 0, v133, vcc_lo
	s_delay_alu instid0(VALU_DEP_2)
	v_lshrrev_b32_e32 v135, v144, v135
; %bb.985:                              ;   in Loop: Header=BB2_943 Depth=3
	s_and_not1_saveexec_b32 s13, s13
; %bb.986:                              ;   in Loop: Header=BB2_943 Depth=3
	s_delay_alu instid0(VALU_DEP_1)
	v_bfe_u32 v133, v135, 23, 1
; %bb.987:                              ;   in Loop: Header=BB2_943 Depth=3
	s_or_b32 exec_lo, exec_lo, s13
	v_lshrrev_b32_e32 v135, 21, v135
	s_delay_alu instid0(VALU_DEP_2) | instskip(SKIP_2) | instid1(VALU_DEP_2)
	v_cmp_gt_i32_e32 vcc_lo, 32, v133
	v_lshrrev_b32_e32 v134, 24, v134
	v_min_i32_e32 v144, 31, v133
	v_dual_cndmask_b32 v135, 3, v135 :: v_dual_and_b32 v134, 0x80, v134
	s_delay_alu instid0(VALU_DEP_1) | instskip(SKIP_1) | instid1(VALU_DEP_2)
	v_or_b32_e32 v133, v133, v135
	v_and_b32_e32 v145, 3, v135
	v_cmp_ne_u32_e32 vcc_lo, 0, v133
	v_lshlrev_b32_e32 v144, 2, v144
	s_delay_alu instid0(VALU_DEP_1) | instskip(NEXT) | instid1(VALU_DEP_1)
	v_or3_b32 v134, v144, v134, v145
	v_cndmask_b32_e32 v133, 0, v134, vcc_lo
.LBB2_988:                              ;   in Loop: Header=BB2_943 Depth=3
	s_or_b32 exec_lo, exec_lo, s35
.LBB2_989:                              ;   in Loop: Header=BB2_943 Depth=3
	s_delay_alu instid0(SALU_CYCLE_1)
	s_or_b32 exec_lo, exec_lo, s34
	flat_load_u8 v134, v[54:55] offset:96 slc dlc
	s_mov_b32 s13, 0
	s_mov_b32 s35, exec_lo
                                        ; implicit-def: $sgpr34
	s_waitcnt vmcnt(0) lgkmcnt(0)
	v_cmpx_lt_i16_e64 0x7f, v134
	s_xor_b32 s35, exec_lo, s35
	s_cbranch_execnz .LBB2_1062
; %bb.990:                              ;   in Loop: Header=BB2_943 Depth=3
	s_or_saveexec_b32 s35, s35
	v_mov_b32_e32 v135, s34
	s_xor_b32 exec_lo, exec_lo, s35
	s_cbranch_execnz .LBB2_1065
.LBB2_991:                              ;   in Loop: Header=BB2_943 Depth=3
	s_or_b32 exec_lo, exec_lo, s35
	s_and_saveexec_b32 s34, s13
	s_cbranch_execz .LBB2_993
.LBB2_992:                              ;   in Loop: Header=BB2_943 Depth=3
	v_and_b32_e32 v135, 0xffff, v134
	v_lshlrev_b32_e32 v134, 24, v134
	s_delay_alu instid0(VALU_DEP_2) | instskip(NEXT) | instid1(VALU_DEP_2)
	v_and_b32_e32 v144, 3, v135
	v_and_b32_e32 v134, 0x80000000, v134
	s_delay_alu instid0(VALU_DEP_2) | instskip(NEXT) | instid1(VALU_DEP_1)
	v_clz_i32_u32_e32 v145, v144
	v_min_u32_e32 v145, 32, v145
	s_delay_alu instid0(VALU_DEP_1) | instskip(SKIP_1) | instid1(VALU_DEP_2)
	v_subrev_nc_u32_e32 v146, 29, v145
	v_sub_nc_u32_e32 v145, 30, v145
	v_lshlrev_b32_e32 v146, v146, v135
	v_bfe_u32 v135, v135, 2, 5
	s_delay_alu instid0(VALU_DEP_2) | instskip(NEXT) | instid1(VALU_DEP_2)
	v_and_b32_e32 v146, 3, v146
	v_cmp_eq_u32_e32 vcc_lo, 0, v135
	s_delay_alu instid0(VALU_DEP_2) | instskip(NEXT) | instid1(VALU_DEP_1)
	v_dual_cndmask_b32 v135, v135, v145 :: v_dual_cndmask_b32 v144, v144, v146
	v_lshl_add_u32 v135, v135, 23, 0x37800000
	s_delay_alu instid0(VALU_DEP_2) | instskip(NEXT) | instid1(VALU_DEP_1)
	v_lshlrev_b32_e32 v144, 21, v144
	v_or3_b32 v135, v134, v135, v144
.LBB2_993:                              ;   in Loop: Header=BB2_943 Depth=3
	s_or_b32 exec_lo, exec_lo, s34
	s_delay_alu instid0(VALU_DEP_1) | instskip(NEXT) | instid1(VALU_DEP_1)
	v_mul_f32_e32 v135, v129, v135
	v_and_b32_e32 v134, 0x7f800000, v135
	s_delay_alu instid0(VALU_DEP_1)
	v_cmp_ne_u32_e32 vcc_lo, 0x7f800000, v134
	v_mov_b32_e32 v134, 0x80
	s_and_saveexec_b32 s34, vcc_lo
	s_cbranch_execz .LBB2_1001
; %bb.994:                              ;   in Loop: Header=BB2_943 Depth=3
	v_mov_b32_e32 v134, 0
	s_mov_b32 s35, exec_lo
	v_cmpx_ne_u32_e32 0, v135
	s_cbranch_execz .LBB2_1000
; %bb.995:                              ;   in Loop: Header=BB2_943 Depth=3
	v_bfe_u32 v134, v135, 23, 8
	s_delay_alu instid0(VALU_DEP_1) | instskip(SKIP_1) | instid1(VALU_DEP_2)
	v_sub_nc_u32_e32 v145, 0x70, v134
	v_cmp_gt_u32_e32 vcc_lo, 0x71, v134
	v_dual_cndmask_b32 v145, 0, v145 :: v_dual_and_b32 v144, 0x7fffff, v135
	s_delay_alu instid0(VALU_DEP_1) | instskip(SKIP_2) | instid1(VALU_DEP_4)
	v_or_b32_e32 v146, 0x800000, v144
	v_cmp_eq_u32_e32 vcc_lo, 0, v134
	v_add_nc_u32_e32 v134, 0xffffff91, v134
	v_cndmask_b32_e64 v145, v145, 0x6f, vcc_lo
	s_delay_alu instid0(VALU_DEP_2) | instskip(SKIP_1) | instid1(VALU_DEP_3)
	v_cndmask_b32_e64 v134, v134, 0xffffff92, vcc_lo
	v_cndmask_b32_e32 v144, v146, v144, vcc_lo
	v_lshl_add_u32 v146, 0x200000, v145, -1
	v_lshlrev_b32_e64 v149, v145, 0x100000
	s_delay_alu instid0(VALU_DEP_3) | instskip(SKIP_1) | instid1(VALU_DEP_4)
	v_lshrrev_b32_e32 v147, v145, v144
	v_add_nc_u32_e32 v145, v145, v134
	v_and_b32_e32 v144, v146, v144
	s_delay_alu instid0(VALU_DEP_3) | instskip(NEXT) | instid1(VALU_DEP_2)
	v_bfe_u32 v148, v147, 21, 1
	v_cmp_eq_u32_e64 s13, v144, v149
	s_delay_alu instid0(VALU_DEP_2) | instskip(NEXT) | instid1(VALU_DEP_1)
	v_add_nc_u32_e32 v146, -1, v148
	v_cndmask_b32_e64 v144, 0, v146, s13
	v_lshrrev_b32_e32 v146, 23, v147
	s_mov_b32 s13, exec_lo
	s_delay_alu instid0(VALU_DEP_2) | instskip(NEXT) | instid1(VALU_DEP_2)
	v_add_nc_u32_e32 v144, v144, v147
	v_xor_b32_e32 v146, 1, v146
	s_delay_alu instid0(VALU_DEP_2) | instskip(NEXT) | instid1(VALU_DEP_1)
	v_and_b32_e32 v134, 0x1fffff, v144
	v_add_nc_u32_e32 v144, v134, v147
                                        ; implicit-def: $vgpr134
	s_delay_alu instid0(VALU_DEP_3)
	v_cmpx_ne_u32_e64 v145, v146
	s_xor_b32 s13, exec_lo, s13
; %bb.996:                              ;   in Loop: Header=BB2_943 Depth=3
	s_delay_alu instid0(VALU_DEP_2) | instskip(SKIP_2) | instid1(VALU_DEP_2)
	v_cmp_lt_u32_e32 vcc_lo, 0xffffff, v144
	v_sub_nc_u32_e32 v134, v145, v146
	v_cndmask_b32_e64 v145, 0, 1, vcc_lo
	v_add_co_ci_u32_e32 v134, vcc_lo, 0, v134, vcc_lo
	s_delay_alu instid0(VALU_DEP_2)
	v_lshrrev_b32_e32 v144, v145, v144
; %bb.997:                              ;   in Loop: Header=BB2_943 Depth=3
	s_and_not1_saveexec_b32 s13, s13
; %bb.998:                              ;   in Loop: Header=BB2_943 Depth=3
	s_delay_alu instid0(VALU_DEP_1)
	v_bfe_u32 v134, v144, 23, 1
; %bb.999:                              ;   in Loop: Header=BB2_943 Depth=3
	s_or_b32 exec_lo, exec_lo, s13
	v_lshrrev_b32_e32 v144, 21, v144
	s_delay_alu instid0(VALU_DEP_2) | instskip(SKIP_2) | instid1(VALU_DEP_2)
	v_cmp_gt_i32_e32 vcc_lo, 32, v134
	v_lshrrev_b32_e32 v135, 24, v135
	v_min_i32_e32 v145, 31, v134
	v_dual_cndmask_b32 v144, 3, v144 :: v_dual_and_b32 v135, 0x80, v135
	s_delay_alu instid0(VALU_DEP_1) | instskip(SKIP_1) | instid1(VALU_DEP_2)
	v_or_b32_e32 v134, v134, v144
	v_and_b32_e32 v146, 3, v144
	v_cmp_ne_u32_e32 vcc_lo, 0, v134
	v_lshlrev_b32_e32 v145, 2, v145
	s_delay_alu instid0(VALU_DEP_1) | instskip(NEXT) | instid1(VALU_DEP_1)
	v_or3_b32 v135, v145, v135, v146
	v_cndmask_b32_e32 v134, 0, v135, vcc_lo
.LBB2_1000:                             ;   in Loop: Header=BB2_943 Depth=3
	s_or_b32 exec_lo, exec_lo, s35
.LBB2_1001:                             ;   in Loop: Header=BB2_943 Depth=3
	s_delay_alu instid0(SALU_CYCLE_1)
	s_or_b32 exec_lo, exec_lo, s34
	flat_load_u8 v135, v[54:55] offset:128 slc dlc
	s_mov_b32 s13, 0
	s_mov_b32 s35, exec_lo
                                        ; implicit-def: $sgpr34
	s_waitcnt vmcnt(0) lgkmcnt(0)
	v_cmpx_lt_i16_e64 0x7f, v135
	s_xor_b32 s35, exec_lo, s35
	s_cbranch_execnz .LBB2_1066
; %bb.1002:                             ;   in Loop: Header=BB2_943 Depth=3
	s_or_saveexec_b32 s35, s35
	v_mov_b32_e32 v144, s34
	s_xor_b32 exec_lo, exec_lo, s35
	s_cbranch_execnz .LBB2_1069
.LBB2_1003:                             ;   in Loop: Header=BB2_943 Depth=3
	s_or_b32 exec_lo, exec_lo, s35
	s_and_saveexec_b32 s34, s13
	s_cbranch_execz .LBB2_1005
.LBB2_1004:                             ;   in Loop: Header=BB2_943 Depth=3
	v_and_b32_e32 v144, 0xffff, v135
	v_lshlrev_b32_e32 v135, 24, v135
	s_delay_alu instid0(VALU_DEP_2) | instskip(NEXT) | instid1(VALU_DEP_2)
	v_and_b32_e32 v145, 3, v144
	v_and_b32_e32 v135, 0x80000000, v135
	s_delay_alu instid0(VALU_DEP_2) | instskip(NEXT) | instid1(VALU_DEP_1)
	v_clz_i32_u32_e32 v146, v145
	v_min_u32_e32 v146, 32, v146
	s_delay_alu instid0(VALU_DEP_1) | instskip(SKIP_1) | instid1(VALU_DEP_2)
	v_subrev_nc_u32_e32 v147, 29, v146
	v_sub_nc_u32_e32 v146, 30, v146
	v_lshlrev_b32_e32 v147, v147, v144
	v_bfe_u32 v144, v144, 2, 5
	s_delay_alu instid0(VALU_DEP_2) | instskip(NEXT) | instid1(VALU_DEP_2)
	v_and_b32_e32 v147, 3, v147
	v_cmp_eq_u32_e32 vcc_lo, 0, v144
	s_delay_alu instid0(VALU_DEP_2) | instskip(NEXT) | instid1(VALU_DEP_1)
	v_dual_cndmask_b32 v144, v144, v146 :: v_dual_cndmask_b32 v145, v145, v147
	v_lshl_add_u32 v144, v144, 23, 0x37800000
	s_delay_alu instid0(VALU_DEP_2) | instskip(NEXT) | instid1(VALU_DEP_1)
	v_lshlrev_b32_e32 v145, 21, v145
	v_or3_b32 v144, v135, v144, v145
.LBB2_1005:                             ;   in Loop: Header=BB2_943 Depth=3
	s_or_b32 exec_lo, exec_lo, s34
	s_delay_alu instid0(VALU_DEP_1) | instskip(NEXT) | instid1(VALU_DEP_1)
	v_mul_f32_e32 v144, v129, v144
	v_and_b32_e32 v135, 0x7f800000, v144
	s_delay_alu instid0(VALU_DEP_1)
	v_cmp_ne_u32_e32 vcc_lo, 0x7f800000, v135
	v_mov_b32_e32 v135, 0x80
	s_and_saveexec_b32 s34, vcc_lo
	s_cbranch_execz .LBB2_1013
; %bb.1006:                             ;   in Loop: Header=BB2_943 Depth=3
	v_mov_b32_e32 v135, 0
	s_mov_b32 s35, exec_lo
	v_cmpx_ne_u32_e32 0, v144
	s_cbranch_execz .LBB2_1012
; %bb.1007:                             ;   in Loop: Header=BB2_943 Depth=3
	v_bfe_u32 v135, v144, 23, 8
	s_delay_alu instid0(VALU_DEP_1) | instskip(SKIP_1) | instid1(VALU_DEP_2)
	v_sub_nc_u32_e32 v146, 0x70, v135
	v_cmp_gt_u32_e32 vcc_lo, 0x71, v135
	v_dual_cndmask_b32 v146, 0, v146 :: v_dual_and_b32 v145, 0x7fffff, v144
	s_delay_alu instid0(VALU_DEP_1) | instskip(SKIP_2) | instid1(VALU_DEP_4)
	v_or_b32_e32 v147, 0x800000, v145
	v_cmp_eq_u32_e32 vcc_lo, 0, v135
	v_add_nc_u32_e32 v135, 0xffffff91, v135
	v_cndmask_b32_e64 v146, v146, 0x6f, vcc_lo
	s_delay_alu instid0(VALU_DEP_2) | instskip(SKIP_1) | instid1(VALU_DEP_3)
	v_cndmask_b32_e64 v135, v135, 0xffffff92, vcc_lo
	v_cndmask_b32_e32 v145, v147, v145, vcc_lo
	v_lshl_add_u32 v147, 0x200000, v146, -1
	v_lshlrev_b32_e64 v150, v146, 0x100000
	s_delay_alu instid0(VALU_DEP_3) | instskip(SKIP_1) | instid1(VALU_DEP_4)
	v_lshrrev_b32_e32 v148, v146, v145
	v_add_nc_u32_e32 v146, v146, v135
	v_and_b32_e32 v145, v147, v145
	s_delay_alu instid0(VALU_DEP_3) | instskip(NEXT) | instid1(VALU_DEP_2)
	v_bfe_u32 v149, v148, 21, 1
	v_cmp_eq_u32_e64 s13, v145, v150
	s_delay_alu instid0(VALU_DEP_2) | instskip(NEXT) | instid1(VALU_DEP_1)
	v_add_nc_u32_e32 v147, -1, v149
	v_cndmask_b32_e64 v145, 0, v147, s13
	v_lshrrev_b32_e32 v147, 23, v148
	s_mov_b32 s13, exec_lo
	s_delay_alu instid0(VALU_DEP_2) | instskip(NEXT) | instid1(VALU_DEP_2)
	v_add_nc_u32_e32 v145, v145, v148
	v_xor_b32_e32 v147, 1, v147
	s_delay_alu instid0(VALU_DEP_2) | instskip(NEXT) | instid1(VALU_DEP_1)
	v_and_b32_e32 v135, 0x1fffff, v145
	v_add_nc_u32_e32 v145, v135, v148
                                        ; implicit-def: $vgpr135
	s_delay_alu instid0(VALU_DEP_3)
	v_cmpx_ne_u32_e64 v146, v147
	s_xor_b32 s13, exec_lo, s13
; %bb.1008:                             ;   in Loop: Header=BB2_943 Depth=3
	s_delay_alu instid0(VALU_DEP_2) | instskip(SKIP_2) | instid1(VALU_DEP_2)
	v_cmp_lt_u32_e32 vcc_lo, 0xffffff, v145
	v_sub_nc_u32_e32 v135, v146, v147
	v_cndmask_b32_e64 v146, 0, 1, vcc_lo
	v_add_co_ci_u32_e32 v135, vcc_lo, 0, v135, vcc_lo
	s_delay_alu instid0(VALU_DEP_2)
	v_lshrrev_b32_e32 v145, v146, v145
; %bb.1009:                             ;   in Loop: Header=BB2_943 Depth=3
	s_and_not1_saveexec_b32 s13, s13
; %bb.1010:                             ;   in Loop: Header=BB2_943 Depth=3
	s_delay_alu instid0(VALU_DEP_1)
	v_bfe_u32 v135, v145, 23, 1
; %bb.1011:                             ;   in Loop: Header=BB2_943 Depth=3
	s_or_b32 exec_lo, exec_lo, s13
	v_lshrrev_b32_e32 v145, 21, v145
	s_delay_alu instid0(VALU_DEP_2) | instskip(SKIP_2) | instid1(VALU_DEP_2)
	v_cmp_gt_i32_e32 vcc_lo, 32, v135
	v_lshrrev_b32_e32 v144, 24, v144
	v_min_i32_e32 v146, 31, v135
	v_dual_cndmask_b32 v145, 3, v145 :: v_dual_and_b32 v144, 0x80, v144
	s_delay_alu instid0(VALU_DEP_1) | instskip(SKIP_1) | instid1(VALU_DEP_2)
	v_or_b32_e32 v135, v135, v145
	v_and_b32_e32 v147, 3, v145
	v_cmp_ne_u32_e32 vcc_lo, 0, v135
	v_lshlrev_b32_e32 v146, 2, v146
	s_delay_alu instid0(VALU_DEP_1) | instskip(NEXT) | instid1(VALU_DEP_1)
	v_or3_b32 v144, v146, v144, v147
	v_cndmask_b32_e32 v135, 0, v144, vcc_lo
.LBB2_1012:                             ;   in Loop: Header=BB2_943 Depth=3
	s_or_b32 exec_lo, exec_lo, s35
.LBB2_1013:                             ;   in Loop: Header=BB2_943 Depth=3
	s_delay_alu instid0(SALU_CYCLE_1)
	s_or_b32 exec_lo, exec_lo, s34
	flat_load_u8 v144, v[54:55] offset:160 slc dlc
	s_mov_b32 s13, 0
	s_mov_b32 s35, exec_lo
                                        ; implicit-def: $sgpr34
	s_waitcnt vmcnt(0) lgkmcnt(0)
	v_cmpx_lt_i16_e64 0x7f, v144
	s_xor_b32 s35, exec_lo, s35
	s_cbranch_execnz .LBB2_1070
; %bb.1014:                             ;   in Loop: Header=BB2_943 Depth=3
	s_or_saveexec_b32 s35, s35
	v_mov_b32_e32 v145, s34
	s_xor_b32 exec_lo, exec_lo, s35
	s_cbranch_execnz .LBB2_1073
.LBB2_1015:                             ;   in Loop: Header=BB2_943 Depth=3
	s_or_b32 exec_lo, exec_lo, s35
	s_and_saveexec_b32 s34, s13
	s_cbranch_execz .LBB2_1017
.LBB2_1016:                             ;   in Loop: Header=BB2_943 Depth=3
	v_and_b32_e32 v145, 0xffff, v144
	v_lshlrev_b32_e32 v144, 24, v144
	s_delay_alu instid0(VALU_DEP_2) | instskip(NEXT) | instid1(VALU_DEP_2)
	v_and_b32_e32 v146, 3, v145
	v_and_b32_e32 v144, 0x80000000, v144
	s_delay_alu instid0(VALU_DEP_2) | instskip(NEXT) | instid1(VALU_DEP_1)
	v_clz_i32_u32_e32 v147, v146
	v_min_u32_e32 v147, 32, v147
	s_delay_alu instid0(VALU_DEP_1) | instskip(SKIP_1) | instid1(VALU_DEP_2)
	v_subrev_nc_u32_e32 v148, 29, v147
	v_sub_nc_u32_e32 v147, 30, v147
	v_lshlrev_b32_e32 v148, v148, v145
	v_bfe_u32 v145, v145, 2, 5
	s_delay_alu instid0(VALU_DEP_2) | instskip(NEXT) | instid1(VALU_DEP_2)
	v_and_b32_e32 v148, 3, v148
	v_cmp_eq_u32_e32 vcc_lo, 0, v145
	s_delay_alu instid0(VALU_DEP_2) | instskip(NEXT) | instid1(VALU_DEP_1)
	v_dual_cndmask_b32 v145, v145, v147 :: v_dual_cndmask_b32 v146, v146, v148
	v_lshl_add_u32 v145, v145, 23, 0x37800000
	s_delay_alu instid0(VALU_DEP_2) | instskip(NEXT) | instid1(VALU_DEP_1)
	v_lshlrev_b32_e32 v146, 21, v146
	v_or3_b32 v145, v144, v145, v146
.LBB2_1017:                             ;   in Loop: Header=BB2_943 Depth=3
	s_or_b32 exec_lo, exec_lo, s34
	s_delay_alu instid0(VALU_DEP_1) | instskip(NEXT) | instid1(VALU_DEP_1)
	v_mul_f32_e32 v145, v129, v145
	v_and_b32_e32 v144, 0x7f800000, v145
	s_delay_alu instid0(VALU_DEP_1)
	v_cmp_ne_u32_e32 vcc_lo, 0x7f800000, v144
	v_mov_b32_e32 v144, 0x80
	s_and_saveexec_b32 s34, vcc_lo
	s_cbranch_execz .LBB2_1025
; %bb.1018:                             ;   in Loop: Header=BB2_943 Depth=3
	v_mov_b32_e32 v144, 0
	s_mov_b32 s35, exec_lo
	v_cmpx_ne_u32_e32 0, v145
	s_cbranch_execz .LBB2_1024
; %bb.1019:                             ;   in Loop: Header=BB2_943 Depth=3
	v_bfe_u32 v144, v145, 23, 8
	s_delay_alu instid0(VALU_DEP_1) | instskip(SKIP_1) | instid1(VALU_DEP_2)
	v_sub_nc_u32_e32 v147, 0x70, v144
	v_cmp_gt_u32_e32 vcc_lo, 0x71, v144
	v_dual_cndmask_b32 v147, 0, v147 :: v_dual_and_b32 v146, 0x7fffff, v145
	s_delay_alu instid0(VALU_DEP_1) | instskip(SKIP_2) | instid1(VALU_DEP_4)
	v_or_b32_e32 v148, 0x800000, v146
	v_cmp_eq_u32_e32 vcc_lo, 0, v144
	v_add_nc_u32_e32 v144, 0xffffff91, v144
	v_cndmask_b32_e64 v147, v147, 0x6f, vcc_lo
	s_delay_alu instid0(VALU_DEP_2) | instskip(SKIP_1) | instid1(VALU_DEP_3)
	v_cndmask_b32_e64 v144, v144, 0xffffff92, vcc_lo
	v_cndmask_b32_e32 v146, v148, v146, vcc_lo
	v_lshl_add_u32 v148, 0x200000, v147, -1
	v_lshlrev_b32_e64 v151, v147, 0x100000
	s_delay_alu instid0(VALU_DEP_3) | instskip(SKIP_1) | instid1(VALU_DEP_4)
	v_lshrrev_b32_e32 v149, v147, v146
	v_add_nc_u32_e32 v147, v147, v144
	v_and_b32_e32 v146, v148, v146
	s_delay_alu instid0(VALU_DEP_3) | instskip(NEXT) | instid1(VALU_DEP_2)
	v_bfe_u32 v150, v149, 21, 1
	v_cmp_eq_u32_e64 s13, v146, v151
	s_delay_alu instid0(VALU_DEP_2) | instskip(NEXT) | instid1(VALU_DEP_1)
	v_add_nc_u32_e32 v148, -1, v150
	v_cndmask_b32_e64 v146, 0, v148, s13
	v_lshrrev_b32_e32 v148, 23, v149
	s_mov_b32 s13, exec_lo
	s_delay_alu instid0(VALU_DEP_2) | instskip(NEXT) | instid1(VALU_DEP_2)
	v_add_nc_u32_e32 v146, v146, v149
	v_xor_b32_e32 v148, 1, v148
	s_delay_alu instid0(VALU_DEP_2) | instskip(NEXT) | instid1(VALU_DEP_1)
	v_and_b32_e32 v144, 0x1fffff, v146
	v_add_nc_u32_e32 v146, v144, v149
                                        ; implicit-def: $vgpr144
	s_delay_alu instid0(VALU_DEP_3)
	v_cmpx_ne_u32_e64 v147, v148
	s_xor_b32 s13, exec_lo, s13
; %bb.1020:                             ;   in Loop: Header=BB2_943 Depth=3
	s_delay_alu instid0(VALU_DEP_2) | instskip(SKIP_2) | instid1(VALU_DEP_2)
	v_cmp_lt_u32_e32 vcc_lo, 0xffffff, v146
	v_sub_nc_u32_e32 v144, v147, v148
	v_cndmask_b32_e64 v147, 0, 1, vcc_lo
	v_add_co_ci_u32_e32 v144, vcc_lo, 0, v144, vcc_lo
	s_delay_alu instid0(VALU_DEP_2)
	v_lshrrev_b32_e32 v146, v147, v146
; %bb.1021:                             ;   in Loop: Header=BB2_943 Depth=3
	s_and_not1_saveexec_b32 s13, s13
; %bb.1022:                             ;   in Loop: Header=BB2_943 Depth=3
	s_delay_alu instid0(VALU_DEP_1)
	v_bfe_u32 v144, v146, 23, 1
; %bb.1023:                             ;   in Loop: Header=BB2_943 Depth=3
	s_or_b32 exec_lo, exec_lo, s13
	v_lshrrev_b32_e32 v146, 21, v146
	s_delay_alu instid0(VALU_DEP_2) | instskip(SKIP_2) | instid1(VALU_DEP_2)
	v_cmp_gt_i32_e32 vcc_lo, 32, v144
	v_lshrrev_b32_e32 v145, 24, v145
	v_min_i32_e32 v147, 31, v144
	v_dual_cndmask_b32 v146, 3, v146 :: v_dual_and_b32 v145, 0x80, v145
	s_delay_alu instid0(VALU_DEP_1) | instskip(SKIP_1) | instid1(VALU_DEP_2)
	v_or_b32_e32 v144, v144, v146
	v_and_b32_e32 v148, 3, v146
	v_cmp_ne_u32_e32 vcc_lo, 0, v144
	v_lshlrev_b32_e32 v147, 2, v147
	s_delay_alu instid0(VALU_DEP_1) | instskip(NEXT) | instid1(VALU_DEP_1)
	v_or3_b32 v145, v147, v145, v148
	v_cndmask_b32_e32 v144, 0, v145, vcc_lo
.LBB2_1024:                             ;   in Loop: Header=BB2_943 Depth=3
	s_or_b32 exec_lo, exec_lo, s35
.LBB2_1025:                             ;   in Loop: Header=BB2_943 Depth=3
	s_delay_alu instid0(SALU_CYCLE_1)
	s_or_b32 exec_lo, exec_lo, s34
	flat_load_u8 v145, v[54:55] offset:192 slc dlc
	s_mov_b32 s13, 0
	s_mov_b32 s35, exec_lo
                                        ; implicit-def: $sgpr34
	s_waitcnt vmcnt(0) lgkmcnt(0)
	v_cmpx_lt_i16_e64 0x7f, v145
	s_xor_b32 s35, exec_lo, s35
	s_cbranch_execnz .LBB2_1074
; %bb.1026:                             ;   in Loop: Header=BB2_943 Depth=3
	s_or_saveexec_b32 s35, s35
	v_mov_b32_e32 v146, s34
	s_xor_b32 exec_lo, exec_lo, s35
	s_cbranch_execnz .LBB2_1077
.LBB2_1027:                             ;   in Loop: Header=BB2_943 Depth=3
	s_or_b32 exec_lo, exec_lo, s35
	s_and_saveexec_b32 s34, s13
	s_cbranch_execz .LBB2_1029
.LBB2_1028:                             ;   in Loop: Header=BB2_943 Depth=3
	v_and_b32_e32 v146, 0xffff, v145
	v_lshlrev_b32_e32 v145, 24, v145
	s_delay_alu instid0(VALU_DEP_2) | instskip(NEXT) | instid1(VALU_DEP_2)
	v_and_b32_e32 v147, 3, v146
	v_and_b32_e32 v145, 0x80000000, v145
	s_delay_alu instid0(VALU_DEP_2) | instskip(NEXT) | instid1(VALU_DEP_1)
	v_clz_i32_u32_e32 v148, v147
	v_min_u32_e32 v148, 32, v148
	s_delay_alu instid0(VALU_DEP_1) | instskip(SKIP_1) | instid1(VALU_DEP_2)
	v_subrev_nc_u32_e32 v149, 29, v148
	v_sub_nc_u32_e32 v148, 30, v148
	v_lshlrev_b32_e32 v149, v149, v146
	v_bfe_u32 v146, v146, 2, 5
	s_delay_alu instid0(VALU_DEP_2) | instskip(NEXT) | instid1(VALU_DEP_2)
	v_and_b32_e32 v149, 3, v149
	v_cmp_eq_u32_e32 vcc_lo, 0, v146
	s_delay_alu instid0(VALU_DEP_2) | instskip(NEXT) | instid1(VALU_DEP_1)
	v_dual_cndmask_b32 v146, v146, v148 :: v_dual_cndmask_b32 v147, v147, v149
	v_lshl_add_u32 v146, v146, 23, 0x37800000
	s_delay_alu instid0(VALU_DEP_2) | instskip(NEXT) | instid1(VALU_DEP_1)
	v_lshlrev_b32_e32 v147, 21, v147
	v_or3_b32 v146, v145, v146, v147
.LBB2_1029:                             ;   in Loop: Header=BB2_943 Depth=3
	s_or_b32 exec_lo, exec_lo, s34
	s_delay_alu instid0(VALU_DEP_1) | instskip(NEXT) | instid1(VALU_DEP_1)
	v_mul_f32_e32 v146, v129, v146
	v_and_b32_e32 v145, 0x7f800000, v146
	s_delay_alu instid0(VALU_DEP_1)
	v_cmp_ne_u32_e32 vcc_lo, 0x7f800000, v145
	v_mov_b32_e32 v145, 0x80
	s_and_saveexec_b32 s34, vcc_lo
	s_cbranch_execz .LBB2_1037
; %bb.1030:                             ;   in Loop: Header=BB2_943 Depth=3
	v_mov_b32_e32 v145, 0
	s_mov_b32 s35, exec_lo
	v_cmpx_ne_u32_e32 0, v146
	s_cbranch_execz .LBB2_1036
; %bb.1031:                             ;   in Loop: Header=BB2_943 Depth=3
	v_bfe_u32 v145, v146, 23, 8
	s_delay_alu instid0(VALU_DEP_1) | instskip(SKIP_1) | instid1(VALU_DEP_2)
	v_sub_nc_u32_e32 v148, 0x70, v145
	v_cmp_gt_u32_e32 vcc_lo, 0x71, v145
	v_dual_cndmask_b32 v148, 0, v148 :: v_dual_and_b32 v147, 0x7fffff, v146
	s_delay_alu instid0(VALU_DEP_1) | instskip(SKIP_2) | instid1(VALU_DEP_4)
	v_or_b32_e32 v149, 0x800000, v147
	v_cmp_eq_u32_e32 vcc_lo, 0, v145
	v_add_nc_u32_e32 v145, 0xffffff91, v145
	v_cndmask_b32_e64 v148, v148, 0x6f, vcc_lo
	s_delay_alu instid0(VALU_DEP_2) | instskip(SKIP_1) | instid1(VALU_DEP_3)
	v_cndmask_b32_e64 v145, v145, 0xffffff92, vcc_lo
	v_cndmask_b32_e32 v147, v149, v147, vcc_lo
	v_lshl_add_u32 v149, 0x200000, v148, -1
	v_lshlrev_b32_e64 v160, v148, 0x100000
	s_delay_alu instid0(VALU_DEP_3) | instskip(SKIP_1) | instid1(VALU_DEP_4)
	v_lshrrev_b32_e32 v150, v148, v147
	v_add_nc_u32_e32 v148, v148, v145
	v_and_b32_e32 v147, v149, v147
	s_delay_alu instid0(VALU_DEP_3) | instskip(NEXT) | instid1(VALU_DEP_2)
	v_bfe_u32 v151, v150, 21, 1
	v_cmp_eq_u32_e64 s13, v147, v160
	s_delay_alu instid0(VALU_DEP_2) | instskip(NEXT) | instid1(VALU_DEP_1)
	v_add_nc_u32_e32 v149, -1, v151
	v_cndmask_b32_e64 v147, 0, v149, s13
	v_lshrrev_b32_e32 v149, 23, v150
	s_mov_b32 s13, exec_lo
	s_delay_alu instid0(VALU_DEP_2) | instskip(NEXT) | instid1(VALU_DEP_2)
	v_add_nc_u32_e32 v147, v147, v150
	v_xor_b32_e32 v149, 1, v149
	s_delay_alu instid0(VALU_DEP_2) | instskip(NEXT) | instid1(VALU_DEP_1)
	v_and_b32_e32 v145, 0x1fffff, v147
	v_add_nc_u32_e32 v147, v145, v150
                                        ; implicit-def: $vgpr145
	s_delay_alu instid0(VALU_DEP_3)
	v_cmpx_ne_u32_e64 v148, v149
	s_xor_b32 s13, exec_lo, s13
; %bb.1032:                             ;   in Loop: Header=BB2_943 Depth=3
	s_delay_alu instid0(VALU_DEP_2) | instskip(SKIP_2) | instid1(VALU_DEP_2)
	v_cmp_lt_u32_e32 vcc_lo, 0xffffff, v147
	v_sub_nc_u32_e32 v145, v148, v149
	v_cndmask_b32_e64 v148, 0, 1, vcc_lo
	v_add_co_ci_u32_e32 v145, vcc_lo, 0, v145, vcc_lo
	s_delay_alu instid0(VALU_DEP_2)
	v_lshrrev_b32_e32 v147, v148, v147
; %bb.1033:                             ;   in Loop: Header=BB2_943 Depth=3
	s_and_not1_saveexec_b32 s13, s13
; %bb.1034:                             ;   in Loop: Header=BB2_943 Depth=3
	s_delay_alu instid0(VALU_DEP_1)
	v_bfe_u32 v145, v147, 23, 1
; %bb.1035:                             ;   in Loop: Header=BB2_943 Depth=3
	s_or_b32 exec_lo, exec_lo, s13
	v_lshrrev_b32_e32 v147, 21, v147
	s_delay_alu instid0(VALU_DEP_2) | instskip(SKIP_2) | instid1(VALU_DEP_2)
	v_cmp_gt_i32_e32 vcc_lo, 32, v145
	v_lshrrev_b32_e32 v146, 24, v146
	v_min_i32_e32 v148, 31, v145
	v_dual_cndmask_b32 v147, 3, v147 :: v_dual_and_b32 v146, 0x80, v146
	s_delay_alu instid0(VALU_DEP_1) | instskip(SKIP_1) | instid1(VALU_DEP_2)
	v_or_b32_e32 v145, v145, v147
	v_and_b32_e32 v149, 3, v147
	v_cmp_ne_u32_e32 vcc_lo, 0, v145
	v_lshlrev_b32_e32 v148, 2, v148
	s_delay_alu instid0(VALU_DEP_1) | instskip(NEXT) | instid1(VALU_DEP_1)
	v_or3_b32 v146, v148, v146, v149
	v_cndmask_b32_e32 v145, 0, v146, vcc_lo
.LBB2_1036:                             ;   in Loop: Header=BB2_943 Depth=3
	s_or_b32 exec_lo, exec_lo, s35
.LBB2_1037:                             ;   in Loop: Header=BB2_943 Depth=3
	s_delay_alu instid0(SALU_CYCLE_1)
	s_or_b32 exec_lo, exec_lo, s34
	flat_load_u8 v54, v[54:55] offset:224 slc dlc
	s_mov_b32 s13, 0
	s_mov_b32 s35, exec_lo
                                        ; implicit-def: $sgpr34
	s_waitcnt vmcnt(0) lgkmcnt(0)
	v_cmpx_lt_i16_e32 0x7f, v54
	s_xor_b32 s35, exec_lo, s35
	s_cbranch_execnz .LBB2_1078
; %bb.1038:                             ;   in Loop: Header=BB2_943 Depth=3
	s_or_saveexec_b32 s35, s35
	v_mov_b32_e32 v55, s34
	s_xor_b32 exec_lo, exec_lo, s35
	s_cbranch_execnz .LBB2_1081
.LBB2_1039:                             ;   in Loop: Header=BB2_943 Depth=3
	s_or_b32 exec_lo, exec_lo, s35
	s_and_saveexec_b32 s34, s13
	s_cbranch_execz .LBB2_1041
.LBB2_1040:                             ;   in Loop: Header=BB2_943 Depth=3
	v_and_b32_e32 v55, 0xffff, v54
	v_lshlrev_b32_e32 v54, 24, v54
	s_delay_alu instid0(VALU_DEP_2) | instskip(NEXT) | instid1(VALU_DEP_2)
	v_and_b32_e32 v146, 3, v55
	v_and_b32_e32 v54, 0x80000000, v54
	s_delay_alu instid0(VALU_DEP_2) | instskip(NEXT) | instid1(VALU_DEP_1)
	v_clz_i32_u32_e32 v147, v146
	v_min_u32_e32 v147, 32, v147
	s_delay_alu instid0(VALU_DEP_1) | instskip(SKIP_1) | instid1(VALU_DEP_2)
	v_subrev_nc_u32_e32 v148, 29, v147
	v_sub_nc_u32_e32 v147, 30, v147
	v_lshlrev_b32_e32 v148, v148, v55
	v_bfe_u32 v55, v55, 2, 5
	s_delay_alu instid0(VALU_DEP_1) | instskip(NEXT) | instid1(VALU_DEP_3)
	v_cmp_eq_u32_e32 vcc_lo, 0, v55
	v_dual_cndmask_b32 v55, v55, v147 :: v_dual_and_b32 v148, 3, v148
	s_delay_alu instid0(VALU_DEP_1) | instskip(NEXT) | instid1(VALU_DEP_2)
	v_cndmask_b32_e32 v146, v146, v148, vcc_lo
	v_lshl_add_u32 v55, v55, 23, 0x37800000
	s_delay_alu instid0(VALU_DEP_2) | instskip(NEXT) | instid1(VALU_DEP_1)
	v_lshlrev_b32_e32 v146, 21, v146
	v_or3_b32 v55, v54, v55, v146
.LBB2_1041:                             ;   in Loop: Header=BB2_943 Depth=3
	s_or_b32 exec_lo, exec_lo, s34
	s_delay_alu instid0(VALU_DEP_1) | instskip(NEXT) | instid1(VALU_DEP_1)
	v_mul_f32_e32 v54, v129, v55
	v_and_b32_e32 v55, 0x7f800000, v54
	s_delay_alu instid0(VALU_DEP_1)
	v_cmp_ne_u32_e32 vcc_lo, 0x7f800000, v55
	v_mov_b32_e32 v55, 0x80
	s_and_saveexec_b32 s34, vcc_lo
	s_cbranch_execz .LBB2_1049
; %bb.1042:                             ;   in Loop: Header=BB2_943 Depth=3
	v_mov_b32_e32 v55, 0
	s_mov_b32 s35, exec_lo
	v_cmpx_ne_u32_e32 0, v54
	s_cbranch_execz .LBB2_1048
; %bb.1043:                             ;   in Loop: Header=BB2_943 Depth=3
	v_bfe_u32 v55, v54, 23, 8
	v_and_b32_e32 v129, 0x7fffff, v54
	s_delay_alu instid0(VALU_DEP_2) | instskip(SKIP_1) | instid1(VALU_DEP_3)
	v_sub_nc_u32_e32 v146, 0x70, v55
	v_cmp_gt_u32_e32 vcc_lo, 0x71, v55
	v_or_b32_e32 v147, 0x800000, v129
	s_delay_alu instid0(VALU_DEP_3) | instskip(SKIP_2) | instid1(VALU_DEP_4)
	v_cndmask_b32_e32 v146, 0, v146, vcc_lo
	v_cmp_eq_u32_e32 vcc_lo, 0, v55
	v_add_nc_u32_e32 v55, 0xffffff91, v55
	v_cndmask_b32_e32 v129, v147, v129, vcc_lo
	s_delay_alu instid0(VALU_DEP_4) | instskip(NEXT) | instid1(VALU_DEP_3)
	v_cndmask_b32_e64 v146, v146, 0x6f, vcc_lo
	v_cndmask_b32_e64 v55, v55, 0xffffff92, vcc_lo
	s_delay_alu instid0(VALU_DEP_2) | instskip(SKIP_2) | instid1(VALU_DEP_4)
	v_lshrrev_b32_e32 v148, v146, v129
	v_lshl_add_u32 v147, 0x200000, v146, -1
	v_lshlrev_b32_e64 v150, v146, 0x100000
	v_add_nc_u32_e32 v146, v146, v55
	s_delay_alu instid0(VALU_DEP_4) | instskip(NEXT) | instid1(VALU_DEP_4)
	v_bfe_u32 v149, v148, 21, 1
	v_and_b32_e32 v129, v147, v129
	s_delay_alu instid0(VALU_DEP_2) | instskip(NEXT) | instid1(VALU_DEP_2)
	v_add_nc_u32_e32 v147, -1, v149
	v_cmp_eq_u32_e64 s13, v129, v150
	s_delay_alu instid0(VALU_DEP_1) | instskip(SKIP_2) | instid1(VALU_DEP_2)
	v_cndmask_b32_e64 v129, 0, v147, s13
	v_lshrrev_b32_e32 v147, 23, v148
	s_mov_b32 s13, exec_lo
	v_add_nc_u32_e32 v129, v129, v148
	s_delay_alu instid0(VALU_DEP_2) | instskip(NEXT) | instid1(VALU_DEP_2)
	v_xor_b32_e32 v147, 1, v147
	v_and_b32_e32 v55, 0x1fffff, v129
	s_delay_alu instid0(VALU_DEP_1) | instskip(NEXT) | instid1(VALU_DEP_3)
	v_add_nc_u32_e32 v129, v55, v148
                                        ; implicit-def: $vgpr55
	v_cmpx_ne_u32_e64 v146, v147
	s_xor_b32 s13, exec_lo, s13
; %bb.1044:                             ;   in Loop: Header=BB2_943 Depth=3
	s_delay_alu instid0(VALU_DEP_2) | instskip(SKIP_2) | instid1(VALU_DEP_2)
	v_cmp_lt_u32_e32 vcc_lo, 0xffffff, v129
	v_sub_nc_u32_e32 v55, v146, v147
	v_cndmask_b32_e64 v146, 0, 1, vcc_lo
	v_add_co_ci_u32_e32 v55, vcc_lo, 0, v55, vcc_lo
	s_delay_alu instid0(VALU_DEP_2)
	v_lshrrev_b32_e32 v129, v146, v129
; %bb.1045:                             ;   in Loop: Header=BB2_943 Depth=3
	s_and_not1_saveexec_b32 s13, s13
; %bb.1046:                             ;   in Loop: Header=BB2_943 Depth=3
	s_delay_alu instid0(VALU_DEP_1)
	v_bfe_u32 v55, v129, 23, 1
; %bb.1047:                             ;   in Loop: Header=BB2_943 Depth=3
	s_or_b32 exec_lo, exec_lo, s13
	v_lshrrev_b32_e32 v129, 21, v129
	s_delay_alu instid0(VALU_DEP_2) | instskip(SKIP_2) | instid1(VALU_DEP_2)
	v_cmp_gt_i32_e32 vcc_lo, 32, v55
	v_lshrrev_b32_e32 v54, 24, v54
	v_min_i32_e32 v146, 31, v55
	v_dual_cndmask_b32 v129, 3, v129 :: v_dual_and_b32 v54, 0x80, v54
	s_delay_alu instid0(VALU_DEP_2) | instskip(NEXT) | instid1(VALU_DEP_2)
	v_lshlrev_b32_e32 v146, 2, v146
	v_and_b32_e32 v147, 3, v129
	v_or_b32_e32 v55, v55, v129
	s_delay_alu instid0(VALU_DEP_2) | instskip(NEXT) | instid1(VALU_DEP_2)
	v_or3_b32 v54, v146, v54, v147
	v_cmp_ne_u32_e32 vcc_lo, 0, v55
	s_delay_alu instid0(VALU_DEP_2)
	v_cndmask_b32_e32 v55, 0, v54, vcc_lo
.LBB2_1048:                             ;   in Loop: Header=BB2_943 Depth=3
	s_or_b32 exec_lo, exec_lo, s35
.LBB2_1049:                             ;   in Loop: Header=BB2_943 Depth=3
	s_delay_alu instid0(SALU_CYCLE_1)
	s_or_b32 exec_lo, exec_lo, s34
	v_add_co_u32 v146, vcc_lo, v67, v8
	v_sub_nc_u32_e32 v2, v2, v71
	v_add_co_ci_u32_e32 v147, vcc_lo, v128, v9, vcc_lo
	v_add_co_u32 v10, vcc_lo, v10, v99
	v_add_co_ci_u32_e32 v11, vcc_lo, v11, v100, vcc_lo
	s_delay_alu instid0(VALU_DEP_4) | instskip(SKIP_1) | instid1(VALU_DEP_1)
	v_cmp_gt_i32_e32 vcc_lo, 1, v2
	v_add_co_u32 v8, s13, v8, v99
	v_add_co_ci_u32_e64 v9, s13, v9, v100, s13
	s_or_b32 s31, vcc_lo, s31
	s_clause 0x7
	flat_store_b8 v[146:147], v131 glc slc dlc
	flat_store_b8 v[146:147], v132 offset:32 glc slc dlc
	flat_store_b8 v[146:147], v133 offset:64 glc slc dlc
	flat_store_b8 v[146:147], v134 offset:96 glc slc dlc
	flat_store_b8 v[146:147], v135 offset:128 glc slc dlc
	flat_store_b8 v[146:147], v144 offset:160 glc slc dlc
	flat_store_b8 v[146:147], v145 offset:192 glc slc dlc
	flat_store_b8 v[146:147], v55 offset:224 glc slc dlc
	s_and_not1_b32 exec_lo, exec_lo, s31
	s_cbranch_execnz .LBB2_943
	s_branch .LBB2_1082
.LBB2_1050:                             ;   in Loop: Header=BB2_943 Depth=3
	s_mov_b32 s13, -1
	s_mov_b32 s36, exec_lo
                                        ; implicit-def: $sgpr34
	v_cmpx_eq_u16_e64 0x80, v131
; %bb.1051:                             ;   in Loop: Header=BB2_943 Depth=3
	s_mov_b32 s34, 0x7f800001
	s_xor_b32 s13, exec_lo, -1
; %bb.1052:                             ;   in Loop: Header=BB2_943 Depth=3
	s_or_b32 exec_lo, exec_lo, s36
	s_delay_alu instid0(SALU_CYCLE_1)
	s_and_b32 s13, s13, exec_lo
	s_or_saveexec_b32 s35, s35
	v_mov_b32_e32 v132, s34
	s_xor_b32 exec_lo, exec_lo, s35
	s_cbranch_execz .LBB2_955
.LBB2_1053:                             ;   in Loop: Header=BB2_943 Depth=3
	v_cmp_ne_u16_e64 vcc_lo, 0, v131
	v_mov_b32_e32 v132, 0
	s_and_not1_b32 s13, s13, exec_lo
	s_delay_alu instid0(VALU_DEP_2) | instskip(NEXT) | instid1(SALU_CYCLE_1)
	s_and_b32 vcc_lo, vcc_lo, exec_lo
	s_or_b32 s13, s13, vcc_lo
	s_or_b32 exec_lo, exec_lo, s35
	s_and_saveexec_b32 s34, s13
	s_cbranch_execnz .LBB2_956
	s_branch .LBB2_957
.LBB2_1054:                             ;   in Loop: Header=BB2_943 Depth=3
	s_mov_b32 s13, -1
	s_mov_b32 s36, exec_lo
                                        ; implicit-def: $sgpr34
	v_cmpx_eq_u16_e64 0x80, v132
; %bb.1055:                             ;   in Loop: Header=BB2_943 Depth=3
	s_mov_b32 s34, 0x7f800001
	s_xor_b32 s13, exec_lo, -1
; %bb.1056:                             ;   in Loop: Header=BB2_943 Depth=3
	s_or_b32 exec_lo, exec_lo, s36
	s_delay_alu instid0(SALU_CYCLE_1)
	s_and_b32 s13, s13, exec_lo
	s_or_saveexec_b32 s35, s35
	v_mov_b32_e32 v133, s34
	s_xor_b32 exec_lo, exec_lo, s35
	s_cbranch_execz .LBB2_967
.LBB2_1057:                             ;   in Loop: Header=BB2_943 Depth=3
	v_cmp_ne_u16_e64 vcc_lo, 0, v132
	v_mov_b32_e32 v133, 0
	s_and_not1_b32 s13, s13, exec_lo
	s_delay_alu instid0(VALU_DEP_2) | instskip(NEXT) | instid1(SALU_CYCLE_1)
	s_and_b32 vcc_lo, vcc_lo, exec_lo
	s_or_b32 s13, s13, vcc_lo
	s_or_b32 exec_lo, exec_lo, s35
	s_and_saveexec_b32 s34, s13
	s_cbranch_execnz .LBB2_968
	s_branch .LBB2_969
.LBB2_1058:                             ;   in Loop: Header=BB2_943 Depth=3
	s_mov_b32 s13, -1
	s_mov_b32 s36, exec_lo
                                        ; implicit-def: $sgpr34
	v_cmpx_eq_u16_e64 0x80, v133
; %bb.1059:                             ;   in Loop: Header=BB2_943 Depth=3
	s_mov_b32 s34, 0x7f800001
	s_xor_b32 s13, exec_lo, -1
; %bb.1060:                             ;   in Loop: Header=BB2_943 Depth=3
	s_or_b32 exec_lo, exec_lo, s36
	s_delay_alu instid0(SALU_CYCLE_1)
	s_and_b32 s13, s13, exec_lo
	s_or_saveexec_b32 s35, s35
	v_mov_b32_e32 v134, s34
	s_xor_b32 exec_lo, exec_lo, s35
	s_cbranch_execz .LBB2_979
.LBB2_1061:                             ;   in Loop: Header=BB2_943 Depth=3
	v_cmp_ne_u16_e64 vcc_lo, 0, v133
	v_mov_b32_e32 v134, 0
	s_and_not1_b32 s13, s13, exec_lo
	s_delay_alu instid0(VALU_DEP_2) | instskip(NEXT) | instid1(SALU_CYCLE_1)
	s_and_b32 vcc_lo, vcc_lo, exec_lo
	s_or_b32 s13, s13, vcc_lo
	s_or_b32 exec_lo, exec_lo, s35
	s_and_saveexec_b32 s34, s13
	s_cbranch_execnz .LBB2_980
	s_branch .LBB2_981
.LBB2_1062:                             ;   in Loop: Header=BB2_943 Depth=3
	s_mov_b32 s13, -1
	s_mov_b32 s36, exec_lo
                                        ; implicit-def: $sgpr34
	v_cmpx_eq_u16_e64 0x80, v134
; %bb.1063:                             ;   in Loop: Header=BB2_943 Depth=3
	s_mov_b32 s34, 0x7f800001
	s_xor_b32 s13, exec_lo, -1
; %bb.1064:                             ;   in Loop: Header=BB2_943 Depth=3
	s_or_b32 exec_lo, exec_lo, s36
	s_delay_alu instid0(SALU_CYCLE_1)
	s_and_b32 s13, s13, exec_lo
	s_or_saveexec_b32 s35, s35
	v_mov_b32_e32 v135, s34
	s_xor_b32 exec_lo, exec_lo, s35
	s_cbranch_execz .LBB2_991
.LBB2_1065:                             ;   in Loop: Header=BB2_943 Depth=3
	v_cmp_ne_u16_e64 vcc_lo, 0, v134
	v_mov_b32_e32 v135, 0
	s_and_not1_b32 s13, s13, exec_lo
	s_delay_alu instid0(VALU_DEP_2) | instskip(NEXT) | instid1(SALU_CYCLE_1)
	s_and_b32 vcc_lo, vcc_lo, exec_lo
	s_or_b32 s13, s13, vcc_lo
	s_or_b32 exec_lo, exec_lo, s35
	s_and_saveexec_b32 s34, s13
	s_cbranch_execnz .LBB2_992
	s_branch .LBB2_993
.LBB2_1066:                             ;   in Loop: Header=BB2_943 Depth=3
	s_mov_b32 s13, -1
	s_mov_b32 s36, exec_lo
                                        ; implicit-def: $sgpr34
	v_cmpx_eq_u16_e64 0x80, v135
; %bb.1067:                             ;   in Loop: Header=BB2_943 Depth=3
	s_mov_b32 s34, 0x7f800001
	s_xor_b32 s13, exec_lo, -1
; %bb.1068:                             ;   in Loop: Header=BB2_943 Depth=3
	s_or_b32 exec_lo, exec_lo, s36
	s_delay_alu instid0(SALU_CYCLE_1)
	s_and_b32 s13, s13, exec_lo
	s_or_saveexec_b32 s35, s35
	v_mov_b32_e32 v144, s34
	s_xor_b32 exec_lo, exec_lo, s35
	s_cbranch_execz .LBB2_1003
.LBB2_1069:                             ;   in Loop: Header=BB2_943 Depth=3
	v_cmp_ne_u16_e64 vcc_lo, 0, v135
	v_mov_b32_e32 v144, 0
	s_and_not1_b32 s13, s13, exec_lo
	s_delay_alu instid0(VALU_DEP_2) | instskip(NEXT) | instid1(SALU_CYCLE_1)
	s_and_b32 vcc_lo, vcc_lo, exec_lo
	s_or_b32 s13, s13, vcc_lo
	s_or_b32 exec_lo, exec_lo, s35
	s_and_saveexec_b32 s34, s13
	s_cbranch_execnz .LBB2_1004
	s_branch .LBB2_1005
.LBB2_1070:                             ;   in Loop: Header=BB2_943 Depth=3
	s_mov_b32 s13, -1
	s_mov_b32 s36, exec_lo
                                        ; implicit-def: $sgpr34
	v_cmpx_eq_u16_e64 0x80, v144
; %bb.1071:                             ;   in Loop: Header=BB2_943 Depth=3
	s_mov_b32 s34, 0x7f800001
	s_xor_b32 s13, exec_lo, -1
; %bb.1072:                             ;   in Loop: Header=BB2_943 Depth=3
	s_or_b32 exec_lo, exec_lo, s36
	s_delay_alu instid0(SALU_CYCLE_1)
	s_and_b32 s13, s13, exec_lo
	s_or_saveexec_b32 s35, s35
	v_mov_b32_e32 v145, s34
	s_xor_b32 exec_lo, exec_lo, s35
	s_cbranch_execz .LBB2_1015
.LBB2_1073:                             ;   in Loop: Header=BB2_943 Depth=3
	v_cmp_ne_u16_e64 vcc_lo, 0, v144
	v_mov_b32_e32 v145, 0
	s_and_not1_b32 s13, s13, exec_lo
	s_delay_alu instid0(VALU_DEP_2) | instskip(NEXT) | instid1(SALU_CYCLE_1)
	s_and_b32 vcc_lo, vcc_lo, exec_lo
	s_or_b32 s13, s13, vcc_lo
	s_or_b32 exec_lo, exec_lo, s35
	s_and_saveexec_b32 s34, s13
	s_cbranch_execnz .LBB2_1016
	s_branch .LBB2_1017
.LBB2_1074:                             ;   in Loop: Header=BB2_943 Depth=3
	s_mov_b32 s13, -1
	s_mov_b32 s36, exec_lo
                                        ; implicit-def: $sgpr34
	v_cmpx_eq_u16_e64 0x80, v145
; %bb.1075:                             ;   in Loop: Header=BB2_943 Depth=3
	s_mov_b32 s34, 0x7f800001
	s_xor_b32 s13, exec_lo, -1
; %bb.1076:                             ;   in Loop: Header=BB2_943 Depth=3
	s_or_b32 exec_lo, exec_lo, s36
	s_delay_alu instid0(SALU_CYCLE_1)
	s_and_b32 s13, s13, exec_lo
	s_or_saveexec_b32 s35, s35
	v_mov_b32_e32 v146, s34
	s_xor_b32 exec_lo, exec_lo, s35
	s_cbranch_execz .LBB2_1027
.LBB2_1077:                             ;   in Loop: Header=BB2_943 Depth=3
	v_cmp_ne_u16_e64 vcc_lo, 0, v145
	v_mov_b32_e32 v146, 0
	s_and_not1_b32 s13, s13, exec_lo
	s_delay_alu instid0(VALU_DEP_2) | instskip(NEXT) | instid1(SALU_CYCLE_1)
	s_and_b32 vcc_lo, vcc_lo, exec_lo
	s_or_b32 s13, s13, vcc_lo
	s_or_b32 exec_lo, exec_lo, s35
	s_and_saveexec_b32 s34, s13
	s_cbranch_execnz .LBB2_1028
	s_branch .LBB2_1029
.LBB2_1078:                             ;   in Loop: Header=BB2_943 Depth=3
	s_mov_b32 s13, -1
	s_mov_b32 s36, exec_lo
                                        ; implicit-def: $sgpr34
	v_cmpx_eq_u16_e32 0x80, v54
; %bb.1079:                             ;   in Loop: Header=BB2_943 Depth=3
	s_mov_b32 s34, 0x7f800001
	s_xor_b32 s13, exec_lo, -1
; %bb.1080:                             ;   in Loop: Header=BB2_943 Depth=3
	s_or_b32 exec_lo, exec_lo, s36
	s_delay_alu instid0(SALU_CYCLE_1)
	s_and_b32 s13, s13, exec_lo
	s_or_saveexec_b32 s35, s35
	v_mov_b32_e32 v55, s34
	s_xor_b32 exec_lo, exec_lo, s35
	s_cbranch_execz .LBB2_1039
.LBB2_1081:                             ;   in Loop: Header=BB2_943 Depth=3
	v_cmp_ne_u16_e32 vcc_lo, 0, v54
	v_mov_b32_e32 v55, 0
	s_and_not1_b32 s13, s13, exec_lo
	s_and_b32 vcc_lo, vcc_lo, exec_lo
	s_delay_alu instid0(SALU_CYCLE_1)
	s_or_b32 s13, s13, vcc_lo
	s_or_b32 exec_lo, exec_lo, s35
	s_and_saveexec_b32 s34, s13
	s_cbranch_execnz .LBB2_1040
	s_branch .LBB2_1041
.LBB2_1082:                             ;   in Loop: Header=BB2_59 Depth=2
	s_or_b32 exec_lo, exec_lo, s31
.LBB2_1083:                             ;   in Loop: Header=BB2_59 Depth=2
	s_delay_alu instid0(SALU_CYCLE_1) | instskip(SKIP_2) | instid1(VALU_DEP_1)
	s_or_b32 exec_lo, exec_lo, s30
	v_lshlrev_b32_e32 v8, 8, v66
	s_mov_b32 s30, exec_lo
	v_cmpx_ne_u32_e64 v65, v8
	s_cbranch_execz .LBB2_1114
; %bb.1084:                             ;   in Loop: Header=BB2_59 Depth=2
	v_ashrrev_i32_e32 v9, 31, v130
	v_lshlrev_b32_e32 v2, 5, v2
	s_delay_alu instid0(VALU_DEP_2) | instskip(NEXT) | instid1(VALU_DEP_1)
	v_lshrrev_b32_e32 v9, 27, v9
	v_add_nc_u32_e32 v9, v130, v9
	s_delay_alu instid0(VALU_DEP_1) | instskip(NEXT) | instid1(VALU_DEP_1)
	v_and_b32_e32 v9, 0xffffffe0, v9
	v_sub_nc_u32_e32 v9, v130, v9
	s_delay_alu instid0(VALU_DEP_1) | instskip(NEXT) | instid1(VALU_DEP_1)
	v_sub_nc_u32_e32 v2, v9, v2
	v_add_nc_u32_e32 v10, v8, v2
	s_delay_alu instid0(VALU_DEP_1) | instskip(NEXT) | instid1(VALU_DEP_1)
	v_sub_nc_u32_e32 v2, v65, v10
	v_cmp_lt_i32_e32 vcc_lo, 0, v2
	s_and_b32 exec_lo, exec_lo, vcc_lo
	s_cbranch_execz .LBB2_1114
; %bb.1085:                             ;   in Loop: Header=BB2_59 Depth=2
	s_cbranch_execz .LBB2_1086
; %bb.8005:
	s_getpc_b64 s[48:49]
.Lpost_getpc35:
	s_add_u32 s48, s48, (.LBB2_7611-.Lpost_getpc35)&4294967295
	s_addc_u32 s49, s49, (.LBB2_7611-.Lpost_getpc35)>>32
	s_setpc_b64 s[48:49]
.LBB2_1086:                             ;   in Loop: Header=BB2_59 Depth=2
	ds_load_b64 v[8:9], v0
	v_add_nc_u32_e32 v54, v10, v64
	s_mov_b32 s31, 0
	s_delay_alu instid0(VALU_DEP_1)
	v_ashrrev_i32_e32 v55, 31, v54
.LBB2_1087:                             ;   Parent Loop BB2_51 Depth=1
                                        ;     Parent Loop BB2_59 Depth=2
                                        ; =>    This Inner Loop Header: Depth=3
	s_cbranch_execz .LBB2_1088
; %bb.8007:
	s_getpc_b64 s[48:49]
.Lpost_getpc36:
	s_add_u32 s48, s48, (.LBB2_7613-.Lpost_getpc36)&4294967295
	s_addc_u32 s49, s49, (.LBB2_7613-.Lpost_getpc36)>>32
	s_setpc_b64 s[48:49]
.LBB2_1088:                             ;   in Loop: Header=BB2_1087 Depth=3
	ds_load_b64 v[10:11], v0
	s_waitcnt lgkmcnt(0)
	v_and_b32_e32 v11, 0xff, v10
	v_readfirstlane_b32 s13, v10
	s_delay_alu instid0(VALU_DEP_2)
	v_cmp_gt_i16_e32 vcc_lo, 0x80, v11
	s_cbranch_vccnz .LBB2_1092
; %bb.1089:                             ;   in Loop: Header=BB2_1087 Depth=3
	v_cmp_eq_u16_e32 vcc_lo, 0x80, v11
	s_mov_b32 s34, -1
                                        ; implicit-def: $sgpr35
	s_cbranch_vccz .LBB2_1091
; %bb.1090:                             ;   in Loop: Header=BB2_1087 Depth=3
	s_mov_b32 s34, 0
	s_mov_b32 s35, 0x7f800001
.LBB2_1091:                             ;   in Loop: Header=BB2_1087 Depth=3
	s_mov_b32 vcc_lo, 0
	s_branch .LBB2_1093
.LBB2_1092:                             ;   in Loop: Header=BB2_1087 Depth=3
	s_mov_b32 vcc_lo, -1
	s_mov_b32 s34, 0
                                        ; implicit-def: $sgpr35
.LBB2_1093:                             ;   in Loop: Header=BB2_1087 Depth=3
	s_and_b32 vcc_lo, exec_lo, vcc_lo
	s_cbranch_vccz .LBB2_1095
; %bb.1094:                             ;   in Loop: Header=BB2_1087 Depth=3
	v_cmp_ne_u16_e64 s34, 0, v11
	s_mov_b32 s35, 0
.LBB2_1095:                             ;   in Loop: Header=BB2_1087 Depth=3
	s_delay_alu instid0(SALU_CYCLE_1) | instskip(NEXT) | instid1(VALU_DEP_2)
	v_mov_b32_e32 v64, s35
	s_and_not1_b32 vcc_lo, exec_lo, s34
	s_cbranch_vccnz .LBB2_1097
; %bb.1096:                             ;   in Loop: Header=BB2_1087 Depth=3
	s_and_b32 vcc_lo, s13, 3
	s_bfe_u32 s35, s13, 0x50002
	s_clz_i32_u32 s34, vcc_lo
	v_lshlrev_b32_e32 v10, 24, v10
	s_min_u32 s34, s34, 32
	s_delay_alu instid0(SALU_CYCLE_1)
	s_sub_i32 s36, s34, 29
	s_sub_i32 s34, 30, s34
	s_lshl_b32 s13, s13, s36
	v_and_b32_e32 v10, 0x80000000, v10
	s_and_b32 s13, s13, 3
	s_cmp_eq_u32 s35, 0
	s_cselect_b32 s34, s34, s35
	s_cselect_b32 s13, s13, vcc_lo
	s_lshl_b32 vcc_lo, s34, 23
	s_lshl_b32 s13, s13, 21
	s_add_i32 vcc_lo, vcc_lo, 0x37800000
	s_delay_alu instid0(SALU_CYCLE_1) | instskip(NEXT) | instid1(VALU_DEP_1)
	v_or_b32_e32 v10, vcc_lo, v10
	v_or_b32_e32 v64, s13, v10
.LBB2_1097:                             ;   in Loop: Header=BB2_1087 Depth=3
	v_add_co_u32 v10, vcc_lo, v8, v54
	v_add_co_ci_u32_e32 v11, vcc_lo, v9, v55, vcc_lo
	s_mov_b32 s13, 0
	s_mov_b32 s35, exec_lo
                                        ; implicit-def: $sgpr34
	flat_load_u8 v65, v[10:11] slc dlc
	s_waitcnt vmcnt(0) lgkmcnt(0)
	v_cmpx_lt_i16_e32 0x7f, v65
	s_xor_b32 s35, exec_lo, s35
	s_cbranch_execnz .LBB2_1110
; %bb.1098:                             ;   in Loop: Header=BB2_1087 Depth=3
	s_or_saveexec_b32 s35, s35
	v_mov_b32_e32 v66, s34
	s_xor_b32 exec_lo, exec_lo, s35
	s_cbranch_execnz .LBB2_1113
.LBB2_1099:                             ;   in Loop: Header=BB2_1087 Depth=3
	s_or_b32 exec_lo, exec_lo, s35
	s_and_saveexec_b32 s34, s13
	s_cbranch_execz .LBB2_1101
.LBB2_1100:                             ;   in Loop: Header=BB2_1087 Depth=3
	v_and_b32_e32 v66, 0xffff, v65
	v_lshlrev_b32_e32 v65, 24, v65
	s_delay_alu instid0(VALU_DEP_2) | instskip(NEXT) | instid1(VALU_DEP_2)
	v_and_b32_e32 v67, 3, v66
	v_and_b32_e32 v65, 0x80000000, v65
	s_delay_alu instid0(VALU_DEP_2) | instskip(NEXT) | instid1(VALU_DEP_1)
	v_clz_i32_u32_e32 v128, v67
	v_min_u32_e32 v128, 32, v128
	s_delay_alu instid0(VALU_DEP_1) | instskip(SKIP_1) | instid1(VALU_DEP_2)
	v_subrev_nc_u32_e32 v129, 29, v128
	v_sub_nc_u32_e32 v128, 30, v128
	v_lshlrev_b32_e32 v129, v129, v66
	v_bfe_u32 v66, v66, 2, 5
	s_delay_alu instid0(VALU_DEP_2) | instskip(NEXT) | instid1(VALU_DEP_2)
	v_and_b32_e32 v129, 3, v129
	v_cmp_eq_u32_e32 vcc_lo, 0, v66
	s_delay_alu instid0(VALU_DEP_2) | instskip(NEXT) | instid1(VALU_DEP_1)
	v_dual_cndmask_b32 v66, v66, v128 :: v_dual_cndmask_b32 v67, v67, v129
	v_lshl_add_u32 v66, v66, 23, 0x37800000
	s_delay_alu instid0(VALU_DEP_2) | instskip(NEXT) | instid1(VALU_DEP_1)
	v_lshlrev_b32_e32 v67, 21, v67
	v_or3_b32 v66, v65, v66, v67
.LBB2_1101:                             ;   in Loop: Header=BB2_1087 Depth=3
	s_or_b32 exec_lo, exec_lo, s34
	s_delay_alu instid0(VALU_DEP_1) | instskip(NEXT) | instid1(VALU_DEP_1)
	v_mul_f32_e32 v64, v64, v66
	v_and_b32_e32 v65, 0x7f800000, v64
	s_delay_alu instid0(VALU_DEP_1)
	v_cmp_ne_u32_e32 vcc_lo, 0x7f800000, v65
	v_mov_b32_e32 v65, 0x80
	s_and_saveexec_b32 s34, vcc_lo
	s_cbranch_execz .LBB2_1109
; %bb.1102:                             ;   in Loop: Header=BB2_1087 Depth=3
	v_mov_b32_e32 v65, 0
	s_mov_b32 s35, exec_lo
	v_cmpx_ne_u32_e32 0, v64
	s_cbranch_execz .LBB2_1108
; %bb.1103:                             ;   in Loop: Header=BB2_1087 Depth=3
	v_bfe_u32 v65, v64, 23, 8
	s_delay_alu instid0(VALU_DEP_1) | instskip(SKIP_1) | instid1(VALU_DEP_2)
	v_sub_nc_u32_e32 v67, 0x70, v65
	v_cmp_gt_u32_e32 vcc_lo, 0x71, v65
	v_dual_cndmask_b32 v67, 0, v67 :: v_dual_and_b32 v66, 0x7fffff, v64
	s_delay_alu instid0(VALU_DEP_1) | instskip(SKIP_2) | instid1(VALU_DEP_4)
	v_or_b32_e32 v128, 0x800000, v66
	v_cmp_eq_u32_e32 vcc_lo, 0, v65
	v_add_nc_u32_e32 v65, 0xffffff91, v65
	v_cndmask_b32_e64 v67, v67, 0x6f, vcc_lo
	s_delay_alu instid0(VALU_DEP_4) | instskip(NEXT) | instid1(VALU_DEP_3)
	v_cndmask_b32_e32 v66, v128, v66, vcc_lo
	v_cndmask_b32_e64 v65, v65, 0xffffff92, vcc_lo
	s_delay_alu instid0(VALU_DEP_3) | instskip(NEXT) | instid1(VALU_DEP_3)
	v_lshl_add_u32 v128, 0x200000, v67, -1
	v_lshrrev_b32_e32 v129, v67, v66
	v_lshlrev_b32_e64 v131, v67, 0x100000
	s_delay_alu instid0(VALU_DEP_4) | instskip(NEXT) | instid1(VALU_DEP_4)
	v_add_nc_u32_e32 v67, v67, v65
	v_and_b32_e32 v66, v128, v66
	s_delay_alu instid0(VALU_DEP_4) | instskip(NEXT) | instid1(VALU_DEP_2)
	v_bfe_u32 v130, v129, 21, 1
	v_cmp_eq_u32_e64 s13, v66, v131
	s_delay_alu instid0(VALU_DEP_2) | instskip(NEXT) | instid1(VALU_DEP_1)
	v_add_nc_u32_e32 v128, -1, v130
	v_cndmask_b32_e64 v66, 0, v128, s13
	v_lshrrev_b32_e32 v128, 23, v129
	s_mov_b32 s13, exec_lo
	s_delay_alu instid0(VALU_DEP_2) | instskip(NEXT) | instid1(VALU_DEP_2)
	v_add_nc_u32_e32 v66, v66, v129
	v_xor_b32_e32 v128, 1, v128
	s_delay_alu instid0(VALU_DEP_2) | instskip(NEXT) | instid1(VALU_DEP_1)
	v_and_b32_e32 v65, 0x1fffff, v66
	v_add_nc_u32_e32 v66, v65, v129
                                        ; implicit-def: $vgpr65
	s_delay_alu instid0(VALU_DEP_3)
	v_cmpx_ne_u32_e64 v67, v128
	s_xor_b32 s13, exec_lo, s13
; %bb.1104:                             ;   in Loop: Header=BB2_1087 Depth=3
	s_delay_alu instid0(VALU_DEP_2) | instskip(SKIP_2) | instid1(VALU_DEP_2)
	v_cmp_lt_u32_e32 vcc_lo, 0xffffff, v66
	v_sub_nc_u32_e32 v65, v67, v128
	v_cndmask_b32_e64 v67, 0, 1, vcc_lo
	v_add_co_ci_u32_e32 v65, vcc_lo, 0, v65, vcc_lo
	s_delay_alu instid0(VALU_DEP_2)
	v_lshrrev_b32_e32 v66, v67, v66
; %bb.1105:                             ;   in Loop: Header=BB2_1087 Depth=3
	s_and_not1_saveexec_b32 s13, s13
; %bb.1106:                             ;   in Loop: Header=BB2_1087 Depth=3
	s_delay_alu instid0(VALU_DEP_1)
	v_bfe_u32 v65, v66, 23, 1
; %bb.1107:                             ;   in Loop: Header=BB2_1087 Depth=3
	s_or_b32 exec_lo, exec_lo, s13
	v_lshrrev_b32_e32 v66, 21, v66
	s_delay_alu instid0(VALU_DEP_2) | instskip(SKIP_2) | instid1(VALU_DEP_2)
	v_cmp_gt_i32_e32 vcc_lo, 32, v65
	v_min_i32_e32 v67, 31, v65
	v_lshrrev_b32_e32 v64, 24, v64
	v_dual_cndmask_b32 v66, 3, v66 :: v_dual_lshlrev_b32 v67, 2, v67
	s_delay_alu instid0(VALU_DEP_2) | instskip(NEXT) | instid1(VALU_DEP_2)
	v_and_b32_e32 v64, 0x80, v64
	v_or_b32_e32 v65, v65, v66
	s_delay_alu instid0(VALU_DEP_1) | instskip(SKIP_1) | instid1(VALU_DEP_1)
	v_cmp_ne_u32_e32 vcc_lo, 0, v65
	v_and_b32_e32 v128, 3, v66
	v_or3_b32 v64, v67, v64, v128
	s_delay_alu instid0(VALU_DEP_1)
	v_cndmask_b32_e32 v65, 0, v64, vcc_lo
.LBB2_1108:                             ;   in Loop: Header=BB2_1087 Depth=3
	s_or_b32 exec_lo, exec_lo, s35
.LBB2_1109:                             ;   in Loop: Header=BB2_1087 Depth=3
	s_delay_alu instid0(SALU_CYCLE_1) | instskip(SKIP_2) | instid1(VALU_DEP_1)
	s_or_b32 exec_lo, exec_lo, s34
	v_sub_nc_u32_e32 v2, v2, v87
	v_add_co_u32 v54, s13, v54, v102
	v_add_co_ci_u32_e64 v55, s13, v55, v103, s13
	s_delay_alu instid0(VALU_DEP_3) | instskip(SKIP_2) | instid1(SALU_CYCLE_1)
	v_cmp_gt_i32_e32 vcc_lo, 1, v2
	flat_store_b8 v[10:11], v65 glc slc dlc
	s_or_b32 s31, vcc_lo, s31
	s_and_not1_b32 exec_lo, exec_lo, s31
	s_cbranch_execnz .LBB2_1087
	s_branch .LBB2_1114
.LBB2_1110:                             ;   in Loop: Header=BB2_1087 Depth=3
	s_mov_b32 s13, -1
	s_mov_b32 s36, exec_lo
                                        ; implicit-def: $sgpr34
	v_cmpx_eq_u16_e32 0x80, v65
; %bb.1111:                             ;   in Loop: Header=BB2_1087 Depth=3
	s_mov_b32 s34, 0x7f800001
	s_xor_b32 s13, exec_lo, -1
; %bb.1112:                             ;   in Loop: Header=BB2_1087 Depth=3
	s_or_b32 exec_lo, exec_lo, s36
	s_delay_alu instid0(SALU_CYCLE_1)
	s_and_b32 s13, s13, exec_lo
	s_or_saveexec_b32 s35, s35
	v_mov_b32_e32 v66, s34
	s_xor_b32 exec_lo, exec_lo, s35
	s_cbranch_execz .LBB2_1099
.LBB2_1113:                             ;   in Loop: Header=BB2_1087 Depth=3
	v_cmp_ne_u16_e32 vcc_lo, 0, v65
	v_mov_b32_e32 v66, 0
	s_and_not1_b32 s13, s13, exec_lo
	s_and_b32 vcc_lo, vcc_lo, exec_lo
	s_delay_alu instid0(SALU_CYCLE_1)
	s_or_b32 s13, s13, vcc_lo
	s_or_b32 exec_lo, exec_lo, s35
	s_and_saveexec_b32 s34, s13
	s_cbranch_execnz .LBB2_1100
	s_branch .LBB2_1101
.LBB2_1114:                             ;   in Loop: Header=BB2_59 Depth=2
	s_or_b32 exec_lo, exec_lo, s30
.LBB2_1115:                             ;   in Loop: Header=BB2_59 Depth=2
	s_delay_alu instid0(SALU_CYCLE_1)
	s_or_b32 exec_lo, exec_lo, s14
	v_readlane_b32 s35, v46, 5
	v_readlane_b32 s34, v46, 4
	;; [unrolled: 1-line block ×6, first 2 shown]
.LBB2_1116:                             ;   in Loop: Header=BB2_59 Depth=2
	s_and_saveexec_b32 s13, s3
	s_cbranch_execz .LBB2_1138
; %bb.1117:                             ;   in Loop: Header=BB2_59 Depth=2
	s_and_saveexec_b32 vcc_lo, s4
	s_delay_alu instid0(SALU_CYCLE_1)
	s_xor_b32 s37, exec_lo, vcc_lo
	s_cbranch_execz .LBB2_1135
; %bb.1118:                             ;   in Loop: Header=BB2_59 Depth=2
	s_and_saveexec_b32 s38, s1
	s_cbranch_execz .LBB2_1134
; %bb.1119:                             ;   in Loop: Header=BB2_59 Depth=2
	s_mov_b32 s40, exec_lo
	s_mov_b32 s39, exec_lo
	v_mbcnt_lo_u32_b32 v2, s40, 0
	s_waitcnt lgkmcnt(0)
	s_waitcnt_vscnt null, 0x0
	buffer_gl1_inv
	buffer_gl0_inv
	v_cmpx_eq_u32_e32 0, v2
	s_cbranch_execz .LBB2_1121
; %bb.1120:                             ;   in Loop: Header=BB2_59 Depth=2
	s_bcnt1_i32_b32 vcc_lo, s40
	s_delay_alu instid0(SALU_CYCLE_1)
	v_mov_b32_e32 v2, vcc_lo
	ds_add_u64 v0, v[2:3]
	s_cbranch_execz .LBB2_1121
; %bb.8009:
	s_getpc_b64 s[48:49]
.Lpost_getpc37:
	s_add_u32 s48, s48, (.LBB2_7569-.Lpost_getpc37)&4294967295
	s_addc_u32 s49, s49, (.LBB2_7569-.Lpost_getpc37)>>32
	s_setpc_b64 s[48:49]
.LBB2_1121:                             ;   in Loop: Header=BB2_59 Depth=2
	s_or_b32 exec_lo, exec_lo, s39
	s_cbranch_execz .LBB2_1122
; %bb.8011:
	s_getpc_b64 s[48:49]
.Lpost_getpc38:
	s_add_u32 s48, s48, (.LBB2_7543-.Lpost_getpc38)&4294967295
	s_addc_u32 s49, s49, (.LBB2_7543-.Lpost_getpc38)>>32
	s_setpc_b64 s[48:49]
.LBB2_1122:                             ;   in Loop: Header=BB2_59 Depth=2
	ds_load_b64 v[8:9], v0
	v_add_co_u32 v12, vcc_lo, v12, v71
	v_add_co_ci_u32_e32 v13, vcc_lo, 0, v13, vcc_lo
	s_mov_b32 s39, exec_lo
	s_waitcnt lgkmcnt(0)
	s_delay_alu instid0(VALU_DEP_1)
	v_cmpx_lt_u64_e64 v[8:9], v[12:13]
	s_cbranch_execz .LBB2_1133
; %bb.1123:                             ;   in Loop: Header=BB2_59 Depth=2
	s_mov_b32 s40, 0
	s_mov_b32 s43, 0
                                        ; implicit-def: $sgpr41
                                        ; implicit-def: $sgpr42
	s_branch .LBB2_1125
.LBB2_1124:                             ;   in Loop: Header=BB2_1125 Depth=3
	s_or_b32 exec_lo, exec_lo, s45
	s_delay_alu instid0(SALU_CYCLE_1) | instskip(NEXT) | instid1(SALU_CYCLE_1)
	s_and_b32 vcc_lo, exec_lo, vcc_lo
	s_or_b32 s40, vcc_lo, s40
	s_and_not1_b32 vcc_lo, s41, exec_lo
	s_and_b32 s41, s42, exec_lo
	s_delay_alu instid0(SALU_CYCLE_1)
	s_or_b32 s41, vcc_lo, s41
	s_and_not1_b32 exec_lo, exec_lo, s40
	s_cbranch_execz .LBB2_1131
.LBB2_1125:                             ;   Parent Loop BB2_51 Depth=1
                                        ;     Parent Loop BB2_59 Depth=2
                                        ; =>    This Inner Loop Header: Depth=3
	s_add_i32 s43, s43, 1
                                        ; implicit-def: $sgpr45
	s_delay_alu instid0(SALU_CYCLE_1) | instskip(SKIP_1) | instid1(SALU_CYCLE_1)
	s_cmpk_lg_i32 s43, 0x2710
	s_cselect_b32 s44, -1, 0
	s_and_b32 vcc_lo, exec_lo, s44
	s_cbranch_vccz .LBB2_1129
.LBB2_1126:                             ;   in Loop: Header=BB2_1125 Depth=3
	s_and_not1_b32 s42, s42, exec_lo
	s_and_b32 s45, s45, exec_lo
	s_mov_b32 vcc_lo, -1
	s_or_b32 s42, s42, s45
	s_and_saveexec_b32 s45, s44
	s_cbranch_execz .LBB2_1124
; %bb.1127:                             ;   in Loop: Header=BB2_1125 Depth=3
	s_sleep 1
	s_cbranch_execz .LBB2_1128
; %bb.8013:
	s_getpc_b64 s[48:49]
.Lpost_getpc39:
	s_add_u32 s48, s48, (.LBB2_7617-.Lpost_getpc39)&4294967295
	s_addc_u32 s49, s49, (.LBB2_7617-.Lpost_getpc39)>>32
	s_setpc_b64 s[48:49]
.LBB2_1128:                             ;   in Loop: Header=BB2_1125 Depth=3
	ds_load_b64 v[8:9], v0
	s_and_not1_b32 s42, s42, exec_lo
	s_waitcnt lgkmcnt(0)
	v_cmp_ge_u64_e32 vcc_lo, v[8:9], v[12:13]
	s_or_not1_b32 vcc_lo, vcc_lo, exec_lo
	s_branch .LBB2_1124
.LBB2_1129:                             ;   in Loop: Header=BB2_1125 Depth=3
	s_cbranch_execz .LBB2_1130
; %bb.8015:
	s_getpc_b64 s[48:49]
.Lpost_getpc40:
	s_add_u32 s48, s48, (.LBB2_7637-.Lpost_getpc40)&4294967295
	s_addc_u32 s49, s49, (.LBB2_7637-.Lpost_getpc40)>>32
	s_setpc_b64 s[48:49]
.LBB2_1130:                             ;   in Loop: Header=BB2_1125 Depth=3
	ds_load_b64 v[8:9], v0
	s_and_not1_b32 s44, s44, exec_lo
	s_mov_b32 s43, 0
	s_mov_b32 s45, -1
	s_waitcnt lgkmcnt(0)
	flat_load_b32 v2, v[8:9] glc
	s_waitcnt vmcnt(0) lgkmcnt(0)
	buffer_gl1_inv
	buffer_gl0_inv
	v_cmp_eq_u32_e32 vcc_lo, 0, v2
	s_and_b32 vcc_lo, vcc_lo, exec_lo
	s_delay_alu instid0(SALU_CYCLE_1)
	s_or_b32 s44, s44, vcc_lo
	s_branch .LBB2_1126
.LBB2_1131:                             ;   in Loop: Header=BB2_59 Depth=2
	s_or_b32 exec_lo, exec_lo, s40
	s_and_saveexec_b32 vcc_lo, s41
	s_delay_alu instid0(SALU_CYCLE_1)
	s_xor_b32 vcc_lo, exec_lo, vcc_lo
	s_cbranch_execz .LBB2_1133
; %bb.1132:                             ;   in Loop: Header=BB2_59 Depth=2
	ds_store_b32 v0, v115
	s_cbranch_execz .LBB2_1133
; %bb.8017:
	s_getpc_b64 s[48:49]
.Lpost_getpc41:
	s_add_u32 s48, s48, (.LBB2_7855-.Lpost_getpc41)&4294967295
	s_addc_u32 s49, s49, (.LBB2_7855-.Lpost_getpc41)>>32
	s_setpc_b64 s[48:49]
.LBB2_1133:                             ;   in Loop: Header=BB2_59 Depth=2
	s_or_b32 exec_lo, exec_lo, s39
	;;#ASMSTART
	s_wakeup
	;;#ASMEND
.LBB2_1134:                             ;   in Loop: Header=BB2_59 Depth=2
	s_or_b32 exec_lo, exec_lo, s38
.LBB2_1135:                             ;   in Loop: Header=BB2_59 Depth=2
	s_and_not1_saveexec_b32 vcc_lo, s37
	s_cbranch_execz .LBB2_1137
; %bb.1136:                             ;   in Loop: Header=BB2_59 Depth=2
	s_waitcnt lgkmcnt(0)
	s_waitcnt_vscnt null, 0x0
	buffer_gl1_inv
	buffer_gl0_inv
	s_barrier
.LBB2_1137:                             ;   in Loop: Header=BB2_59 Depth=2
	s_or_b32 exec_lo, exec_lo, vcc_lo
.LBB2_1138:                             ;   in Loop: Header=BB2_59 Depth=2
	s_delay_alu instid0(SALU_CYCLE_1) | instskip(SKIP_1) | instid1(SALU_CYCLE_1)
	s_or_b32 exec_lo, exec_lo, s13
                                        ; implicit-def: $vgpr2
	s_and_saveexec_b32 s13, s7
	s_xor_b32 s37, exec_lo, s13
	s_cbranch_execz .LBB2_1142
; %bb.1139:                             ;   in Loop: Header=BB2_59 Depth=2
	v_and_b32_e32 v2, 16, v30
	v_cmp_lt_i32_e32 vcc_lo, 0, v51
	s_delay_alu instid0(VALU_DEP_2) | instskip(SKIP_1) | instid1(VALU_DEP_2)
	v_cmp_ne_u32_e64 s13, 0, v2
	v_and_b32_e32 v2, 16, v30
	s_and_b32 vcc_lo, s13, vcc_lo
	s_delay_alu instid0(SALU_CYCLE_1)
	s_and_saveexec_b32 s13, vcc_lo
	s_cbranch_execz .LBB2_1141
; %bb.1140:                             ;   in Loop: Header=BB2_59 Depth=2
	v_mov_b32_e32 v2, 1
	s_waitcnt lgkmcnt(0)
	s_waitcnt_vscnt null, 0x0
	buffer_gl1_inv
	buffer_gl0_inv
.LBB2_1141:                             ;   in Loop: Header=BB2_59 Depth=2
	s_or_b32 exec_lo, exec_lo, s13
.LBB2_1142:                             ;   in Loop: Header=BB2_59 Depth=2
	s_and_not1_saveexec_b32 s13, s37
	s_cbranch_execz .LBB2_1164
; %bb.1143:                             ;   in Loop: Header=BB2_59 Depth=2
	s_and_saveexec_b32 vcc_lo, s4
	s_delay_alu instid0(SALU_CYCLE_1)
	s_xor_b32 s37, exec_lo, vcc_lo
	s_cbranch_execz .LBB2_1161
; %bb.1144:                             ;   in Loop: Header=BB2_59 Depth=2
	s_and_saveexec_b32 s38, s1
	s_cbranch_execz .LBB2_1160
; %bb.1145:                             ;   in Loop: Header=BB2_59 Depth=2
	s_mov_b32 s40, exec_lo
	s_mov_b32 s39, exec_lo
	v_mbcnt_lo_u32_b32 v2, s40, 0
	;;#ASMSTART
	s_waitcnt lgkmcnt(0) vmcnt(0)
	;;#ASMEND
	s_delay_alu instid0(VALU_DEP_1)
	v_cmpx_eq_u32_e32 0, v2
	s_cbranch_execz .LBB2_1147
; %bb.1146:                             ;   in Loop: Header=BB2_59 Depth=2
	s_bcnt1_i32_b32 vcc_lo, s40
	s_delay_alu instid0(SALU_CYCLE_1)
	v_mov_b32_e32 v2, vcc_lo
	ds_add_u64 v0, v[2:3]
	s_cbranch_execz .LBB2_1147
; %bb.8019:
	s_getpc_b64 s[48:49]
.Lpost_getpc42:
	s_add_u32 s48, s48, (.LBB2_7575-.Lpost_getpc42)&4294967295
	s_addc_u32 s49, s49, (.LBB2_7575-.Lpost_getpc42)>>32
	s_setpc_b64 s[48:49]
.LBB2_1147:                             ;   in Loop: Header=BB2_59 Depth=2
	s_or_b32 exec_lo, exec_lo, s39
	s_cbranch_execz .LBB2_1148
; %bb.8021:
	s_getpc_b64 s[48:49]
.Lpost_getpc43:
	s_add_u32 s48, s48, (.LBB2_7553-.Lpost_getpc43)&4294967295
	s_addc_u32 s49, s49, (.LBB2_7553-.Lpost_getpc43)>>32
	s_setpc_b64 s[48:49]
.LBB2_1148:                             ;   in Loop: Header=BB2_59 Depth=2
	ds_load_b64 v[8:9], v0
	v_add_co_u32 v12, vcc_lo, v12, v71
	v_add_co_ci_u32_e32 v13, vcc_lo, 0, v13, vcc_lo
	s_mov_b32 s39, exec_lo
	s_waitcnt lgkmcnt(0)
	s_delay_alu instid0(VALU_DEP_1)
	v_cmpx_lt_u64_e64 v[8:9], v[12:13]
	s_cbranch_execz .LBB2_1159
; %bb.1149:                             ;   in Loop: Header=BB2_59 Depth=2
	s_mov_b32 s40, 0
	s_mov_b32 s43, 0
                                        ; implicit-def: $sgpr41
                                        ; implicit-def: $sgpr42
	s_branch .LBB2_1151
.LBB2_1150:                             ;   in Loop: Header=BB2_1151 Depth=3
	s_or_b32 exec_lo, exec_lo, s45
	s_delay_alu instid0(SALU_CYCLE_1) | instskip(NEXT) | instid1(SALU_CYCLE_1)
	s_and_b32 vcc_lo, exec_lo, vcc_lo
	s_or_b32 s40, vcc_lo, s40
	s_and_not1_b32 vcc_lo, s41, exec_lo
	s_and_b32 s41, s42, exec_lo
	s_delay_alu instid0(SALU_CYCLE_1)
	s_or_b32 s41, vcc_lo, s41
	s_and_not1_b32 exec_lo, exec_lo, s40
	s_cbranch_execz .LBB2_1157
.LBB2_1151:                             ;   Parent Loop BB2_51 Depth=1
                                        ;     Parent Loop BB2_59 Depth=2
                                        ; =>    This Inner Loop Header: Depth=3
	s_add_i32 s43, s43, 1
                                        ; implicit-def: $sgpr45
	s_delay_alu instid0(SALU_CYCLE_1) | instskip(SKIP_1) | instid1(SALU_CYCLE_1)
	s_cmpk_lg_i32 s43, 0x2710
	s_cselect_b32 s44, -1, 0
	s_and_b32 vcc_lo, exec_lo, s44
	s_cbranch_vccz .LBB2_1155
.LBB2_1152:                             ;   in Loop: Header=BB2_1151 Depth=3
	s_and_not1_b32 s42, s42, exec_lo
	s_and_b32 s45, s45, exec_lo
	s_mov_b32 vcc_lo, -1
	s_or_b32 s42, s42, s45
	s_and_saveexec_b32 s45, s44
	s_cbranch_execz .LBB2_1150
; %bb.1153:                             ;   in Loop: Header=BB2_1151 Depth=3
	s_sleep 1
	s_cbranch_execz .LBB2_1154
; %bb.8023:
	s_getpc_b64 s[48:49]
.Lpost_getpc44:
	s_add_u32 s48, s48, (.LBB2_7623-.Lpost_getpc44)&4294967295
	s_addc_u32 s49, s49, (.LBB2_7623-.Lpost_getpc44)>>32
	s_setpc_b64 s[48:49]
.LBB2_1154:                             ;   in Loop: Header=BB2_1151 Depth=3
	ds_load_b64 v[8:9], v0
	s_and_not1_b32 s42, s42, exec_lo
	s_waitcnt lgkmcnt(0)
	v_cmp_ge_u64_e32 vcc_lo, v[8:9], v[12:13]
	s_or_not1_b32 vcc_lo, vcc_lo, exec_lo
	s_branch .LBB2_1150
.LBB2_1155:                             ;   in Loop: Header=BB2_1151 Depth=3
	s_cbranch_execz .LBB2_1156
; %bb.8025:
	s_getpc_b64 s[48:49]
.Lpost_getpc45:
	s_add_u32 s48, s48, (.LBB2_7643-.Lpost_getpc45)&4294967295
	s_addc_u32 s49, s49, (.LBB2_7643-.Lpost_getpc45)>>32
	s_setpc_b64 s[48:49]
.LBB2_1156:                             ;   in Loop: Header=BB2_1151 Depth=3
	ds_load_b64 v[8:9], v0
	s_and_not1_b32 s44, s44, exec_lo
	s_mov_b32 s43, 0
	s_mov_b32 s45, -1
	s_waitcnt lgkmcnt(0)
	s_waitcnt_vscnt null, 0x0
	flat_load_b32 v2, v[8:9] glc
	s_waitcnt vmcnt(0) lgkmcnt(0)
	buffer_gl1_inv
	buffer_gl0_inv
	v_cmp_eq_u32_e32 vcc_lo, 0, v2
	s_and_b32 vcc_lo, vcc_lo, exec_lo
	s_delay_alu instid0(SALU_CYCLE_1)
	s_or_b32 s44, s44, vcc_lo
	s_branch .LBB2_1152
.LBB2_1157:                             ;   in Loop: Header=BB2_59 Depth=2
	s_or_b32 exec_lo, exec_lo, s40
	s_and_saveexec_b32 vcc_lo, s41
	s_delay_alu instid0(SALU_CYCLE_1)
	s_xor_b32 vcc_lo, exec_lo, vcc_lo
	s_cbranch_execz .LBB2_1159
; %bb.1158:                             ;   in Loop: Header=BB2_59 Depth=2
	ds_store_b32 v0, v115
	s_cbranch_execz .LBB2_1159
; %bb.8027:
	s_getpc_b64 s[48:49]
.Lpost_getpc46:
	s_add_u32 s48, s48, (.LBB2_7857-.Lpost_getpc46)&4294967295
	s_addc_u32 s49, s49, (.LBB2_7857-.Lpost_getpc46)>>32
	s_setpc_b64 s[48:49]
.LBB2_1159:                             ;   in Loop: Header=BB2_59 Depth=2
	s_or_b32 exec_lo, exec_lo, s39
	;;#ASMSTART
	s_wakeup
	;;#ASMEND
.LBB2_1160:                             ;   in Loop: Header=BB2_59 Depth=2
	s_or_b32 exec_lo, exec_lo, s38
.LBB2_1161:                             ;   in Loop: Header=BB2_59 Depth=2
	s_and_not1_saveexec_b32 vcc_lo, s37
	s_cbranch_execz .LBB2_1163
; %bb.1162:                             ;   in Loop: Header=BB2_59 Depth=2
	;;#ASMSTART
	s_waitcnt lgkmcnt(0) vmcnt(0)
	;;#ASMEND
	s_waitcnt lgkmcnt(0)
	s_waitcnt_vscnt null, 0x0
	s_barrier
.LBB2_1163:                             ;   in Loop: Header=BB2_59 Depth=2
	s_or_b32 exec_lo, exec_lo, vcc_lo
	v_and_b32_e32 v2, 16, v30
.LBB2_1164:                             ;   in Loop: Header=BB2_59 Depth=2
	s_or_b32 exec_lo, exec_lo, s13
	s_delay_alu instid0(SALU_CYCLE_1) | instskip(NEXT) | instid1(VALU_DEP_1)
	s_mov_b32 s13, exec_lo
	v_cmpx_ne_u32_e32 0, v2
	s_cbranch_execz .LBB2_1168
; %bb.1165:                             ;   in Loop: Header=BB2_59 Depth=2
	s_and_saveexec_b32 vcc_lo, s11
	s_cbranch_execz .LBB2_1167
; %bb.1166:                             ;   in Loop: Header=BB2_59 Depth=2
	s_waitcnt lgkmcnt(0)
	s_waitcnt_vscnt null, 0x0
	flat_store_b32 v[26:27], v115
.LBB2_1167:                             ;   in Loop: Header=BB2_59 Depth=2
	s_or_b32 exec_lo, exec_lo, vcc_lo
	v_add_co_u32 v22, vcc_lo, v22, 2
	v_add_co_ci_u32_e32 v23, vcc_lo, 0, v23, vcc_lo
	s_waitcnt lgkmcnt(0)
	s_waitcnt_vscnt null, 0x0
	flat_store_b64 v[20:21], v[22:23]
.LBB2_1168:                             ;   in Loop: Header=BB2_59 Depth=2
	s_or_b32 exec_lo, exec_lo, s13
	v_dual_mov_b32 v2, s36 :: v_dual_add_nc_u32 v119, v50, v119
	s_xor_b32 s13, s17, -1
	s_mov_b32 s17, 0
	s_mov_b32 s36, 2
	s_delay_alu instid0(VALU_DEP_1) | instskip(SKIP_1) | instid1(SALU_CYCLE_1)
	v_cmp_ge_i32_e32 vcc_lo, v119, v118
	s_or_b32 s13, s13, vcc_lo
	s_and_b32 s13, exec_lo, s13
	s_delay_alu instid0(SALU_CYCLE_1) | instskip(NEXT) | instid1(SALU_CYCLE_1)
	s_or_b32 s16, s13, s16
	s_and_not1_b32 exec_lo, exec_lo, s16
	s_cbranch_execnz .LBB2_59
; %bb.1169:                             ;   in Loop: Header=BB2_51 Depth=1
	s_or_b32 exec_lo, exec_lo, s16
.LBB2_1170:                             ;   in Loop: Header=BB2_51 Depth=1
	s_delay_alu instid0(SALU_CYCLE_1) | instskip(NEXT) | instid1(SALU_CYCLE_1)
	s_or_b32 exec_lo, exec_lo, s15
	s_mov_b32 s15, exec_lo
	v_cmpx_gt_i32_e32 2, v2
	s_cbranch_execz .LBB2_1251
; %bb.1171:                             ;   in Loop: Header=BB2_51 Depth=1
	v_cmp_eq_u32_e64 s13, 0, v2
	s_mov_b32 s16, 0
.LBB2_1172:                             ;   Parent Loop BB2_51 Depth=1
                                        ; =>  This Loop Header: Depth=2
                                        ;       Child Loop BB2_1178 Depth 3
                                        ;       Child Loop BB2_1205 Depth 3
                                        ;       Child Loop BB2_1232 Depth 3
	v_and_b32_e32 v2, 8, v30
	s_mov_b32 s36, -1
	s_mov_b32 s17, exec_lo
	s_delay_alu instid0(VALU_DEP_1)
	v_cmpx_ne_u32_e32 0, v2
	s_cbranch_execz .LBB2_1186
; %bb.1173:                             ;   in Loop: Header=BB2_1172 Depth=2
	v_add_co_u32 v10, vcc_lo, v28, 8
	v_add_co_ci_u32_e32 v11, vcc_lo, 0, v29, vcc_lo
	v_add_co_u32 v8, vcc_lo, v22, 2
	v_add_co_ci_u32_e32 v9, vcc_lo, 0, v23, vcc_lo
	v_mov_b32_e32 v2, 1
	s_mov_b32 s36, exec_lo
	s_delay_alu instid0(VALU_DEP_2)
	v_cmpx_lt_u64_e64 v[10:11], v[8:9]
	s_cbranch_execz .LBB2_1185
; %bb.1174:                             ;   in Loop: Header=BB2_1172 Depth=2
	v_mov_b32_e32 v2, 0
	s_mov_b32 s37, 0
                                        ; implicit-def: $sgpr38
	s_branch .LBB2_1178
.LBB2_1175:                             ;   in Loop: Header=BB2_1178 Depth=3
	s_or_b32 exec_lo, exec_lo, s42
	v_mov_b32_e32 v10, 0
	s_or_not1_b32 s41, s41, exec_lo
.LBB2_1176:                             ;   in Loop: Header=BB2_1178 Depth=3
	s_or_b32 exec_lo, exec_lo, s40
	s_delay_alu instid0(VALU_DEP_1) | instskip(SKIP_2) | instid1(SALU_CYCLE_1)
	v_mov_b32_e32 v2, v10
	s_and_not1_b32 vcc_lo, s38, exec_lo
	s_and_b32 s38, s41, exec_lo
	s_or_b32 s38, vcc_lo, s38
.LBB2_1177:                             ;   in Loop: Header=BB2_1178 Depth=3
	s_or_b32 exec_lo, exec_lo, s39
	s_waitcnt vmcnt(0) lgkmcnt(0)
	v_add_co_u32 v10, vcc_lo, v28, 8
	v_add_co_ci_u32_e32 v11, vcc_lo, 0, v29, vcc_lo
	s_xor_b32 s39, s38, -1
	s_delay_alu instid0(VALU_DEP_1) | instskip(SKIP_1) | instid1(SALU_CYCLE_1)
	v_cmp_ge_u64_e32 vcc_lo, v[10:11], v[8:9]
	s_or_b32 vcc_lo, s39, vcc_lo
	s_and_b32 vcc_lo, exec_lo, vcc_lo
	s_delay_alu instid0(SALU_CYCLE_1) | instskip(NEXT) | instid1(SALU_CYCLE_1)
	s_or_b32 s37, vcc_lo, s37
	s_and_not1_b32 exec_lo, exec_lo, s37
	s_cbranch_execz .LBB2_1184
.LBB2_1178:                             ;   Parent Loop BB2_51 Depth=1
                                        ;     Parent Loop BB2_1172 Depth=2
                                        ; =>    This Inner Loop Header: Depth=3
	s_sleep 1
	flat_load_b64 v[28:29], v[20:21] glc
	v_and_b32_e32 v10, 64, v30
	s_and_not1_b32 s38, s38, exec_lo
	s_mov_b32 s39, exec_lo
	s_delay_alu instid0(VALU_DEP_1)
	v_cmpx_eq_u32_e32 0, v10
	s_cbranch_execz .LBB2_1177
; %bb.1179:                             ;   in Loop: Header=BB2_1178 Depth=3
	v_add_nc_u32_e32 v10, 1, v2
	s_mov_b32 s41, -1
	s_mov_b32 s40, exec_lo
	v_cmpx_lt_i32_e32 0x270e, v2
	s_cbranch_execz .LBB2_1176
; %bb.1180:                             ;   in Loop: Header=BB2_1178 Depth=3
	s_cbranch_execz .LBB2_1181
; %bb.8029:
	s_getpc_b64 s[48:49]
.Lpost_getpc47:
	s_add_u32 s48, s48, (.LBB2_7444-.Lpost_getpc47)&4294967295
	s_addc_u32 s49, s49, (.LBB2_7444-.Lpost_getpc47)>>32
	s_setpc_b64 s[48:49]
.LBB2_1181:                             ;   in Loop: Header=BB2_1178 Depth=3
	ds_load_b64 v[10:11], v0
	s_mov_b32 s42, exec_lo
	s_waitcnt vmcnt(0) lgkmcnt(0)
	s_waitcnt_vscnt null, 0x0
	flat_load_b32 v2, v[10:11] glc
	s_waitcnt vmcnt(0) lgkmcnt(0)
	buffer_gl1_inv
	buffer_gl0_inv
	v_cmpx_ne_u32_e32 0, v2
	s_cbranch_execz .LBB2_1175
; %bb.1182:                             ;   in Loop: Header=BB2_1178 Depth=3
	ds_store_b32 v0, v2
	s_cbranch_execz .LBB2_1183
; %bb.8031:
	s_getpc_b64 s[48:49]
.Lpost_getpc48:
	s_add_u32 s48, s48, (.LBB2_7456-.Lpost_getpc48)&4294967295
	s_addc_u32 s49, s49, (.LBB2_7456-.Lpost_getpc48)>>32
	s_setpc_b64 s[48:49]
.LBB2_1183:                             ;   in Loop: Header=BB2_1178 Depth=3
	v_or_b32_e32 v30, 64, v30
	s_xor_b32 s41, exec_lo, -1
	s_branch .LBB2_1175
.LBB2_1184:                             ;   in Loop: Header=BB2_1172 Depth=2
	s_or_b32 exec_lo, exec_lo, s37
	v_and_b32_e32 v2, 8, v30
.LBB2_1185:                             ;   in Loop: Header=BB2_1172 Depth=2
	s_or_b32 exec_lo, exec_lo, s36
	s_delay_alu instid0(VALU_DEP_1)
	v_cmp_eq_u32_e32 vcc_lo, 0, v2
	;;#ASMSTART
	s_wakeup
	;;#ASMEND
	s_or_not1_b32 s36, vcc_lo, exec_lo
.LBB2_1186:                             ;   in Loop: Header=BB2_1172 Depth=2
	s_or_b32 exec_lo, exec_lo, s17
	v_sub_nc_u32_e32 v2, v118, v119
	s_xor_b32 s13, s13, -1
	s_delay_alu instid0(SALU_CYCLE_1) | instskip(NEXT) | instid1(SALU_CYCLE_1)
	s_and_b32 s13, exec_lo, s13
	s_or_b32 s16, s13, s16
	s_delay_alu instid0(VALU_DEP_1) | instskip(SKIP_1) | instid1(SALU_CYCLE_1)
	v_min_i32_e32 v50, v50, v2
	s_xor_b32 s13, s36, -1
	s_and_saveexec_b32 s17, s13
	s_cbranch_execz .LBB2_1196
; %bb.1187:                             ;   in Loop: Header=BB2_1172 Depth=2
	v_and_b32_e32 v2, 0x100, v30
	s_mov_b32 s13, -1
                                        ; implicit-def: $vgpr8_vgpr9
	s_delay_alu instid0(VALU_DEP_1)
	v_cmp_ne_u32_e32 vcc_lo, 0, v2
	v_and_b32_e32 v2, 7, v22
	s_and_saveexec_b32 s36, vcc_lo
	s_cbranch_execz .LBB2_1191
; %bb.1188:                             ;   in Loop: Header=BB2_1172 Depth=2
	s_delay_alu instid0(VALU_DEP_1)
	v_mad_u64_u32 v[10:11], null, v2, 24, v[6:7]
	v_ashrrev_i32_e32 v51, 31, v50
	flat_load_b32 v8, v[10:11]
	flat_store_b64 v[10:11], v[50:51] offset:8
	s_waitcnt vmcnt(0) lgkmcnt(1)
	v_cmp_ne_u32_e32 vcc_lo, 1, v8
	v_cmp_eq_u32_e64 s13, 1, v8
                                        ; implicit-def: $vgpr8_vgpr9
	s_delay_alu instid0(VALU_DEP_1)
	s_and_saveexec_b32 s37, s13
	s_cbranch_execz .LBB2_1190
; %bb.1189:                             ;   in Loop: Header=BB2_1172 Depth=2
	flat_load_b32 v8, v[10:11] offset:4 glc
	s_waitcnt vmcnt(0) lgkmcnt(0)
	v_ashrrev_i32_e32 v9, 31, v8
.LBB2_1190:                             ;   in Loop: Header=BB2_1172 Depth=2
	s_or_b32 exec_lo, exec_lo, s37
	s_delay_alu instid0(SALU_CYCLE_1)
	s_or_not1_b32 s13, vcc_lo, exec_lo
.LBB2_1191:                             ;   in Loop: Header=BB2_1172 Depth=2
	s_or_b32 exec_lo, exec_lo, s36
	s_and_saveexec_b32 vcc_lo, s13
; %bb.1192:                             ;   in Loop: Header=BB2_1172 Depth=2
	v_mad_i64_i32 v[8:9], null, v2, v68, 0
; %bb.1193:                             ;   in Loop: Header=BB2_1172 Depth=2
	s_or_b32 exec_lo, exec_lo, vcc_lo
	s_delay_alu instid0(VALU_DEP_1) | instskip(SKIP_1) | instid1(VALU_DEP_3)
	v_add_co_u32 v8, vcc_lo, v24, v8
	v_and_b32_e32 v2, 0x2000, v30
	v_add_co_ci_u32_e32 v9, vcc_lo, v25, v9, vcc_lo
	s_mov_b32 s13, exec_lo
	ds_store_b64 v0, v[8:9] offset:784
	v_cmpx_ne_u32_e32 0, v2
	s_cbranch_execz .LBB2_1195
; %bb.1194:                             ;   in Loop: Header=BB2_1172 Depth=2
	ds_load_b64 v[8:9], v0 offset:584
	s_waitcnt lgkmcnt(0)
	v_add_co_u32 v8, vcc_lo, v8, 1
	v_add_co_ci_u32_e32 v9, vcc_lo, 0, v9, vcc_lo
	ds_store_b64 v0, v[8:9] offset:584
.LBB2_1195:                             ;   in Loop: Header=BB2_1172 Depth=2
	s_or_b32 exec_lo, exec_lo, s13
	v_add_co_u32 v22, vcc_lo, v22, 2
	v_add_co_ci_u32_e32 v23, vcc_lo, 0, v23, vcc_lo
.LBB2_1196:                             ;   in Loop: Header=BB2_1172 Depth=2
	s_or_b32 exec_lo, exec_lo, s17
	s_and_saveexec_b32 s13, s3
	s_cbranch_execz .LBB2_1218
; %bb.1197:                             ;   in Loop: Header=BB2_1172 Depth=2
	s_and_saveexec_b32 s17, s4
	s_delay_alu instid0(SALU_CYCLE_1)
	s_xor_b32 s17, exec_lo, s17
	s_cbranch_execz .LBB2_1215
; %bb.1198:                             ;   in Loop: Header=BB2_1172 Depth=2
	s_and_saveexec_b32 s36, s1
	s_cbranch_execz .LBB2_1214
; %bb.1199:                             ;   in Loop: Header=BB2_1172 Depth=2
	s_mov_b32 s38, exec_lo
	s_mov_b32 s37, exec_lo
	v_mbcnt_lo_u32_b32 v2, s38, 0
	s_waitcnt lgkmcnt(0)
	s_waitcnt_vscnt null, 0x0
	buffer_gl1_inv
	buffer_gl0_inv
	v_cmpx_eq_u32_e32 0, v2
	s_cbranch_execz .LBB2_1201
; %bb.1200:                             ;   in Loop: Header=BB2_1172 Depth=2
	s_bcnt1_i32_b32 vcc_lo, s38
	s_delay_alu instid0(SALU_CYCLE_1)
	v_mov_b32_e32 v2, vcc_lo
	ds_add_u64 v0, v[2:3]
	s_cbranch_execz .LBB2_1201
; %bb.8033:
	s_getpc_b64 s[48:49]
.Lpost_getpc49:
	s_add_u32 s48, s48, (.LBB2_7487-.Lpost_getpc49)&4294967295
	s_addc_u32 s49, s49, (.LBB2_7487-.Lpost_getpc49)>>32
	s_setpc_b64 s[48:49]
.LBB2_1201:                             ;   in Loop: Header=BB2_1172 Depth=2
	s_or_b32 exec_lo, exec_lo, s37
	s_cbranch_execz .LBB2_1202
; %bb.8035:
	s_getpc_b64 s[48:49]
.Lpost_getpc50:
	s_add_u32 s48, s48, (.LBB2_7469-.Lpost_getpc50)&4294967295
	s_addc_u32 s49, s49, (.LBB2_7469-.Lpost_getpc50)>>32
	s_setpc_b64 s[48:49]
.LBB2_1202:                             ;   in Loop: Header=BB2_1172 Depth=2
	ds_load_b64 v[8:9], v0
	v_add_co_u32 v12, vcc_lo, v12, v71
	v_add_co_ci_u32_e32 v13, vcc_lo, 0, v13, vcc_lo
	s_mov_b32 s37, exec_lo
	s_waitcnt lgkmcnt(0)
	s_delay_alu instid0(VALU_DEP_1)
	v_cmpx_lt_u64_e64 v[8:9], v[12:13]
	s_cbranch_execz .LBB2_1213
; %bb.1203:                             ;   in Loop: Header=BB2_1172 Depth=2
	s_mov_b32 s38, 0
	s_mov_b32 s41, 0
                                        ; implicit-def: $sgpr39
                                        ; implicit-def: $sgpr40
	s_branch .LBB2_1205
.LBB2_1204:                             ;   in Loop: Header=BB2_1205 Depth=3
	s_or_b32 exec_lo, exec_lo, s43
	s_delay_alu instid0(SALU_CYCLE_1) | instskip(NEXT) | instid1(SALU_CYCLE_1)
	s_and_b32 vcc_lo, exec_lo, vcc_lo
	s_or_b32 s38, vcc_lo, s38
	s_and_not1_b32 vcc_lo, s39, exec_lo
	s_and_b32 s39, s40, exec_lo
	s_delay_alu instid0(SALU_CYCLE_1)
	s_or_b32 s39, vcc_lo, s39
	s_and_not1_b32 exec_lo, exec_lo, s38
	s_cbranch_execz .LBB2_1211
.LBB2_1205:                             ;   Parent Loop BB2_51 Depth=1
                                        ;     Parent Loop BB2_1172 Depth=2
                                        ; =>    This Inner Loop Header: Depth=3
	s_add_i32 s41, s41, 1
                                        ; implicit-def: $sgpr43
	s_delay_alu instid0(SALU_CYCLE_1) | instskip(SKIP_1) | instid1(SALU_CYCLE_1)
	s_cmpk_lg_i32 s41, 0x2710
	s_cselect_b32 s42, -1, 0
	s_and_b32 vcc_lo, exec_lo, s42
	s_cbranch_vccz .LBB2_1209
.LBB2_1206:                             ;   in Loop: Header=BB2_1205 Depth=3
	s_and_not1_b32 s40, s40, exec_lo
	s_and_b32 s43, s43, exec_lo
	s_mov_b32 vcc_lo, -1
	s_or_b32 s40, s40, s43
	s_and_saveexec_b32 s43, s42
	s_cbranch_execz .LBB2_1204
; %bb.1207:                             ;   in Loop: Header=BB2_1205 Depth=3
	s_sleep 1
	s_cbranch_execz .LBB2_1208
; %bb.8037:
	s_getpc_b64 s[48:49]
.Lpost_getpc51:
	s_add_u32 s48, s48, (.LBB2_7517-.Lpost_getpc51)&4294967295
	s_addc_u32 s49, s49, (.LBB2_7517-.Lpost_getpc51)>>32
	s_setpc_b64 s[48:49]
.LBB2_1208:                             ;   in Loop: Header=BB2_1205 Depth=3
	ds_load_b64 v[8:9], v0
	s_and_not1_b32 s40, s40, exec_lo
	s_waitcnt lgkmcnt(0)
	v_cmp_ge_u64_e32 vcc_lo, v[8:9], v[12:13]
	s_or_not1_b32 vcc_lo, vcc_lo, exec_lo
	s_branch .LBB2_1204
.LBB2_1209:                             ;   in Loop: Header=BB2_1205 Depth=3
	s_cbranch_execz .LBB2_1210
; %bb.8039:
	s_getpc_b64 s[48:49]
.Lpost_getpc52:
	s_add_u32 s48, s48, (.LBB2_7523-.Lpost_getpc52)&4294967295
	s_addc_u32 s49, s49, (.LBB2_7523-.Lpost_getpc52)>>32
	s_setpc_b64 s[48:49]
.LBB2_1210:                             ;   in Loop: Header=BB2_1205 Depth=3
	ds_load_b64 v[8:9], v0
	s_and_not1_b32 s42, s42, exec_lo
	s_mov_b32 s41, 0
	s_mov_b32 s43, -1
	s_waitcnt lgkmcnt(0)
	flat_load_b32 v2, v[8:9] glc
	s_waitcnt vmcnt(0) lgkmcnt(0)
	buffer_gl1_inv
	buffer_gl0_inv
	v_cmp_eq_u32_e32 vcc_lo, 0, v2
	s_and_b32 vcc_lo, vcc_lo, exec_lo
	s_delay_alu instid0(SALU_CYCLE_1)
	s_or_b32 s42, s42, vcc_lo
	s_branch .LBB2_1206
.LBB2_1211:                             ;   in Loop: Header=BB2_1172 Depth=2
	s_or_b32 exec_lo, exec_lo, s38
	s_and_saveexec_b32 vcc_lo, s39
	s_delay_alu instid0(SALU_CYCLE_1)
	s_xor_b32 vcc_lo, exec_lo, vcc_lo
	s_cbranch_execz .LBB2_1213
; %bb.1212:                             ;   in Loop: Header=BB2_1172 Depth=2
	ds_store_b32 v0, v115
	s_cbranch_execz .LBB2_1213
; %bb.8041:
	s_getpc_b64 s[48:49]
.Lpost_getpc53:
	s_add_u32 s48, s48, (.LBB2_7741-.Lpost_getpc53)&4294967295
	s_addc_u32 s49, s49, (.LBB2_7741-.Lpost_getpc53)>>32
	s_setpc_b64 s[48:49]
.LBB2_1213:                             ;   in Loop: Header=BB2_1172 Depth=2
	s_or_b32 exec_lo, exec_lo, s37
	;;#ASMSTART
	s_wakeup
	;;#ASMEND
.LBB2_1214:                             ;   in Loop: Header=BB2_1172 Depth=2
	s_or_b32 exec_lo, exec_lo, s36
.LBB2_1215:                             ;   in Loop: Header=BB2_1172 Depth=2
	s_and_not1_saveexec_b32 s17, s17
	s_cbranch_execz .LBB2_1217
; %bb.1216:                             ;   in Loop: Header=BB2_1172 Depth=2
	s_waitcnt lgkmcnt(0)
	s_waitcnt_vscnt null, 0x0
	buffer_gl1_inv
	buffer_gl0_inv
	s_barrier
.LBB2_1217:                             ;   in Loop: Header=BB2_1172 Depth=2
	s_or_b32 exec_lo, exec_lo, s17
.LBB2_1218:                             ;   in Loop: Header=BB2_1172 Depth=2
	s_delay_alu instid0(SALU_CYCLE_1) | instskip(SKIP_1) | instid1(SALU_CYCLE_1)
	s_or_b32 exec_lo, exec_lo, s13
                                        ; implicit-def: $vgpr2
	s_and_saveexec_b32 s13, s7
	s_xor_b32 s17, exec_lo, s13
	s_cbranch_execz .LBB2_1223
; %bb.1219:                             ;   in Loop: Header=BB2_1172 Depth=2
	s_cbranch_execz .LBB2_1220
; %bb.8043:
	s_getpc_b64 s[48:49]
.Lpost_getpc54:
	s_add_u32 s48, s48, (.LBB2_7442-.Lpost_getpc54)&4294967295
	s_addc_u32 s49, s49, (.LBB2_7442-.Lpost_getpc54)>>32
	s_setpc_b64 s[48:49]
.LBB2_1220:                             ;   in Loop: Header=BB2_1172 Depth=2
	ds_load_b32 v2, v0
	v_cmp_lt_i32_e32 vcc_lo, 0, v50
	s_waitcnt lgkmcnt(0)
	v_readfirstlane_b32 s13, v2
	v_and_b32_e32 v2, 16, v30
	s_delay_alu instid0(VALU_DEP_2) | instskip(NEXT) | instid1(VALU_DEP_1)
	s_cmp_eq_u32 s13, 0
	v_cmp_ne_u32_e64 s13, 0, v2
	s_cselect_b32 s36, -1, 0
	v_and_b32_e32 v2, 16, v30
	s_and_b32 vcc_lo, vcc_lo, s36
	s_delay_alu instid0(VALU_DEP_2) | instid1(SALU_CYCLE_1)
	s_and_b32 vcc_lo, s13, vcc_lo
	s_delay_alu instid0(SALU_CYCLE_1)
	s_and_saveexec_b32 s13, vcc_lo
	s_cbranch_execz .LBB2_1222
; %bb.1221:                             ;   in Loop: Header=BB2_1172 Depth=2
	v_mov_b32_e32 v2, 1
	s_waitcnt_vscnt null, 0x0
	buffer_gl1_inv
	buffer_gl0_inv
.LBB2_1222:                             ;   in Loop: Header=BB2_1172 Depth=2
	s_or_b32 exec_lo, exec_lo, s13
.LBB2_1223:                             ;   in Loop: Header=BB2_1172 Depth=2
	s_and_not1_saveexec_b32 s13, s17
	s_cbranch_execz .LBB2_1245
; %bb.1224:                             ;   in Loop: Header=BB2_1172 Depth=2
	s_and_saveexec_b32 s17, s4
	s_delay_alu instid0(SALU_CYCLE_1)
	s_xor_b32 s17, exec_lo, s17
	s_cbranch_execz .LBB2_1242
; %bb.1225:                             ;   in Loop: Header=BB2_1172 Depth=2
	s_and_saveexec_b32 s36, s1
	s_cbranch_execz .LBB2_1241
; %bb.1226:                             ;   in Loop: Header=BB2_1172 Depth=2
	s_mov_b32 s38, exec_lo
	s_mov_b32 s37, exec_lo
	v_mbcnt_lo_u32_b32 v2, s38, 0
	;;#ASMSTART
	s_waitcnt lgkmcnt(0) vmcnt(0)
	;;#ASMEND
	s_delay_alu instid0(VALU_DEP_1)
	v_cmpx_eq_u32_e32 0, v2
	s_cbranch_execz .LBB2_1228
; %bb.1227:                             ;   in Loop: Header=BB2_1172 Depth=2
	s_bcnt1_i32_b32 vcc_lo, s38
	s_delay_alu instid0(SALU_CYCLE_1)
	v_mov_b32_e32 v2, vcc_lo
	ds_add_u64 v0, v[2:3]
	s_cbranch_execz .LBB2_1228
; %bb.8045:
	s_getpc_b64 s[48:49]
.Lpost_getpc55:
	s_add_u32 s48, s48, (.LBB2_7505-.Lpost_getpc55)&4294967295
	s_addc_u32 s49, s49, (.LBB2_7505-.Lpost_getpc55)>>32
	s_setpc_b64 s[48:49]
.LBB2_1228:                             ;   in Loop: Header=BB2_1172 Depth=2
	s_or_b32 exec_lo, exec_lo, s37
	s_cbranch_execz .LBB2_1229
; %bb.8047:
	s_getpc_b64 s[48:49]
.Lpost_getpc56:
	s_add_u32 s48, s48, (.LBB2_7485-.Lpost_getpc56)&4294967295
	s_addc_u32 s49, s49, (.LBB2_7485-.Lpost_getpc56)>>32
	s_setpc_b64 s[48:49]
.LBB2_1229:                             ;   in Loop: Header=BB2_1172 Depth=2
	ds_load_b64 v[8:9], v0
	v_add_co_u32 v12, vcc_lo, v12, v71
	v_add_co_ci_u32_e32 v13, vcc_lo, 0, v13, vcc_lo
	s_mov_b32 s37, exec_lo
	s_waitcnt lgkmcnt(0)
	s_delay_alu instid0(VALU_DEP_1)
	v_cmpx_lt_u64_e64 v[8:9], v[12:13]
	s_cbranch_execz .LBB2_1240
; %bb.1230:                             ;   in Loop: Header=BB2_1172 Depth=2
	s_mov_b32 s38, 0
	s_mov_b32 s41, 0
                                        ; implicit-def: $sgpr39
                                        ; implicit-def: $sgpr40
	s_branch .LBB2_1232
.LBB2_1231:                             ;   in Loop: Header=BB2_1232 Depth=3
	s_or_b32 exec_lo, exec_lo, s43
	s_delay_alu instid0(SALU_CYCLE_1) | instskip(NEXT) | instid1(SALU_CYCLE_1)
	s_and_b32 vcc_lo, exec_lo, vcc_lo
	s_or_b32 s38, vcc_lo, s38
	s_and_not1_b32 vcc_lo, s39, exec_lo
	s_and_b32 s39, s40, exec_lo
	s_delay_alu instid0(SALU_CYCLE_1)
	s_or_b32 s39, vcc_lo, s39
	s_and_not1_b32 exec_lo, exec_lo, s38
	s_cbranch_execz .LBB2_1238
.LBB2_1232:                             ;   Parent Loop BB2_51 Depth=1
                                        ;     Parent Loop BB2_1172 Depth=2
                                        ; =>    This Inner Loop Header: Depth=3
	s_add_i32 s41, s41, 1
                                        ; implicit-def: $sgpr43
	s_delay_alu instid0(SALU_CYCLE_1) | instskip(SKIP_1) | instid1(SALU_CYCLE_1)
	s_cmpk_lg_i32 s41, 0x2710
	s_cselect_b32 s42, -1, 0
	s_and_b32 vcc_lo, exec_lo, s42
	s_cbranch_vccz .LBB2_1236
.LBB2_1233:                             ;   in Loop: Header=BB2_1232 Depth=3
	s_and_not1_b32 s40, s40, exec_lo
	s_and_b32 s43, s43, exec_lo
	s_mov_b32 vcc_lo, -1
	s_or_b32 s40, s40, s43
	s_and_saveexec_b32 s43, s42
	s_cbranch_execz .LBB2_1231
; %bb.1234:                             ;   in Loop: Header=BB2_1232 Depth=3
	s_sleep 1
	s_cbranch_execz .LBB2_1235
; %bb.8049:
	s_getpc_b64 s[48:49]
.Lpost_getpc57:
	s_add_u32 s48, s48, (.LBB2_7531-.Lpost_getpc57)&4294967295
	s_addc_u32 s49, s49, (.LBB2_7531-.Lpost_getpc57)>>32
	s_setpc_b64 s[48:49]
.LBB2_1235:                             ;   in Loop: Header=BB2_1232 Depth=3
	ds_load_b64 v[8:9], v0
	s_and_not1_b32 s40, s40, exec_lo
	s_waitcnt lgkmcnt(0)
	v_cmp_ge_u64_e32 vcc_lo, v[8:9], v[12:13]
	s_or_not1_b32 vcc_lo, vcc_lo, exec_lo
	s_branch .LBB2_1231
.LBB2_1236:                             ;   in Loop: Header=BB2_1232 Depth=3
	s_cbranch_execz .LBB2_1237
; %bb.8051:
	s_getpc_b64 s[48:49]
.Lpost_getpc58:
	s_add_u32 s48, s48, (.LBB2_7541-.Lpost_getpc58)&4294967295
	s_addc_u32 s49, s49, (.LBB2_7541-.Lpost_getpc58)>>32
	s_setpc_b64 s[48:49]
.LBB2_1237:                             ;   in Loop: Header=BB2_1232 Depth=3
	ds_load_b64 v[8:9], v0
	s_and_not1_b32 s42, s42, exec_lo
	s_mov_b32 s41, 0
	s_mov_b32 s43, -1
	s_waitcnt lgkmcnt(0)
	s_waitcnt_vscnt null, 0x0
	flat_load_b32 v2, v[8:9] glc
	s_waitcnt vmcnt(0) lgkmcnt(0)
	buffer_gl1_inv
	buffer_gl0_inv
	v_cmp_eq_u32_e32 vcc_lo, 0, v2
	s_and_b32 vcc_lo, vcc_lo, exec_lo
	s_delay_alu instid0(SALU_CYCLE_1)
	s_or_b32 s42, s42, vcc_lo
	s_branch .LBB2_1233
.LBB2_1238:                             ;   in Loop: Header=BB2_1172 Depth=2
	s_or_b32 exec_lo, exec_lo, s38
	s_and_saveexec_b32 vcc_lo, s39
	s_delay_alu instid0(SALU_CYCLE_1)
	s_xor_b32 vcc_lo, exec_lo, vcc_lo
	s_cbranch_execz .LBB2_1240
; %bb.1239:                             ;   in Loop: Header=BB2_1172 Depth=2
	ds_store_b32 v0, v115
	s_cbranch_execz .LBB2_1240
; %bb.8053:
	s_getpc_b64 s[48:49]
.Lpost_getpc59:
	s_add_u32 s48, s48, (.LBB2_7763-.Lpost_getpc59)&4294967295
	s_addc_u32 s49, s49, (.LBB2_7763-.Lpost_getpc59)>>32
	s_setpc_b64 s[48:49]
.LBB2_1240:                             ;   in Loop: Header=BB2_1172 Depth=2
	s_or_b32 exec_lo, exec_lo, s37
	;;#ASMSTART
	s_wakeup
	;;#ASMEND
.LBB2_1241:                             ;   in Loop: Header=BB2_1172 Depth=2
	s_or_b32 exec_lo, exec_lo, s36
.LBB2_1242:                             ;   in Loop: Header=BB2_1172 Depth=2
	s_and_not1_saveexec_b32 s17, s17
	s_cbranch_execz .LBB2_1244
; %bb.1243:                             ;   in Loop: Header=BB2_1172 Depth=2
	;;#ASMSTART
	s_waitcnt lgkmcnt(0) vmcnt(0)
	;;#ASMEND
	s_waitcnt lgkmcnt(0)
	s_waitcnt_vscnt null, 0x0
	s_barrier
.LBB2_1244:                             ;   in Loop: Header=BB2_1172 Depth=2
	s_or_b32 exec_lo, exec_lo, s17
	v_and_b32_e32 v2, 16, v30
.LBB2_1245:                             ;   in Loop: Header=BB2_1172 Depth=2
	s_or_b32 exec_lo, exec_lo, s13
	s_delay_alu instid0(SALU_CYCLE_1) | instskip(NEXT) | instid1(VALU_DEP_1)
	s_mov_b32 s13, exec_lo
	v_cmpx_ne_u32_e32 0, v2
	s_cbranch_execz .LBB2_1249
; %bb.1246:                             ;   in Loop: Header=BB2_1172 Depth=2
	s_and_saveexec_b32 s17, s11
	s_cbranch_execz .LBB2_1248
; %bb.1247:                             ;   in Loop: Header=BB2_1172 Depth=2
	s_waitcnt lgkmcnt(0)
	s_waitcnt_vscnt null, 0x0
	flat_store_b32 v[26:27], v115
.LBB2_1248:                             ;   in Loop: Header=BB2_1172 Depth=2
	s_or_b32 exec_lo, exec_lo, s17
	v_add_co_u32 v22, vcc_lo, v22, 2
	v_add_co_ci_u32_e32 v23, vcc_lo, 0, v23, vcc_lo
	s_waitcnt lgkmcnt(0)
	s_waitcnt_vscnt null, 0x0
	flat_store_b64 v[20:21], v[22:23]
.LBB2_1249:                             ;   in Loop: Header=BB2_1172 Depth=2
	s_or_b32 exec_lo, exec_lo, s13
	v_add_nc_u32_e32 v119, v50, v119
	s_mov_b32 s13, 0
	s_and_not1_b32 exec_lo, exec_lo, s16
	s_cbranch_execnz .LBB2_1172
; %bb.1250:                             ;   in Loop: Header=BB2_51 Depth=1
	s_or_b32 exec_lo, exec_lo, s16
.LBB2_1251:                             ;   in Loop: Header=BB2_51 Depth=1
	s_delay_alu instid0(SALU_CYCLE_1) | instskip(NEXT) | instid1(SALU_CYCLE_1)
	s_or_b32 exec_lo, exec_lo, s15
	s_and_not1_b32 vcc_lo, exec_lo, s29
	s_cbranch_vccnz .LBB2_3184
; %bb.1252:                             ;   in Loop: Header=BB2_51 Depth=1
	s_mov_b32 s15, 2
.LBB2_1253:                             ;   Parent Loop BB2_51 Depth=1
                                        ; =>  This Loop Header: Depth=2
                                        ;       Child Loop BB2_1255 Depth 3
                                        ;         Child Loop BB2_1264 Depth 4
                                        ;         Child Loop BB2_1296 Depth 4
	;; [unrolled: 1-line block ×9, first 2 shown]
                                        ;       Child Loop BB2_3101 Depth 3
                                        ;         Child Loop BB2_3107 Depth 4
                                        ;         Child Loop BB2_3137 Depth 4
	;; [unrolled: 1-line block ×3, first 2 shown]
	s_delay_alu instid0(SALU_CYCLE_1) | instskip(SKIP_4) | instid1(SALU_CYCLE_1)
	s_sub_i32 s13, s25, s15
	s_mov_b32 s17, 0
	s_cmp_le_i32 s19, s13
	v_mov_b32_e32 v119, 0
	s_cselect_b32 s16, s19, 0
	s_sub_i32 s13, s13, s16
	s_delay_alu instid0(SALU_CYCLE_1) | instskip(SKIP_3) | instid1(VALU_DEP_1)
	s_ashr_i32 s16, s13, 31
	v_mul_lo_u32 v2, v39, s13
	v_mad_u64_u32 v[52:53], null, v38, s13, 0
	v_mul_lo_u32 v8, v38, s16
	v_add3_u32 v53, v53, v8, v2
	s_delay_alu instid0(VALU_DEP_3) | instskip(NEXT) | instid1(VALU_DEP_2)
	v_sub_co_u32 v8, vcc_lo, v48, v52
	v_sub_co_ci_u32_e32 v9, vcc_lo, v49, v53, vcc_lo
	s_delay_alu instid0(VALU_DEP_1) | instskip(SKIP_1) | instid1(VALU_DEP_1)
	v_cmp_lt_i64_e32 vcc_lo, v[38:39], v[8:9]
	v_cndmask_b32_e32 v8, v8, v38, vcc_lo
	v_max_i32_e32 v118, 0, v8
	v_cmp_lt_i32_e32 vcc_lo, 0, v8
	s_delay_alu instid0(VALU_DEP_2) | instskip(SKIP_1) | instid1(VALU_DEP_1)
	v_add_nc_u32_e32 v2, 31, v118
	s_and_b32 s13, s30, vcc_lo
	v_lshrrev_b32_e32 v2, 1, v2
	s_delay_alu instid0(VALU_DEP_1) | instskip(NEXT) | instid1(VALU_DEP_1)
	v_dual_mov_b32 v2, 0 :: v_dual_and_b32 v9, 0x3ffffff0, v2
	v_max_i32_e32 v50, s28, v9
	s_and_saveexec_b32 s16, s13
	s_cbranch_execz .LBB2_3099
; %bb.1254:                             ;   in Loop: Header=BB2_1253 Depth=2
	v_mov_b32_e32 v119, 0
	s_mov_b32 s37, 1
	s_mov_b32 s36, -1
.LBB2_1255:                             ;   Parent Loop BB2_51 Depth=1
                                        ;     Parent Loop BB2_1253 Depth=2
                                        ; =>    This Loop Header: Depth=3
                                        ;         Child Loop BB2_1264 Depth 4
                                        ;         Child Loop BB2_1296 Depth 4
	;; [unrolled: 1-line block ×9, first 2 shown]
	s_and_saveexec_b32 s13, s0
	s_cbranch_execz .LBB2_1258
; %bb.1256:                             ;   in Loop: Header=BB2_1255 Depth=3
	s_cbranch_execz .LBB2_1257
; %bb.8055:
	s_getpc_b64 s[48:49]
.Lpost_getpc60:
	s_add_u32 s48, s48, (.LBB2_7452-.Lpost_getpc60)&4294967295
	s_addc_u32 s49, s49, (.LBB2_7452-.Lpost_getpc60)>>32
	s_setpc_b64 s[48:49]
.LBB2_1257:                             ;   in Loop: Header=BB2_1255 Depth=3
	ds_load_b64 v[8:9], v0
	s_waitcnt lgkmcnt(0)
	v_add_co_u32 v2, vcc_lo, v8, v116
	v_add_co_ci_u32_e32 v8, vcc_lo, v9, v117, vcc_lo
	v_ashrrev_i32_e32 v9, 31, v119
	s_delay_alu instid0(VALU_DEP_3) | instskip(NEXT) | instid1(VALU_DEP_3)
	v_add_co_u32 v2, vcc_lo, v2, v52
	v_add_co_ci_u32_e32 v10, vcc_lo, v8, v53, vcc_lo
	s_delay_alu instid0(VALU_DEP_2) | instskip(NEXT) | instid1(VALU_DEP_2)
	v_add_co_u32 v8, vcc_lo, v2, v119
	v_add_co_ci_u32_e32 v9, vcc_lo, v10, v9, vcc_lo
	v_mov_b32_e32 v2, v3
	ds_store_b64 v0, v[8:9]
	ds_store_b64 v0, v[2:3]
.LBB2_1258:                             ;   in Loop: Header=BB2_1255 Depth=3
	s_or_b32 exec_lo, exec_lo, s13
	v_and_b32_e32 v2, 12, v30
	s_mov_b32 s38, -1
	s_mov_b32 s13, exec_lo
	s_delay_alu instid0(VALU_DEP_1)
	v_cmpx_ne_u32_e32 0, v2
	v_writelane_b32 v46, s36, 10
	v_writelane_b32 v46, s37, 11
	s_cbranch_execz .LBB2_1272
; %bb.1259:                             ;   in Loop: Header=BB2_1255 Depth=3
	v_and_b32_e32 v2, 8, v30
	s_delay_alu instid0(VALU_DEP_1) | instskip(SKIP_3) | instid1(VALU_DEP_1)
	v_add_co_u32 v10, vcc_lo, v28, v2
	v_add_co_ci_u32_e32 v11, vcc_lo, 0, v29, vcc_lo
	v_add_co_u32 v8, vcc_lo, v22, 2
	v_add_co_ci_u32_e32 v9, vcc_lo, 0, v23, vcc_lo
	v_cmp_lt_u64_e32 vcc_lo, v[10:11], v[8:9]
	v_mov_b32_e32 v10, 1
	s_and_saveexec_b32 s36, vcc_lo
	s_cbranch_execz .LBB2_1271
; %bb.1260:                             ;   in Loop: Header=BB2_1255 Depth=3
	v_mov_b32_e32 v10, 0
	s_mov_b32 s37, 0
                                        ; implicit-def: $sgpr38
	s_branch .LBB2_1264
.LBB2_1261:                             ;   in Loop: Header=BB2_1264 Depth=4
	s_or_b32 exec_lo, exec_lo, s42
	v_mov_b32_e32 v11, 0
	s_or_not1_b32 s41, s41, exec_lo
.LBB2_1262:                             ;   in Loop: Header=BB2_1264 Depth=4
	s_or_b32 exec_lo, exec_lo, s40
	s_delay_alu instid0(VALU_DEP_1) | instskip(SKIP_2) | instid1(SALU_CYCLE_1)
	v_mov_b32_e32 v10, v11
	s_and_not1_b32 vcc_lo, s38, exec_lo
	s_and_b32 s38, s41, exec_lo
	s_or_b32 s38, vcc_lo, s38
.LBB2_1263:                             ;   in Loop: Header=BB2_1264 Depth=4
	s_or_b32 exec_lo, exec_lo, s39
	s_waitcnt vmcnt(0) lgkmcnt(0)
	v_add_co_u32 v54, vcc_lo, v28, v2
	v_add_co_ci_u32_e32 v55, vcc_lo, 0, v29, vcc_lo
	s_xor_b32 s39, s38, -1
	s_delay_alu instid0(VALU_DEP_1) | instskip(SKIP_1) | instid1(SALU_CYCLE_1)
	v_cmp_ge_u64_e32 vcc_lo, v[54:55], v[8:9]
	s_or_b32 vcc_lo, s39, vcc_lo
	s_and_b32 vcc_lo, exec_lo, vcc_lo
	s_delay_alu instid0(SALU_CYCLE_1) | instskip(NEXT) | instid1(SALU_CYCLE_1)
	s_or_b32 s37, vcc_lo, s37
	s_and_not1_b32 exec_lo, exec_lo, s37
	s_cbranch_execz .LBB2_1270
.LBB2_1264:                             ;   Parent Loop BB2_51 Depth=1
                                        ;     Parent Loop BB2_1253 Depth=2
                                        ;       Parent Loop BB2_1255 Depth=3
                                        ; =>      This Inner Loop Header: Depth=4
	s_sleep 1
	flat_load_b64 v[28:29], v[20:21] glc
	v_and_b32_e32 v11, 64, v30
	s_and_not1_b32 s38, s38, exec_lo
	s_mov_b32 s39, exec_lo
	s_delay_alu instid0(VALU_DEP_1)
	v_cmpx_eq_u32_e32 0, v11
	s_cbranch_execz .LBB2_1263
; %bb.1265:                             ;   in Loop: Header=BB2_1264 Depth=4
	v_add_nc_u32_e32 v11, 1, v10
	s_mov_b32 s41, -1
	s_mov_b32 s40, exec_lo
	v_cmpx_lt_i32_e32 0x270e, v10
	s_cbranch_execz .LBB2_1262
; %bb.1266:                             ;   in Loop: Header=BB2_1264 Depth=4
	s_cbranch_execz .LBB2_1267
; %bb.8057:
	s_getpc_b64 s[48:49]
.Lpost_getpc61:
	s_add_u32 s48, s48, (.LBB2_7483-.Lpost_getpc61)&4294967295
	s_addc_u32 s49, s49, (.LBB2_7483-.Lpost_getpc61)>>32
	s_setpc_b64 s[48:49]
.LBB2_1267:                             ;   in Loop: Header=BB2_1264 Depth=4
	ds_load_b64 v[10:11], v0
	s_mov_b32 s42, exec_lo
	s_waitcnt vmcnt(0) lgkmcnt(0)
	s_waitcnt_vscnt null, 0x0
	flat_load_b32 v10, v[10:11] glc
	s_waitcnt vmcnt(0) lgkmcnt(0)
	buffer_gl1_inv
	buffer_gl0_inv
	v_cmpx_ne_u32_e32 0, v10
	s_cbranch_execz .LBB2_1261
; %bb.1268:                             ;   in Loop: Header=BB2_1264 Depth=4
	ds_store_b32 v0, v10
	s_cbranch_execz .LBB2_1269
; %bb.8059:
	s_getpc_b64 s[48:49]
.Lpost_getpc62:
	s_add_u32 s48, s48, (.LBB2_7535-.Lpost_getpc62)&4294967295
	s_addc_u32 s49, s49, (.LBB2_7535-.Lpost_getpc62)>>32
	s_setpc_b64 s[48:49]
.LBB2_1269:                             ;   in Loop: Header=BB2_1264 Depth=4
	v_or_b32_e32 v30, 64, v30
	s_xor_b32 s41, exec_lo, -1
	s_branch .LBB2_1261
.LBB2_1270:                             ;   in Loop: Header=BB2_1255 Depth=3
	s_or_b32 exec_lo, exec_lo, s37
	v_and_b32_e32 v10, 12, v30
.LBB2_1271:                             ;   in Loop: Header=BB2_1255 Depth=3
	s_or_b32 exec_lo, exec_lo, s36
	s_delay_alu instid0(VALU_DEP_1)
	v_cmp_eq_u32_e32 vcc_lo, 0, v10
	;;#ASMSTART
	s_wakeup
	;;#ASMEND
	s_or_not1_b32 s38, vcc_lo, exec_lo
.LBB2_1272:                             ;   in Loop: Header=BB2_1255 Depth=3
	s_or_b32 exec_lo, exec_lo, s13
	v_sub_nc_u32_e32 v2, v118, v119
	s_xor_b32 s13, s38, -1
	s_delay_alu instid0(VALU_DEP_1)
	v_min_i32_e32 v50, v50, v2
	s_and_saveexec_b32 s36, s13
	s_cbranch_execz .LBB2_1287
; %bb.1273:                             ;   in Loop: Header=BB2_1255 Depth=3
	v_and_b32_e32 v2, 0x108, v30
	s_mov_b32 s13, exec_lo
	s_delay_alu instid0(VALU_DEP_1)
	v_cmpx_ne_u32_e32 0x108, v2
	s_xor_b32 s13, exec_lo, s13
                                        ; implicit-def: $vgpr8_vgpr9
; %bb.1274:                             ;   in Loop: Header=BB2_1255 Depth=3
	v_and_b32_e32 v8, 7, v22
; %bb.1275:                             ;   in Loop: Header=BB2_1255 Depth=3
	s_and_not1_saveexec_b32 s13, s13
	s_cbranch_execz .LBB2_1277
; %bb.1276:                             ;   in Loop: Header=BB2_1255 Depth=3
	v_and_b32_e32 v8, 7, v22
	v_ashrrev_i32_e32 v51, 31, v50
	s_delay_alu instid0(VALU_DEP_2)
	v_mad_u64_u32 v[9:10], null, v8, 24, v[6:7]
	flat_store_b64 v[9:10], v[50:51] offset:8
.LBB2_1277:                             ;   in Loop: Header=BB2_1255 Depth=3
	s_or_b32 exec_lo, exec_lo, s13
	v_and_b32_e32 v2, 0x100, v30
	s_mov_b32 s13, -1
	s_mov_b32 s37, exec_lo
                                        ; implicit-def: $vgpr9_vgpr10
	s_delay_alu instid0(VALU_DEP_1)
	v_cmpx_ne_u32_e32 0, v2
	s_cbranch_execnz .LBB2_1280
; %bb.1278:                             ;   in Loop: Header=BB2_1255 Depth=3
	s_or_b32 exec_lo, exec_lo, s37
	s_and_saveexec_b32 vcc_lo, s13
	s_cbranch_execnz .LBB2_1283
.LBB2_1279:                             ;   in Loop: Header=BB2_1255 Depth=3
	s_or_b32 exec_lo, exec_lo, vcc_lo
	s_cbranch_execz .LBB2_1284
; %bb.8061:
	s_getpc_b64 s[48:49]
.Lpost_getpc63:
	s_add_u32 s48, s48, (.LBB2_7479-.Lpost_getpc63)&4294967295
	s_addc_u32 s49, s49, (.LBB2_7479-.Lpost_getpc63)>>32
	s_setpc_b64 s[48:49]
.LBB2_1280:                             ;   in Loop: Header=BB2_1255 Depth=3
	v_mad_u64_u32 v[54:55], null, v8, 24, v[6:7]
	s_mov_b32 s38, exec_lo
	s_delay_alu instid0(VALU_DEP_1) | instskip(NEXT) | instid1(VALU_DEP_1)
	v_mov_b32_e32 v2, v55
	v_mad_u64_u32 v[9:10], null, v3, 24, v[2:3]
	s_delay_alu instid0(VALU_DEP_1)
	v_mov_b32_e32 v55, v9
                                        ; implicit-def: $vgpr9_vgpr10
	flat_load_b32 v2, v[54:55]
	s_waitcnt vmcnt(0) lgkmcnt(0)
	v_cmp_ne_u32_e32 vcc_lo, 1, v2
	v_cmpx_eq_u32_e32 1, v2
	s_cbranch_execz .LBB2_1282
; %bb.1281:                             ;   in Loop: Header=BB2_1255 Depth=3
	flat_load_b32 v9, v[54:55] offset:4 glc
	s_waitcnt vmcnt(0) lgkmcnt(0)
	v_ashrrev_i32_e32 v10, 31, v9
.LBB2_1282:                             ;   in Loop: Header=BB2_1255 Depth=3
	s_or_b32 exec_lo, exec_lo, s38
	s_delay_alu instid0(SALU_CYCLE_1)
	s_or_not1_b32 s13, vcc_lo, exec_lo
	s_or_b32 exec_lo, exec_lo, s37
	s_and_saveexec_b32 vcc_lo, s13
	s_cbranch_execz .LBB2_1279
.LBB2_1283:                             ;   in Loop: Header=BB2_1255 Depth=3
	v_mul_lo_u32 v2, v3, v68
	v_mul_lo_u32 v11, v8, v70
	v_mad_u64_u32 v[9:10], null, v8, v68, 0
	s_delay_alu instid0(VALU_DEP_1)
	v_add3_u32 v10, v10, v11, v2
	s_or_b32 exec_lo, exec_lo, vcc_lo
	s_cbranch_execz .LBB2_1284
; %bb.8063:
	s_getpc_b64 s[48:49]
.Lpost_getpc64:
	s_add_u32 s48, s48, (.LBB2_7479-.Lpost_getpc64)&4294967295
	s_addc_u32 s49, s49, (.LBB2_7479-.Lpost_getpc64)>>32
	s_setpc_b64 s[48:49]
.LBB2_1284:                             ;   in Loop: Header=BB2_1255 Depth=3
	s_delay_alu instid0(VALU_DEP_2)
	v_add_co_u32 v8, vcc_lo, v24, v9
	v_and_b32_e32 v2, 0x2000, v30
	v_add_co_ci_u32_e32 v9, vcc_lo, v25, v10, vcc_lo
	s_mov_b32 s13, exec_lo
	ds_store_b64 v0, v[8:9]
	v_cmpx_ne_u32_e32 0, v2
	s_cbranch_execz .LBB2_1286
; %bb.1285:                             ;   in Loop: Header=BB2_1255 Depth=3
	ds_load_b64 v[8:9], v0 offset:584
	s_waitcnt lgkmcnt(0)
	v_add_co_u32 v8, vcc_lo, v8, 1
	v_add_co_ci_u32_e32 v9, vcc_lo, 0, v9, vcc_lo
	ds_store_b64 v0, v[8:9] offset:584
.LBB2_1286:                             ;   in Loop: Header=BB2_1255 Depth=3
	s_or_b32 exec_lo, exec_lo, s13
	v_add_co_u32 v22, vcc_lo, v22, 2
	v_add_co_ci_u32_e32 v23, vcc_lo, 0, v23, vcc_lo
.LBB2_1287:                             ;   in Loop: Header=BB2_1255 Depth=3
	s_or_b32 exec_lo, exec_lo, s36
	s_and_saveexec_b32 s13, s3
	s_cbranch_execz .LBB2_1309
; %bb.1288:                             ;   in Loop: Header=BB2_1255 Depth=3
	s_and_saveexec_b32 vcc_lo, s4
	s_delay_alu instid0(SALU_CYCLE_1)
	s_xor_b32 s36, exec_lo, vcc_lo
	s_cbranch_execz .LBB2_1306
; %bb.1289:                             ;   in Loop: Header=BB2_1255 Depth=3
	s_and_saveexec_b32 s37, s1
	s_cbranch_execz .LBB2_1305
; %bb.1290:                             ;   in Loop: Header=BB2_1255 Depth=3
	s_mov_b32 s39, exec_lo
	s_mov_b32 s38, exec_lo
	v_mbcnt_lo_u32_b32 v2, s39, 0
	s_waitcnt lgkmcnt(0)
	s_waitcnt_vscnt null, 0x0
	buffer_gl1_inv
	buffer_gl0_inv
	v_cmpx_eq_u32_e32 0, v2
	s_cbranch_execz .LBB2_1292
; %bb.1291:                             ;   in Loop: Header=BB2_1255 Depth=3
	s_bcnt1_i32_b32 vcc_lo, s39
	s_delay_alu instid0(SALU_CYCLE_1)
	v_mov_b32_e32 v2, vcc_lo
	ds_add_u64 v0, v[2:3]
	s_cbranch_execz .LBB2_1292
; %bb.8065:
	s_getpc_b64 s[48:49]
.Lpost_getpc65:
	s_add_u32 s48, s48, (.LBB2_7589-.Lpost_getpc65)&4294967295
	s_addc_u32 s49, s49, (.LBB2_7589-.Lpost_getpc65)>>32
	s_setpc_b64 s[48:49]
.LBB2_1292:                             ;   in Loop: Header=BB2_1255 Depth=3
	s_or_b32 exec_lo, exec_lo, s38
	s_cbranch_execz .LBB2_1293
; %bb.8067:
	s_getpc_b64 s[48:49]
.Lpost_getpc66:
	s_add_u32 s48, s48, (.LBB2_7557-.Lpost_getpc66)&4294967295
	s_addc_u32 s49, s49, (.LBB2_7557-.Lpost_getpc66)>>32
	s_setpc_b64 s[48:49]
.LBB2_1293:                             ;   in Loop: Header=BB2_1255 Depth=3
	ds_load_b64 v[8:9], v0
	v_add_co_u32 v12, vcc_lo, v12, v71
	v_add_co_ci_u32_e32 v13, vcc_lo, 0, v13, vcc_lo
	s_mov_b32 s38, exec_lo
	s_waitcnt lgkmcnt(0)
	s_delay_alu instid0(VALU_DEP_1)
	v_cmpx_lt_u64_e64 v[8:9], v[12:13]
	s_cbranch_execz .LBB2_1304
; %bb.1294:                             ;   in Loop: Header=BB2_1255 Depth=3
	s_mov_b32 s39, 0
	s_mov_b32 s42, 0
                                        ; implicit-def: $sgpr40
                                        ; implicit-def: $sgpr41
	s_branch .LBB2_1296
.LBB2_1295:                             ;   in Loop: Header=BB2_1296 Depth=4
	s_or_b32 exec_lo, exec_lo, s44
	s_delay_alu instid0(SALU_CYCLE_1) | instskip(NEXT) | instid1(SALU_CYCLE_1)
	s_and_b32 vcc_lo, exec_lo, vcc_lo
	s_or_b32 s39, vcc_lo, s39
	s_and_not1_b32 vcc_lo, s40, exec_lo
	s_and_b32 s40, s41, exec_lo
	s_delay_alu instid0(SALU_CYCLE_1)
	s_or_b32 s40, vcc_lo, s40
	s_and_not1_b32 exec_lo, exec_lo, s39
	s_cbranch_execz .LBB2_1302
.LBB2_1296:                             ;   Parent Loop BB2_51 Depth=1
                                        ;     Parent Loop BB2_1253 Depth=2
                                        ;       Parent Loop BB2_1255 Depth=3
                                        ; =>      This Inner Loop Header: Depth=4
	s_add_i32 s42, s42, 1
                                        ; implicit-def: $sgpr44
	s_delay_alu instid0(SALU_CYCLE_1) | instskip(SKIP_1) | instid1(SALU_CYCLE_1)
	s_cmpk_lg_i32 s42, 0x2710
	s_cselect_b32 s43, -1, 0
	s_and_b32 vcc_lo, exec_lo, s43
	s_cbranch_vccz .LBB2_1300
.LBB2_1297:                             ;   in Loop: Header=BB2_1296 Depth=4
	s_and_not1_b32 s41, s41, exec_lo
	s_and_b32 s44, s44, exec_lo
	s_mov_b32 vcc_lo, -1
	s_or_b32 s41, s41, s44
	s_and_saveexec_b32 s44, s43
	s_cbranch_execz .LBB2_1295
; %bb.1298:                             ;   in Loop: Header=BB2_1296 Depth=4
	s_sleep 1
	s_cbranch_execz .LBB2_1299
; %bb.8069:
	s_getpc_b64 s[48:49]
.Lpost_getpc67:
	s_add_u32 s48, s48, (.LBB2_7639-.Lpost_getpc67)&4294967295
	s_addc_u32 s49, s49, (.LBB2_7639-.Lpost_getpc67)>>32
	s_setpc_b64 s[48:49]
.LBB2_1299:                             ;   in Loop: Header=BB2_1296 Depth=4
	ds_load_b64 v[8:9], v0
	s_and_not1_b32 s41, s41, exec_lo
	s_waitcnt lgkmcnt(0)
	v_cmp_ge_u64_e32 vcc_lo, v[8:9], v[12:13]
	s_or_not1_b32 vcc_lo, vcc_lo, exec_lo
	s_branch .LBB2_1295
.LBB2_1300:                             ;   in Loop: Header=BB2_1296 Depth=4
	s_cbranch_execz .LBB2_1301
; %bb.8071:
	s_getpc_b64 s[48:49]
.Lpost_getpc68:
	s_add_u32 s48, s48, (.LBB2_7653-.Lpost_getpc68)&4294967295
	s_addc_u32 s49, s49, (.LBB2_7653-.Lpost_getpc68)>>32
	s_setpc_b64 s[48:49]
.LBB2_1301:                             ;   in Loop: Header=BB2_1296 Depth=4
	ds_load_b64 v[8:9], v0
	s_and_not1_b32 s43, s43, exec_lo
	s_mov_b32 s42, 0
	s_mov_b32 s44, -1
	s_waitcnt lgkmcnt(0)
	flat_load_b32 v2, v[8:9] glc
	s_waitcnt vmcnt(0) lgkmcnt(0)
	buffer_gl1_inv
	buffer_gl0_inv
	v_cmp_eq_u32_e32 vcc_lo, 0, v2
	s_and_b32 vcc_lo, vcc_lo, exec_lo
	s_delay_alu instid0(SALU_CYCLE_1)
	s_or_b32 s43, s43, vcc_lo
	s_branch .LBB2_1297
.LBB2_1302:                             ;   in Loop: Header=BB2_1255 Depth=3
	s_or_b32 exec_lo, exec_lo, s39
	s_and_saveexec_b32 vcc_lo, s40
	s_delay_alu instid0(SALU_CYCLE_1)
	s_xor_b32 vcc_lo, exec_lo, vcc_lo
	s_cbranch_execz .LBB2_1304
; %bb.1303:                             ;   in Loop: Header=BB2_1255 Depth=3
	ds_store_b32 v0, v115
	s_cbranch_execz .LBB2_1304
; %bb.8073:
	s_getpc_b64 s[48:49]
.Lpost_getpc69:
	s_add_u32 s48, s48, (.LBB2_7859-.Lpost_getpc69)&4294967295
	s_addc_u32 s49, s49, (.LBB2_7859-.Lpost_getpc69)>>32
	s_setpc_b64 s[48:49]
.LBB2_1304:                             ;   in Loop: Header=BB2_1255 Depth=3
	s_or_b32 exec_lo, exec_lo, s38
	;;#ASMSTART
	s_wakeup
	;;#ASMEND
.LBB2_1305:                             ;   in Loop: Header=BB2_1255 Depth=3
	s_or_b32 exec_lo, exec_lo, s37
.LBB2_1306:                             ;   in Loop: Header=BB2_1255 Depth=3
	s_and_not1_saveexec_b32 vcc_lo, s36
	s_cbranch_execz .LBB2_1308
; %bb.1307:                             ;   in Loop: Header=BB2_1255 Depth=3
	s_waitcnt lgkmcnt(0)
	s_waitcnt_vscnt null, 0x0
	buffer_gl1_inv
	buffer_gl0_inv
	s_barrier
.LBB2_1308:                             ;   in Loop: Header=BB2_1255 Depth=3
	s_or_b32 exec_lo, exec_lo, vcc_lo
.LBB2_1309:                             ;   in Loop: Header=BB2_1255 Depth=3
	v_writelane_b32 v46, s35, 5
	v_writelane_b32 v46, s31, 1
	v_writelane_b32 v46, s30, 2
	v_writelane_b32 v46, s14, 3
	v_writelane_b32 v46, s34, 4
	s_or_b32 exec_lo, exec_lo, s13
	s_cbranch_execz .LBB2_1310
; %bb.8075:
	s_getpc_b64 s[48:49]
.Lpost_getpc70:
	s_add_u32 s48, s48, (.LBB2_7458-.Lpost_getpc70)&4294967295
	s_addc_u32 s49, s49, (.LBB2_7458-.Lpost_getpc70)>>32
	s_setpc_b64 s[48:49]
.LBB2_1310:                             ;   in Loop: Header=BB2_1255 Depth=3
	ds_load_b32 v8, v0
	v_and_b32_e32 v2, 0x4000, v30
	s_xor_b32 s13, s2, -1
	s_delay_alu instid0(VALU_DEP_1) | instskip(SKIP_1) | instid1(SALU_CYCLE_1)
	v_cmp_ne_u32_e32 vcc_lo, 0, v2
	s_and_b32 s14, s13, vcc_lo
	s_and_saveexec_b32 s13, s14
	s_cbranch_execz .LBB2_1332
; %bb.1311:                             ;   in Loop: Header=BB2_1255 Depth=3
	s_and_saveexec_b32 s14, s4
	s_delay_alu instid0(SALU_CYCLE_1)
	s_xor_b32 s14, exec_lo, s14
	s_cbranch_execz .LBB2_1329
; %bb.1312:                             ;   in Loop: Header=BB2_1255 Depth=3
	s_and_saveexec_b32 s30, s1
	s_cbranch_execz .LBB2_1328
; %bb.1313:                             ;   in Loop: Header=BB2_1255 Depth=3
	s_mov_b32 s34, exec_lo
	s_mov_b32 s31, exec_lo
	v_mbcnt_lo_u32_b32 v2, s34, 0
	s_waitcnt lgkmcnt(0)
	s_waitcnt_vscnt null, 0x0
	buffer_gl1_inv
	buffer_gl0_inv
	v_cmpx_eq_u32_e32 0, v2
	s_cbranch_execz .LBB2_1315
; %bb.1314:                             ;   in Loop: Header=BB2_1255 Depth=3
	s_bcnt1_i32_b32 vcc_lo, s34
	s_delay_alu instid0(SALU_CYCLE_1)
	v_mov_b32_e32 v2, vcc_lo
	ds_add_u64 v0, v[2:3]
	s_cbranch_execz .LBB2_1315
; %bb.8077:
	s_getpc_b64 s[48:49]
.Lpost_getpc71:
	s_add_u32 s48, s48, (.LBB2_7625-.Lpost_getpc71)&4294967295
	s_addc_u32 s49, s49, (.LBB2_7625-.Lpost_getpc71)>>32
	s_setpc_b64 s[48:49]
.LBB2_1315:                             ;   in Loop: Header=BB2_1255 Depth=3
	s_or_b32 exec_lo, exec_lo, s31
	s_cbranch_execz .LBB2_1316
; %bb.8079:
	s_getpc_b64 s[48:49]
.Lpost_getpc72:
	s_add_u32 s48, s48, (.LBB2_7615-.Lpost_getpc72)&4294967295
	s_addc_u32 s49, s49, (.LBB2_7615-.Lpost_getpc72)>>32
	s_setpc_b64 s[48:49]
.LBB2_1316:                             ;   in Loop: Header=BB2_1255 Depth=3
	ds_load_b64 v[9:10], v0
	v_add_co_u32 v12, vcc_lo, v12, v71
	v_add_co_ci_u32_e32 v13, vcc_lo, 0, v13, vcc_lo
	s_mov_b32 s31, exec_lo
	s_waitcnt lgkmcnt(0)
	s_delay_alu instid0(VALU_DEP_1)
	v_cmpx_lt_u64_e64 v[9:10], v[12:13]
	s_cbranch_execz .LBB2_1327
; %bb.1317:                             ;   in Loop: Header=BB2_1255 Depth=3
	s_mov_b32 s34, 0
	s_mov_b32 s37, 0
                                        ; implicit-def: $sgpr35
                                        ; implicit-def: $sgpr36
	s_branch .LBB2_1319
.LBB2_1318:                             ;   in Loop: Header=BB2_1319 Depth=4
	s_or_b32 exec_lo, exec_lo, s39
	s_delay_alu instid0(SALU_CYCLE_1) | instskip(NEXT) | instid1(SALU_CYCLE_1)
	s_and_b32 vcc_lo, exec_lo, vcc_lo
	s_or_b32 s34, vcc_lo, s34
	s_and_not1_b32 vcc_lo, s35, exec_lo
	s_and_b32 s35, s36, exec_lo
	s_delay_alu instid0(SALU_CYCLE_1)
	s_or_b32 s35, vcc_lo, s35
	s_and_not1_b32 exec_lo, exec_lo, s34
	s_cbranch_execz .LBB2_1325
.LBB2_1319:                             ;   Parent Loop BB2_51 Depth=1
                                        ;     Parent Loop BB2_1253 Depth=2
                                        ;       Parent Loop BB2_1255 Depth=3
                                        ; =>      This Inner Loop Header: Depth=4
	s_add_i32 s37, s37, 1
                                        ; implicit-def: $sgpr39
	s_delay_alu instid0(SALU_CYCLE_1) | instskip(SKIP_1) | instid1(SALU_CYCLE_1)
	s_cmpk_lg_i32 s37, 0x2710
	s_cselect_b32 s38, -1, 0
	s_and_b32 vcc_lo, exec_lo, s38
	s_cbranch_vccz .LBB2_1323
.LBB2_1320:                             ;   in Loop: Header=BB2_1319 Depth=4
	s_and_not1_b32 s36, s36, exec_lo
	s_and_b32 s39, s39, exec_lo
	s_mov_b32 vcc_lo, -1
	s_or_b32 s36, s36, s39
	s_and_saveexec_b32 s39, s38
	s_cbranch_execz .LBB2_1318
; %bb.1321:                             ;   in Loop: Header=BB2_1319 Depth=4
	s_sleep 1
	s_cbranch_execz .LBB2_1322
; %bb.8081:
	s_getpc_b64 s[48:49]
.Lpost_getpc73:
	s_add_u32 s48, s48, (.LBB2_7693-.Lpost_getpc73)&4294967295
	s_addc_u32 s49, s49, (.LBB2_7693-.Lpost_getpc73)>>32
	s_setpc_b64 s[48:49]
.LBB2_1322:                             ;   in Loop: Header=BB2_1319 Depth=4
	ds_load_b64 v[9:10], v0
	s_and_not1_b32 s36, s36, exec_lo
	s_waitcnt lgkmcnt(0)
	v_cmp_ge_u64_e32 vcc_lo, v[9:10], v[12:13]
	s_or_not1_b32 vcc_lo, vcc_lo, exec_lo
	s_branch .LBB2_1318
.LBB2_1323:                             ;   in Loop: Header=BB2_1319 Depth=4
	s_cbranch_execz .LBB2_1324
; %bb.8083:
	s_getpc_b64 s[48:49]
.Lpost_getpc74:
	s_add_u32 s48, s48, (.LBB2_7707-.Lpost_getpc74)&4294967295
	s_addc_u32 s49, s49, (.LBB2_7707-.Lpost_getpc74)>>32
	s_setpc_b64 s[48:49]
.LBB2_1324:                             ;   in Loop: Header=BB2_1319 Depth=4
	ds_load_b64 v[9:10], v0
	s_and_not1_b32 s38, s38, exec_lo
	s_mov_b32 s37, 0
	s_mov_b32 s39, -1
	s_waitcnt lgkmcnt(0)
	flat_load_b32 v2, v[9:10] glc
	s_waitcnt vmcnt(0) lgkmcnt(0)
	buffer_gl1_inv
	buffer_gl0_inv
	v_cmp_eq_u32_e32 vcc_lo, 0, v2
	s_and_b32 vcc_lo, vcc_lo, exec_lo
	s_delay_alu instid0(SALU_CYCLE_1)
	s_or_b32 s38, s38, vcc_lo
	s_branch .LBB2_1320
.LBB2_1325:                             ;   in Loop: Header=BB2_1255 Depth=3
	s_or_b32 exec_lo, exec_lo, s34
	s_and_saveexec_b32 vcc_lo, s35
	s_delay_alu instid0(SALU_CYCLE_1)
	s_xor_b32 vcc_lo, exec_lo, vcc_lo
	s_cbranch_execz .LBB2_1327
; %bb.1326:                             ;   in Loop: Header=BB2_1255 Depth=3
	ds_store_b32 v0, v115
	s_cbranch_execz .LBB2_1327
; %bb.8085:
	s_getpc_b64 s[48:49]
.Lpost_getpc75:
	s_add_u32 s48, s48, (.LBB2_7895-.Lpost_getpc75)&4294967295
	s_addc_u32 s49, s49, (.LBB2_7895-.Lpost_getpc75)>>32
	s_setpc_b64 s[48:49]
.LBB2_1327:                             ;   in Loop: Header=BB2_1255 Depth=3
	s_or_b32 exec_lo, exec_lo, s31
	;;#ASMSTART
	s_wakeup
	;;#ASMEND
.LBB2_1328:                             ;   in Loop: Header=BB2_1255 Depth=3
	s_or_b32 exec_lo, exec_lo, s30
.LBB2_1329:                             ;   in Loop: Header=BB2_1255 Depth=3
	s_and_not1_saveexec_b32 s14, s14
	s_cbranch_execz .LBB2_1331
; %bb.1330:                             ;   in Loop: Header=BB2_1255 Depth=3
	s_waitcnt lgkmcnt(0)
	s_waitcnt_vscnt null, 0x0
	buffer_gl1_inv
	buffer_gl0_inv
	s_barrier
.LBB2_1331:                             ;   in Loop: Header=BB2_1255 Depth=3
	s_or_b32 exec_lo, exec_lo, s14
.LBB2_1332:                             ;   in Loop: Header=BB2_1255 Depth=3
	s_delay_alu instid0(SALU_CYCLE_1)
	s_or_b32 exec_lo, exec_lo, s13
	s_cbranch_execz .LBB2_1333
; %bb.8087:
	s_getpc_b64 s[48:49]
.Lpost_getpc76:
	s_add_u32 s48, s48, (.LBB2_7501-.Lpost_getpc76)&4294967295
	s_addc_u32 s49, s49, (.LBB2_7501-.Lpost_getpc76)>>32
	s_setpc_b64 s[48:49]
.LBB2_1333:                             ;   in Loop: Header=BB2_1255 Depth=3
	ds_load_b64 v[9:10], v0
	v_mov_b32_e32 v51, 0
	s_waitcnt lgkmcnt(0)
	v_cmp_eq_u64_e32 vcc_lo, 0, v[9:10]
	s_or_b32 s13, vcc_lo, vcc_lo
	s_delay_alu instid0(SALU_CYCLE_1)
	s_and_b32 vcc_lo, exec_lo, s13
	s_cbranch_vccnz .LBB2_3045
; %bb.1334:                             ;   in Loop: Header=BB2_1255 Depth=3
	s_mov_b32 s13, -1
	s_and_saveexec_b32 s14, s12
	s_cbranch_execz .LBB2_1336
; %bb.1335:                             ;   in Loop: Header=BB2_1255 Depth=3
	ds_load_b32 v2, v0 offset:720
	s_waitcnt lgkmcnt(0)
	v_and_b32_e32 v2, 15, v2
	s_delay_alu instid0(VALU_DEP_1)
	v_cmp_eq_u32_e32 vcc_lo, 0, v2
	s_or_not1_b32 s13, vcc_lo, exec_lo
.LBB2_1336:                             ;   in Loop: Header=BB2_1255 Depth=3
	s_or_b32 exec_lo, exec_lo, s14
	s_and_saveexec_b32 s14, s6
	s_cbranch_execz .LBB2_1338
; %bb.1337:                             ;   in Loop: Header=BB2_1255 Depth=3
	ds_load_b32 v2, v0 offset:784
	s_waitcnt lgkmcnt(0)
	v_and_b32_e32 v2, 15, v2
	s_delay_alu instid0(VALU_DEP_1) | instskip(SKIP_3) | instid1(SALU_CYCLE_1)
	v_cmp_eq_u32_e32 vcc_lo, 0, v2
	s_and_b32 vcc_lo, s13, vcc_lo
	s_and_not1_b32 s13, s13, exec_lo
	s_and_b32 vcc_lo, vcc_lo, exec_lo
	s_or_b32 s13, s13, vcc_lo
.LBB2_1338:                             ;   in Loop: Header=BB2_1255 Depth=3
	s_or_b32 exec_lo, exec_lo, s14
	v_cmp_eq_u32_e32 vcc_lo, 0, v8
	s_xor_b32 s13, s13, -1
	v_mov_b32_e32 v133, v0
	v_cndmask_b32_e64 v2, 0, 1, s13
	;;#ASMSTART
	;;#ASMEND
	v_dual_cndmask_b32 v51, 0, v50 :: v_dual_mov_b32 v66, 0
	s_delay_alu instid0(VALU_DEP_2) | instskip(SKIP_1) | instid1(VALU_DEP_2)
	v_cmp_ne_u32_e32 vcc_lo, 0, v2
	s_mov_b32 s31, -1
	v_dual_mov_b32 v8, v80 :: v_dual_mov_b32 v67, v51
	s_cbranch_vccnz .LBB2_2652
; %bb.1339:                             ;   in Loop: Header=BB2_1255 Depth=3
	v_ashrrev_i32_e32 v2, 31, v51
	v_sub_nc_u32_e32 v128, v51, v112
	s_mov_b32 s30, exec_lo
	s_delay_alu instid0(VALU_DEP_2) | instskip(NEXT) | instid1(VALU_DEP_1)
	v_lshrrev_b32_e32 v2, 23, v2
	v_add_nc_u32_e32 v8, v51, v2
	s_delay_alu instid0(VALU_DEP_1) | instskip(SKIP_1) | instid1(VALU_DEP_2)
	v_and_b32_e32 v2, 0xfffffe00, v8
	v_ashrrev_i32_e32 v8, 9, v8
	v_sub_nc_u32_e32 v129, v51, v2
	s_delay_alu instid0(VALU_DEP_1) | instskip(NEXT) | instid1(VALU_DEP_1)
	v_cmp_lt_i32_e64 s13, 15, v129
	v_add_co_ci_u32_e64 v130, vcc_lo, v8, v113, s13
	v_cmpx_lt_i32_e32 15, v128
	s_cbranch_execz .LBB2_1993
; %bb.1340:                             ;   in Loop: Header=BB2_1255 Depth=3
	s_cbranch_execz .LBB2_1341
; %bb.8089:
	s_getpc_b64 s[48:49]
.Lpost_getpc77:
	s_add_u32 s48, s48, (.LBB2_7657-.Lpost_getpc77)&4294967295
	s_addc_u32 s49, s49, (.LBB2_7657-.Lpost_getpc77)>>32
	s_setpc_b64 s[48:49]
.LBB2_1341:                             ;   in Loop: Header=BB2_1255 Depth=3
	ds_load_b64 v[131:132], v0
	ds_load_b128 v[8:11], v0
	s_waitcnt lgkmcnt(1)
	v_readfirstlane_b32 s14, v131
	s_waitcnt lgkmcnt(0)
	v_add_co_u32 v54, vcc_lo, v8, v112
	v_add_co_ci_u32_e32 v55, vcc_lo, v9, v114, vcc_lo
	s_delay_alu instid0(VALU_DEP_3)
	s_and_b32 s31, s14, 3
	v_add_co_u32 v64, vcc_lo, v10, v112
	s_clz_i32_u32 s34, s31
	v_add_co_ci_u32_e32 v65, vcc_lo, v11, v114, vcc_lo
	s_min_u32 s34, s34, 32
	s_bfe_u32 s35, s14, 0x50002
	s_sub_i32 vcc_lo, s34, 29
	s_sub_i32 s34, 30, s34
	s_lshl_b32 vcc_lo, s14, vcc_lo
	s_delay_alu instid0(SALU_CYCLE_1)
	s_and_b32 s36, vcc_lo, 3
	v_add_co_u32 v66, vcc_lo, v131, v112
	s_cmp_eq_u32 s35, 0
	v_add_co_ci_u32_e32 v67, vcc_lo, v132, v114, vcc_lo
	s_cselect_b32 vcc_lo, s34, s35
	s_cselect_b32 s31, s36, s31
	s_lshl_b32 s14, s14, 24
	s_lshl_b32 vcc_lo, vcc_lo, 23
	s_and_b32 s14, s14, 0x80000000
	s_add_i32 vcc_lo, vcc_lo, 0x37800000
	v_and_b32_e32 v131, 0xff, v131
	s_lshl_b32 s34, s31, 21
	s_or_b32 s14, s14, vcc_lo
	s_mov_b32 s31, 0
	s_or_b32 s34, s14, s34
	s_branch .LBB2_1345
.LBB2_1342:                             ;   in Loop: Header=BB2_1345 Depth=4
	s_or_b32 exec_lo, exec_lo, s14
	s_delay_alu instid0(VALU_DEP_1) | instskip(NEXT) | instid1(VALU_DEP_2)
	v_lshrrev_b32_e32 v145, 21, v145
	v_cmp_gt_i32_e32 vcc_lo, 32, v135
	v_min_i32_e32 v162, 31, v135
	v_lshrrev_b32_e32 v11, 24, v11
	s_delay_alu instid0(VALU_DEP_2) | instskip(NEXT) | instid1(VALU_DEP_2)
	v_dual_cndmask_b32 v145, 3, v145 :: v_dual_lshlrev_b32 v162, 2, v162
	v_and_b32_e32 v11, 0x80, v11
	s_delay_alu instid0(VALU_DEP_2) | instskip(SKIP_1) | instid1(VALU_DEP_2)
	v_or_b32_e32 v135, v135, v145
	v_and_b32_e32 v163, 3, v145
	v_cmp_ne_u32_e32 vcc_lo, 0, v135
	v_and_b32_e32 v162, 0xfc, v162
	s_delay_alu instid0(VALU_DEP_1) | instskip(NEXT) | instid1(VALU_DEP_1)
	v_or3_b32 v11, v11, v162, v163
	v_lshlrev_b32_e32 v11, 8, v11
	s_delay_alu instid0(VALU_DEP_1)
	v_cndmask_b32_e32 v135, 0, v11, vcc_lo
.LBB2_1343:                             ;   in Loop: Header=BB2_1345 Depth=4
	s_or_b32 exec_lo, exec_lo, s36
.LBB2_1344:                             ;   in Loop: Header=BB2_1345 Depth=4
	s_delay_alu instid0(SALU_CYCLE_1)
	s_or_b32 exec_lo, exec_lo, s35
	v_or_b32_e32 v9, v9, v151
	v_and_b32_e32 v11, 0xff, v150
	v_lshlrev_b32_e32 v144, 8, v144
	v_and_b32_e32 v146, 0xff, v146
	v_lshlrev_b32_e32 v147, 8, v147
	v_or_b32_e32 v133, v135, v133
	v_and_b32_e32 v145, 0xff, v160
	v_lshlrev_b32_e32 v8, 24, v8
	v_lshlrev_b32_e32 v9, 16, v9
	;; [unrolled: 1-line block ×3, first 2 shown]
	v_perm_b32 v132, v144, v132, 0xc0c0500
	v_lshlrev_b32_e32 v10, 24, v10
	v_lshlrev_b32_e32 v135, 16, v146
	v_perm_b32 v144, v147, v149, 0xc0c0500
	v_and_b32_e32 v134, 0xff, v134
	v_lshlrev_b32_e32 v133, 16, v133
	v_add_co_u32 v54, vcc_lo, v54, v96
	v_or3_b32 v9, v161, v145, v9
	v_or3_b32 v8, v8, v11, v132
	;; [unrolled: 1-line block ×4, first 2 shown]
	v_sub_nc_u32_e32 v128, v128, v82
	v_add_co_ci_u32_e32 v55, vcc_lo, v55, v97, vcc_lo
	v_add_co_u32 v64, vcc_lo, v64, v96
	v_add_co_ci_u32_e32 v65, vcc_lo, v65, v97, vcc_lo
	global_store_b128 v[66:67], v[8:11], off glc slc dlc
	v_cmp_gt_i32_e32 vcc_lo, 16, v128
	v_add_co_u32 v66, s14, v66, v96
	s_delay_alu instid0(VALU_DEP_1) | instskip(SKIP_2) | instid1(SALU_CYCLE_1)
	v_add_co_ci_u32_e64 v67, s14, v67, v97, s14
	v_sub_nc_u32_e32 v130, v130, v71
	s_or_b32 s31, vcc_lo, s31
	s_and_not1_b32 exec_lo, exec_lo, s31
	s_cbranch_execz .LBB2_1992
.LBB2_1345:                             ;   Parent Loop BB2_51 Depth=1
                                        ;     Parent Loop BB2_1253 Depth=2
                                        ;       Parent Loop BB2_1255 Depth=3
                                        ; =>      This Inner Loop Header: Depth=4
	v_cmp_gt_i16_e64 vcc_lo, 0x80, v131
	s_delay_alu instid0(VALU_DEP_1)
	s_and_b32 vcc_lo, exec_lo, vcc_lo
	s_cbranch_vccnz .LBB2_1349
; %bb.1346:                             ;   in Loop: Header=BB2_1345 Depth=4
	v_cmp_eq_u16_e64 vcc_lo, 0x80, v131
	s_mov_b32 s14, -1
                                        ; implicit-def: $sgpr35
	s_delay_alu instid0(VALU_DEP_1)
	s_and_b32 vcc_lo, exec_lo, vcc_lo
	s_cbranch_vccz .LBB2_1348
; %bb.1347:                             ;   in Loop: Header=BB2_1345 Depth=4
	s_mov_b32 s14, 0
	s_mov_b32 s35, 0x7f800001
.LBB2_1348:                             ;   in Loop: Header=BB2_1345 Depth=4
	s_mov_b32 vcc_lo, 0
	s_branch .LBB2_1350
.LBB2_1349:                             ;   in Loop: Header=BB2_1345 Depth=4
	s_mov_b32 vcc_lo, -1
	s_mov_b32 s14, 0
                                        ; implicit-def: $sgpr35
.LBB2_1350:                             ;   in Loop: Header=BB2_1345 Depth=4
	s_and_b32 vcc_lo, exec_lo, vcc_lo
	s_cbranch_vccz .LBB2_1352
; %bb.1351:                             ;   in Loop: Header=BB2_1345 Depth=4
	v_cmp_ne_u16_e64 s14, 0, v131
	s_mov_b32 s35, 0
.LBB2_1352:                             ;   in Loop: Header=BB2_1345 Depth=4
	s_delay_alu instid0(VALU_DEP_1)
	s_and_not1_b32 vcc_lo, exec_lo, s14
	s_cbranch_vccnz .LBB2_1354
; %bb.1353:                             ;   in Loop: Header=BB2_1345 Depth=4
	s_mov_b32 s35, s34
.LBB2_1354:                             ;   in Loop: Header=BB2_1345 Depth=4
	global_load_b128 v[8:11], v[54:55], off slc dlc
	s_mov_b32 s14, 0
	s_mov_b32 s37, exec_lo
                                        ; implicit-def: $sgpr36
	s_waitcnt vmcnt(0)
	v_and_b32_e32 v133, 0xff, v8
	s_delay_alu instid0(VALU_DEP_1)
	v_cmpx_lt_i16_e64 0x7f, v133
	s_xor_b32 s37, exec_lo, s37
	s_cbranch_execnz .LBB2_1800
; %bb.1355:                             ;   in Loop: Header=BB2_1345 Depth=4
	s_or_saveexec_b32 s37, s37
	v_mov_b32_e32 v132, s36
	s_xor_b32 exec_lo, exec_lo, s37
	s_cbranch_execnz .LBB2_1803
.LBB2_1356:                             ;   in Loop: Header=BB2_1345 Depth=4
	s_or_b32 exec_lo, exec_lo, s37
	s_and_saveexec_b32 s36, s14
	s_cbranch_execz .LBB2_1358
.LBB2_1357:                             ;   in Loop: Header=BB2_1345 Depth=4
	v_bfe_u32 v135, v8, 2, 5
	v_lshlrev_b32_e32 v144, 24, v8
	s_delay_alu instid0(VALU_DEP_2) | instskip(SKIP_1) | instid1(VALU_DEP_1)
	v_cmp_eq_u32_e32 vcc_lo, 0, v135
	v_and_b32_e32 v132, 3, v8
	v_clz_i32_u32_e32 v133, v132
	s_delay_alu instid0(VALU_DEP_1) | instskip(NEXT) | instid1(VALU_DEP_1)
	v_min_u32_e32 v133, 32, v133
	v_subrev_nc_u32_e32 v134, 29, v133
	v_sub_nc_u32_e32 v133, 30, v133
	s_delay_alu instid0(VALU_DEP_1) | instskip(NEXT) | instid1(VALU_DEP_1)
	v_dual_cndmask_b32 v133, v135, v133 :: v_dual_lshlrev_b32 v134, v134, v8
	v_and_b32_e32 v134, 3, v134
	s_delay_alu instid0(VALU_DEP_2) | instskip(NEXT) | instid1(VALU_DEP_2)
	v_lshl_add_u32 v133, v133, 23, 0x37800000
	v_cndmask_b32_e32 v132, v132, v134, vcc_lo
	v_and_b32_e32 v134, 0x80000000, v144
	s_delay_alu instid0(VALU_DEP_2) | instskip(NEXT) | instid1(VALU_DEP_1)
	v_lshlrev_b32_e32 v132, 21, v132
	v_or3_b32 v132, v134, v133, v132
.LBB2_1358:                             ;   in Loop: Header=BB2_1345 Depth=4
	s_or_b32 exec_lo, exec_lo, s36
	s_delay_alu instid0(VALU_DEP_1) | instskip(NEXT) | instid1(VALU_DEP_1)
	v_mul_f32_e32 v133, s35, v132
	v_and_b32_e32 v132, 0x7f800000, v133
	s_delay_alu instid0(VALU_DEP_1)
	v_cmp_ne_u32_e32 vcc_lo, 0x7f800000, v132
	v_mov_b32_e32 v132, 0x80
	s_and_saveexec_b32 s36, vcc_lo
	s_cbranch_execz .LBB2_1366
; %bb.1359:                             ;   in Loop: Header=BB2_1345 Depth=4
	v_mov_b32_e32 v132, 0
	s_mov_b32 s37, exec_lo
	v_cmpx_ne_u32_e32 0, v133
	s_cbranch_execz .LBB2_1365
; %bb.1360:                             ;   in Loop: Header=BB2_1345 Depth=4
	v_bfe_u32 v132, v133, 23, 8
	s_delay_alu instid0(VALU_DEP_1) | instskip(SKIP_1) | instid1(VALU_DEP_2)
	v_sub_nc_u32_e32 v135, 0x70, v132
	v_cmp_gt_u32_e32 vcc_lo, 0x71, v132
	v_dual_cndmask_b32 v135, 0, v135 :: v_dual_and_b32 v134, 0x7fffff, v133
	s_delay_alu instid0(VALU_DEP_1) | instskip(SKIP_2) | instid1(VALU_DEP_4)
	v_or_b32_e32 v144, 0x800000, v134
	v_cmp_eq_u32_e32 vcc_lo, 0, v132
	v_add_nc_u32_e32 v132, 0xffffff91, v132
	v_cndmask_b32_e64 v135, v135, 0x6f, vcc_lo
	s_delay_alu instid0(VALU_DEP_2) | instskip(SKIP_1) | instid1(VALU_DEP_3)
	v_cndmask_b32_e64 v132, v132, 0xffffff92, vcc_lo
	v_cndmask_b32_e32 v134, v144, v134, vcc_lo
	v_lshl_add_u32 v144, 0x200000, v135, -1
	v_lshlrev_b32_e64 v147, v135, 0x100000
	s_delay_alu instid0(VALU_DEP_3) | instskip(SKIP_1) | instid1(VALU_DEP_4)
	v_lshrrev_b32_e32 v145, v135, v134
	v_add_nc_u32_e32 v135, v135, v132
	v_and_b32_e32 v134, v144, v134
	s_delay_alu instid0(VALU_DEP_3) | instskip(NEXT) | instid1(VALU_DEP_2)
	v_bfe_u32 v146, v145, 21, 1
	v_cmp_eq_u32_e64 s14, v134, v147
	s_delay_alu instid0(VALU_DEP_2) | instskip(NEXT) | instid1(VALU_DEP_1)
	v_add_nc_u32_e32 v144, -1, v146
	v_cndmask_b32_e64 v134, 0, v144, s14
	v_lshrrev_b32_e32 v144, 23, v145
	s_mov_b32 s14, exec_lo
	s_delay_alu instid0(VALU_DEP_2) | instskip(NEXT) | instid1(VALU_DEP_2)
	v_add_nc_u32_e32 v134, v134, v145
	v_xor_b32_e32 v144, 1, v144
	s_delay_alu instid0(VALU_DEP_2) | instskip(NEXT) | instid1(VALU_DEP_1)
	v_and_b32_e32 v132, 0x1fffff, v134
	v_add_nc_u32_e32 v134, v132, v145
                                        ; implicit-def: $vgpr132
	s_delay_alu instid0(VALU_DEP_3)
	v_cmpx_ne_u32_e64 v135, v144
	s_xor_b32 s14, exec_lo, s14
; %bb.1361:                             ;   in Loop: Header=BB2_1345 Depth=4
	s_delay_alu instid0(VALU_DEP_2) | instskip(SKIP_2) | instid1(VALU_DEP_2)
	v_cmp_lt_u32_e32 vcc_lo, 0xffffff, v134
	v_sub_nc_u32_e32 v132, v135, v144
	v_cndmask_b32_e64 v135, 0, 1, vcc_lo
	v_add_co_ci_u32_e32 v132, vcc_lo, 0, v132, vcc_lo
	s_delay_alu instid0(VALU_DEP_2)
	v_lshrrev_b32_e32 v134, v135, v134
; %bb.1362:                             ;   in Loop: Header=BB2_1345 Depth=4
	s_and_not1_saveexec_b32 s14, s14
; %bb.1363:                             ;   in Loop: Header=BB2_1345 Depth=4
	s_delay_alu instid0(VALU_DEP_1)
	v_bfe_u32 v132, v134, 23, 1
; %bb.1364:                             ;   in Loop: Header=BB2_1345 Depth=4
	s_or_b32 exec_lo, exec_lo, s14
	v_lshrrev_b32_e32 v134, 21, v134
	s_delay_alu instid0(VALU_DEP_2) | instskip(SKIP_2) | instid1(VALU_DEP_2)
	v_cmp_gt_i32_e32 vcc_lo, 32, v132
	v_lshrrev_b32_e32 v133, 24, v133
	v_min_i32_e32 v135, 31, v132
	v_dual_cndmask_b32 v134, 3, v134 :: v_dual_and_b32 v133, 0x80, v133
	s_delay_alu instid0(VALU_DEP_1) | instskip(SKIP_1) | instid1(VALU_DEP_2)
	v_or_b32_e32 v132, v132, v134
	v_and_b32_e32 v144, 3, v134
	v_cmp_ne_u32_e32 vcc_lo, 0, v132
	v_lshlrev_b32_e32 v135, 2, v135
	s_delay_alu instid0(VALU_DEP_1) | instskip(NEXT) | instid1(VALU_DEP_1)
	v_or3_b32 v133, v135, v133, v144
	v_cndmask_b32_e32 v132, 0, v133, vcc_lo
.LBB2_1365:                             ;   in Loop: Header=BB2_1345 Depth=4
	s_or_b32 exec_lo, exec_lo, s37
.LBB2_1366:                             ;   in Loop: Header=BB2_1345 Depth=4
	s_delay_alu instid0(SALU_CYCLE_1) | instskip(SKIP_3) | instid1(VALU_DEP_1)
	s_or_b32 exec_lo, exec_lo, s36
	v_lshrrev_b16 v133, 8, v8
	s_mov_b32 s14, 0
	s_mov_b32 s37, exec_lo
                                        ; implicit-def: $sgpr36
	v_cmpx_lt_i16_e64 0x7f, v133
	s_xor_b32 s37, exec_lo, s37
	s_cbranch_execnz .LBB2_1804
; %bb.1367:                             ;   in Loop: Header=BB2_1345 Depth=4
	s_or_saveexec_b32 s37, s37
	v_mov_b32_e32 v134, s36
	s_xor_b32 exec_lo, exec_lo, s37
	s_cbranch_execnz .LBB2_1807
.LBB2_1368:                             ;   in Loop: Header=BB2_1345 Depth=4
	s_or_b32 exec_lo, exec_lo, s37
	s_and_saveexec_b32 s36, s14
	s_cbranch_execz .LBB2_1370
.LBB2_1369:                             ;   in Loop: Header=BB2_1345 Depth=4
	v_and_b32_e32 v134, 0xffff, v133
	v_lshlrev_b32_e32 v133, 24, v133
	s_delay_alu instid0(VALU_DEP_2) | instskip(NEXT) | instid1(VALU_DEP_2)
	v_and_b32_e32 v135, 3, v134
	v_and_b32_e32 v133, 0x80000000, v133
	s_delay_alu instid0(VALU_DEP_2) | instskip(NEXT) | instid1(VALU_DEP_1)
	v_clz_i32_u32_e32 v144, v135
	v_min_u32_e32 v144, 32, v144
	s_delay_alu instid0(VALU_DEP_1) | instskip(SKIP_1) | instid1(VALU_DEP_2)
	v_subrev_nc_u32_e32 v145, 29, v144
	v_sub_nc_u32_e32 v144, 30, v144
	v_lshlrev_b32_e32 v145, v145, v134
	v_bfe_u32 v134, v134, 2, 5
	s_delay_alu instid0(VALU_DEP_2) | instskip(NEXT) | instid1(VALU_DEP_2)
	v_and_b32_e32 v145, 3, v145
	v_cmp_eq_u32_e32 vcc_lo, 0, v134
	s_delay_alu instid0(VALU_DEP_2) | instskip(NEXT) | instid1(VALU_DEP_1)
	v_dual_cndmask_b32 v134, v134, v144 :: v_dual_cndmask_b32 v135, v135, v145
	v_lshl_add_u32 v134, v134, 23, 0x37800000
	s_delay_alu instid0(VALU_DEP_2) | instskip(NEXT) | instid1(VALU_DEP_1)
	v_lshlrev_b32_e32 v135, 21, v135
	v_or3_b32 v134, v133, v134, v135
.LBB2_1370:                             ;   in Loop: Header=BB2_1345 Depth=4
	s_or_b32 exec_lo, exec_lo, s36
	s_delay_alu instid0(VALU_DEP_1) | instskip(SKIP_1) | instid1(VALU_DEP_1)
	v_dual_mul_f32 v133, s35, v134 :: v_dual_mov_b32 v144, 0x80
	s_mov_b32 s36, exec_lo
	v_and_b32_e32 v134, 0x7f800000, v133
	s_delay_alu instid0(VALU_DEP_1)
	v_cmpx_ne_u32_e32 0x7f800000, v134
	s_cbranch_execz .LBB2_1378
; %bb.1371:                             ;   in Loop: Header=BB2_1345 Depth=4
	v_mov_b32_e32 v144, 0
	s_mov_b32 s37, exec_lo
	v_cmpx_ne_u32_e32 0, v133
	s_cbranch_execz .LBB2_1377
; %bb.1372:                             ;   in Loop: Header=BB2_1345 Depth=4
	v_bfe_u32 v134, v133, 23, 8
	s_delay_alu instid0(VALU_DEP_1) | instskip(SKIP_1) | instid1(VALU_DEP_2)
	v_sub_nc_u32_e32 v144, 0x70, v134
	v_cmp_gt_u32_e32 vcc_lo, 0x71, v134
	v_dual_cndmask_b32 v144, 0, v144 :: v_dual_and_b32 v135, 0x7fffff, v133
	s_delay_alu instid0(VALU_DEP_1) | instskip(SKIP_2) | instid1(VALU_DEP_4)
	v_or_b32_e32 v145, 0x800000, v135
	v_cmp_eq_u32_e32 vcc_lo, 0, v134
	v_add_nc_u32_e32 v134, 0xffffff91, v134
	v_cndmask_b32_e64 v144, v144, 0x6f, vcc_lo
	s_delay_alu instid0(VALU_DEP_4) | instskip(NEXT) | instid1(VALU_DEP_3)
	v_cndmask_b32_e32 v135, v145, v135, vcc_lo
	v_cndmask_b32_e64 v134, v134, 0xffffff92, vcc_lo
	s_delay_alu instid0(VALU_DEP_3) | instskip(NEXT) | instid1(VALU_DEP_3)
	v_lshl_add_u32 v145, 0x200000, v144, -1
	v_lshrrev_b32_e32 v146, v144, v135
	v_lshlrev_b32_e64 v148, v144, 0x100000
	s_delay_alu instid0(VALU_DEP_4) | instskip(NEXT) | instid1(VALU_DEP_4)
	v_add_nc_u32_e32 v144, v144, v134
	v_and_b32_e32 v135, v145, v135
	s_delay_alu instid0(VALU_DEP_4) | instskip(NEXT) | instid1(VALU_DEP_2)
	v_bfe_u32 v147, v146, 21, 1
	v_cmp_eq_u32_e64 s14, v135, v148
	s_delay_alu instid0(VALU_DEP_2) | instskip(NEXT) | instid1(VALU_DEP_1)
	v_add_nc_u32_e32 v145, -1, v147
	v_cndmask_b32_e64 v135, 0, v145, s14
	v_lshrrev_b32_e32 v145, 23, v146
	s_mov_b32 s14, exec_lo
	s_delay_alu instid0(VALU_DEP_2) | instskip(NEXT) | instid1(VALU_DEP_2)
	v_add_nc_u32_e32 v135, v135, v146
	v_xor_b32_e32 v145, 1, v145
	s_delay_alu instid0(VALU_DEP_2) | instskip(NEXT) | instid1(VALU_DEP_1)
	v_and_b32_e32 v134, 0x1fffff, v135
	v_add_nc_u32_e32 v135, v134, v146
                                        ; implicit-def: $vgpr134
	s_delay_alu instid0(VALU_DEP_3)
	v_cmpx_ne_u32_e64 v144, v145
	s_xor_b32 s14, exec_lo, s14
; %bb.1373:                             ;   in Loop: Header=BB2_1345 Depth=4
	s_delay_alu instid0(VALU_DEP_2) | instskip(SKIP_2) | instid1(VALU_DEP_2)
	v_cmp_lt_u32_e32 vcc_lo, 0xffffff, v135
	v_sub_nc_u32_e32 v134, v144, v145
	v_cndmask_b32_e64 v144, 0, 1, vcc_lo
	v_add_co_ci_u32_e32 v134, vcc_lo, 0, v134, vcc_lo
	s_delay_alu instid0(VALU_DEP_2)
	v_lshrrev_b32_e32 v135, v144, v135
; %bb.1374:                             ;   in Loop: Header=BB2_1345 Depth=4
	s_and_not1_saveexec_b32 s14, s14
; %bb.1375:                             ;   in Loop: Header=BB2_1345 Depth=4
	s_delay_alu instid0(VALU_DEP_1)
	v_bfe_u32 v134, v135, 23, 1
; %bb.1376:                             ;   in Loop: Header=BB2_1345 Depth=4
	s_or_b32 exec_lo, exec_lo, s14
	v_lshrrev_b32_e32 v135, 21, v135
	s_delay_alu instid0(VALU_DEP_2) | instskip(SKIP_2) | instid1(VALU_DEP_2)
	v_cmp_gt_i32_e32 vcc_lo, 32, v134
	v_min_i32_e32 v144, 31, v134
	v_lshrrev_b32_e32 v133, 24, v133
	v_dual_cndmask_b32 v135, 3, v135 :: v_dual_lshlrev_b32 v144, 2, v144
	s_delay_alu instid0(VALU_DEP_2) | instskip(NEXT) | instid1(VALU_DEP_2)
	v_and_b32_e32 v133, 0x80, v133
	v_or_b32_e32 v134, v134, v135
	s_delay_alu instid0(VALU_DEP_1) | instskip(SKIP_1) | instid1(VALU_DEP_1)
	v_cmp_ne_u32_e32 vcc_lo, 0, v134
	v_and_b32_e32 v145, 3, v135
	v_or3_b32 v133, v144, v133, v145
	s_delay_alu instid0(VALU_DEP_1)
	v_cndmask_b32_e32 v144, 0, v133, vcc_lo
.LBB2_1377:                             ;   in Loop: Header=BB2_1345 Depth=4
	s_or_b32 exec_lo, exec_lo, s37
.LBB2_1378:                             ;   in Loop: Header=BB2_1345 Depth=4
	s_delay_alu instid0(SALU_CYCLE_1) | instskip(SKIP_3) | instid1(VALU_DEP_1)
	s_or_b32 exec_lo, exec_lo, s36
	v_lshrrev_b32_e32 v133, 16, v8
	s_mov_b32 s14, 0
	s_mov_b32 s37, exec_lo
                                        ; implicit-def: $sgpr36
	v_and_b32_e32 v135, 0xff, v133
	s_delay_alu instid0(VALU_DEP_1)
	v_cmpx_lt_i16_e64 0x7f, v135
	s_xor_b32 s37, exec_lo, s37
	s_cbranch_execnz .LBB2_1808
; %bb.1379:                             ;   in Loop: Header=BB2_1345 Depth=4
	s_or_saveexec_b32 s37, s37
	v_mov_b32_e32 v134, s36
	s_xor_b32 exec_lo, exec_lo, s37
	s_cbranch_execnz .LBB2_1811
.LBB2_1380:                             ;   in Loop: Header=BB2_1345 Depth=4
	s_or_b32 exec_lo, exec_lo, s37
	s_and_saveexec_b32 s36, s14
	s_cbranch_execz .LBB2_1382
.LBB2_1381:                             ;   in Loop: Header=BB2_1345 Depth=4
	v_bfe_u32 v134, v8, 16, 2
	s_delay_alu instid0(VALU_DEP_1) | instskip(NEXT) | instid1(VALU_DEP_1)
	v_clz_i32_u32_e32 v135, v134
	v_min_u32_e32 v135, 32, v135
	s_delay_alu instid0(VALU_DEP_1) | instskip(SKIP_1) | instid1(VALU_DEP_2)
	v_subrev_nc_u32_e32 v145, 29, v135
	v_sub_nc_u32_e32 v135, 30, v135
	v_lshlrev_b32_e32 v133, v145, v133
	v_bfe_u32 v145, v8, 18, 5
	s_delay_alu instid0(VALU_DEP_2) | instskip(NEXT) | instid1(VALU_DEP_2)
	v_and_b32_e32 v133, 3, v133
	v_cmp_eq_u32_e32 vcc_lo, 0, v145
	v_dual_cndmask_b32 v135, v145, v135 :: v_dual_lshlrev_b32 v146, 8, v8
	s_delay_alu instid0(VALU_DEP_1) | instskip(NEXT) | instid1(VALU_DEP_2)
	v_dual_cndmask_b32 v133, v134, v133 :: v_dual_and_b32 v134, 0x80000000, v146
	v_lshl_add_u32 v135, v135, 23, 0x37800000
	s_delay_alu instid0(VALU_DEP_2) | instskip(NEXT) | instid1(VALU_DEP_1)
	v_lshlrev_b32_e32 v133, 21, v133
	v_or3_b32 v134, v134, v135, v133
.LBB2_1382:                             ;   in Loop: Header=BB2_1345 Depth=4
	s_or_b32 exec_lo, exec_lo, s36
	s_delay_alu instid0(VALU_DEP_1) | instskip(SKIP_1) | instid1(VALU_DEP_1)
	v_dual_mul_f32 v133, s35, v134 :: v_dual_mov_b32 v150, 0x80
	s_mov_b32 s36, exec_lo
	v_and_b32_e32 v134, 0x7f800000, v133
	s_delay_alu instid0(VALU_DEP_1)
	v_cmpx_ne_u32_e32 0x7f800000, v134
	s_cbranch_execz .LBB2_1390
; %bb.1383:                             ;   in Loop: Header=BB2_1345 Depth=4
	v_mov_b32_e32 v150, 0
	s_mov_b32 s37, exec_lo
	v_cmpx_ne_u32_e32 0, v133
	s_cbranch_execz .LBB2_1389
; %bb.1384:                             ;   in Loop: Header=BB2_1345 Depth=4
	v_bfe_u32 v134, v133, 23, 8
	v_and_b32_e32 v135, 0x7fffff, v133
	s_delay_alu instid0(VALU_DEP_2) | instskip(SKIP_1) | instid1(VALU_DEP_3)
	v_sub_nc_u32_e32 v145, 0x70, v134
	v_cmp_gt_u32_e32 vcc_lo, 0x71, v134
	v_or_b32_e32 v146, 0x800000, v135
	s_delay_alu instid0(VALU_DEP_3) | instskip(SKIP_2) | instid1(VALU_DEP_3)
	v_cndmask_b32_e32 v145, 0, v145, vcc_lo
	v_cmp_eq_u32_e32 vcc_lo, 0, v134
	v_add_nc_u32_e32 v134, 0xffffff91, v134
	v_cndmask_b32_e64 v145, v145, 0x6f, vcc_lo
	v_cndmask_b32_e32 v135, v146, v135, vcc_lo
	s_delay_alu instid0(VALU_DEP_3) | instskip(NEXT) | instid1(VALU_DEP_3)
	v_cndmask_b32_e64 v134, v134, 0xffffff92, vcc_lo
	v_lshl_add_u32 v146, 0x200000, v145, -1
	s_delay_alu instid0(VALU_DEP_3) | instskip(SKIP_1) | instid1(VALU_DEP_4)
	v_lshrrev_b32_e32 v147, v145, v135
	v_lshlrev_b32_e64 v149, v145, 0x100000
	v_add_nc_u32_e32 v145, v145, v134
	s_delay_alu instid0(VALU_DEP_4) | instskip(NEXT) | instid1(VALU_DEP_4)
	v_and_b32_e32 v135, v146, v135
	v_bfe_u32 v148, v147, 21, 1
	s_delay_alu instid0(VALU_DEP_2) | instskip(NEXT) | instid1(VALU_DEP_2)
	v_cmp_eq_u32_e64 s14, v135, v149
	v_add_nc_u32_e32 v146, -1, v148
	s_delay_alu instid0(VALU_DEP_1) | instskip(SKIP_2) | instid1(VALU_DEP_2)
	v_cndmask_b32_e64 v135, 0, v146, s14
	v_lshrrev_b32_e32 v146, 23, v147
	s_mov_b32 s14, exec_lo
	v_add_nc_u32_e32 v135, v135, v147
	s_delay_alu instid0(VALU_DEP_2) | instskip(NEXT) | instid1(VALU_DEP_2)
	v_xor_b32_e32 v146, 1, v146
	v_and_b32_e32 v134, 0x1fffff, v135
	s_delay_alu instid0(VALU_DEP_1) | instskip(NEXT) | instid1(VALU_DEP_3)
	v_add_nc_u32_e32 v135, v134, v147
                                        ; implicit-def: $vgpr134
	v_cmpx_ne_u32_e64 v145, v146
	s_xor_b32 s14, exec_lo, s14
; %bb.1385:                             ;   in Loop: Header=BB2_1345 Depth=4
	s_delay_alu instid0(VALU_DEP_2) | instskip(SKIP_2) | instid1(VALU_DEP_2)
	v_cmp_lt_u32_e32 vcc_lo, 0xffffff, v135
	v_sub_nc_u32_e32 v134, v145, v146
	v_cndmask_b32_e64 v145, 0, 1, vcc_lo
	v_add_co_ci_u32_e32 v134, vcc_lo, 0, v134, vcc_lo
	s_delay_alu instid0(VALU_DEP_2)
	v_lshrrev_b32_e32 v135, v145, v135
; %bb.1386:                             ;   in Loop: Header=BB2_1345 Depth=4
	s_and_not1_saveexec_b32 s14, s14
; %bb.1387:                             ;   in Loop: Header=BB2_1345 Depth=4
	s_delay_alu instid0(VALU_DEP_1)
	v_bfe_u32 v134, v135, 23, 1
; %bb.1388:                             ;   in Loop: Header=BB2_1345 Depth=4
	s_or_b32 exec_lo, exec_lo, s14
	v_lshrrev_b32_e32 v135, 21, v135
	s_delay_alu instid0(VALU_DEP_2) | instskip(SKIP_2) | instid1(VALU_DEP_4)
	v_cmp_gt_i32_e32 vcc_lo, 32, v134
	v_lshrrev_b32_e32 v133, 24, v133
	v_min_i32_e32 v145, 31, v134
	v_cndmask_b32_e32 v135, 3, v135, vcc_lo
	s_delay_alu instid0(VALU_DEP_3) | instskip(NEXT) | instid1(VALU_DEP_3)
	v_and_b32_e32 v133, 0x80, v133
	v_lshlrev_b32_e32 v145, 2, v145
	s_delay_alu instid0(VALU_DEP_3) | instskip(SKIP_1) | instid1(VALU_DEP_2)
	v_and_b32_e32 v146, 3, v135
	v_or_b32_e32 v134, v134, v135
	v_or3_b32 v133, v145, v133, v146
	s_delay_alu instid0(VALU_DEP_2) | instskip(NEXT) | instid1(VALU_DEP_2)
	v_cmp_ne_u32_e32 vcc_lo, 0, v134
	v_cndmask_b32_e32 v150, 0, v133, vcc_lo
.LBB2_1389:                             ;   in Loop: Header=BB2_1345 Depth=4
	s_or_b32 exec_lo, exec_lo, s37
.LBB2_1390:                             ;   in Loop: Header=BB2_1345 Depth=4
	s_delay_alu instid0(SALU_CYCLE_1) | instskip(SKIP_3) | instid1(VALU_DEP_1)
	s_or_b32 exec_lo, exec_lo, s36
	v_lshrrev_b32_e32 v133, 24, v8
	s_mov_b32 s14, 0
	s_mov_b32 s37, exec_lo
                                        ; implicit-def: $sgpr36
	v_cmpx_lt_i16_e64 0x7f, v133
	s_xor_b32 s37, exec_lo, s37
	s_cbranch_execnz .LBB2_1812
; %bb.1391:                             ;   in Loop: Header=BB2_1345 Depth=4
	s_or_saveexec_b32 s37, s37
	v_mov_b32_e32 v134, s36
	s_xor_b32 exec_lo, exec_lo, s37
	s_cbranch_execnz .LBB2_1815
.LBB2_1392:                             ;   in Loop: Header=BB2_1345 Depth=4
	s_or_b32 exec_lo, exec_lo, s37
	s_and_saveexec_b32 s36, s14
	s_cbranch_execz .LBB2_1394
.LBB2_1393:                             ;   in Loop: Header=BB2_1345 Depth=4
	v_bfe_u32 v134, v8, 24, 2
	s_delay_alu instid0(VALU_DEP_1) | instskip(NEXT) | instid1(VALU_DEP_1)
	v_clz_i32_u32_e32 v135, v134
	v_min_u32_e32 v135, 32, v135
	s_delay_alu instid0(VALU_DEP_1) | instskip(SKIP_1) | instid1(VALU_DEP_2)
	v_subrev_nc_u32_e32 v145, 29, v135
	v_sub_nc_u32_e32 v135, 30, v135
	v_lshlrev_b32_e32 v133, v145, v133
	v_bfe_u32 v145, v8, 26, 5
	v_and_b32_e32 v8, 0x80000000, v8
	s_delay_alu instid0(VALU_DEP_3) | instskip(NEXT) | instid1(VALU_DEP_3)
	v_and_b32_e32 v133, 3, v133
	v_cmp_eq_u32_e32 vcc_lo, 0, v145
	v_cndmask_b32_e32 v135, v145, v135, vcc_lo
	s_delay_alu instid0(VALU_DEP_3) | instskip(NEXT) | instid1(VALU_DEP_2)
	v_cndmask_b32_e32 v133, v134, v133, vcc_lo
	v_lshl_add_u32 v134, v135, 23, 0x37800000
	s_delay_alu instid0(VALU_DEP_2) | instskip(NEXT) | instid1(VALU_DEP_1)
	v_lshlrev_b32_e32 v133, 21, v133
	v_or3_b32 v134, v8, v134, v133
.LBB2_1394:                             ;   in Loop: Header=BB2_1345 Depth=4
	s_or_b32 exec_lo, exec_lo, s36
	s_delay_alu instid0(VALU_DEP_1) | instskip(SKIP_1) | instid1(VALU_DEP_1)
	v_dual_mul_f32 v8, s35, v134 :: v_dual_mov_b32 v161, 0x80
	s_mov_b32 s36, exec_lo
	v_and_b32_e32 v133, 0x7f800000, v8
	s_delay_alu instid0(VALU_DEP_1)
	v_cmpx_ne_u32_e32 0x7f800000, v133
	s_cbranch_execz .LBB2_1402
; %bb.1395:                             ;   in Loop: Header=BB2_1345 Depth=4
	v_mov_b32_e32 v161, 0
	s_mov_b32 s37, exec_lo
	v_cmpx_ne_u32_e32 0, v8
	s_cbranch_execz .LBB2_1401
; %bb.1396:                             ;   in Loop: Header=BB2_1345 Depth=4
	v_bfe_u32 v133, v8, 23, 8
	s_delay_alu instid0(VALU_DEP_1) | instskip(SKIP_1) | instid1(VALU_DEP_2)
	v_sub_nc_u32_e32 v135, 0x70, v133
	v_cmp_gt_u32_e32 vcc_lo, 0x71, v133
	v_dual_cndmask_b32 v135, 0, v135 :: v_dual_and_b32 v134, 0x7fffff, v8
	s_delay_alu instid0(VALU_DEP_1) | instskip(SKIP_2) | instid1(VALU_DEP_4)
	v_or_b32_e32 v145, 0x800000, v134
	v_cmp_eq_u32_e32 vcc_lo, 0, v133
	v_add_nc_u32_e32 v133, 0xffffff91, v133
	v_cndmask_b32_e64 v135, v135, 0x6f, vcc_lo
	s_delay_alu instid0(VALU_DEP_4) | instskip(NEXT) | instid1(VALU_DEP_3)
	v_cndmask_b32_e32 v134, v145, v134, vcc_lo
	v_cndmask_b32_e64 v133, v133, 0xffffff92, vcc_lo
	s_delay_alu instid0(VALU_DEP_3) | instskip(NEXT) | instid1(VALU_DEP_3)
	v_lshl_add_u32 v145, 0x200000, v135, -1
	v_lshrrev_b32_e32 v146, v135, v134
	v_lshlrev_b32_e64 v148, v135, 0x100000
	s_delay_alu instid0(VALU_DEP_4) | instskip(NEXT) | instid1(VALU_DEP_4)
	v_add_nc_u32_e32 v135, v135, v133
	v_and_b32_e32 v134, v145, v134
	s_delay_alu instid0(VALU_DEP_4) | instskip(NEXT) | instid1(VALU_DEP_2)
	v_bfe_u32 v147, v146, 21, 1
	v_cmp_eq_u32_e64 s14, v134, v148
	s_delay_alu instid0(VALU_DEP_2) | instskip(NEXT) | instid1(VALU_DEP_1)
	v_add_nc_u32_e32 v145, -1, v147
	v_cndmask_b32_e64 v134, 0, v145, s14
	v_lshrrev_b32_e32 v145, 23, v146
	s_mov_b32 s14, exec_lo
	s_delay_alu instid0(VALU_DEP_2) | instskip(NEXT) | instid1(VALU_DEP_2)
	v_add_nc_u32_e32 v134, v134, v146
	v_xor_b32_e32 v145, 1, v145
	s_delay_alu instid0(VALU_DEP_2) | instskip(NEXT) | instid1(VALU_DEP_1)
	v_and_b32_e32 v133, 0x1fffff, v134
	v_add_nc_u32_e32 v134, v133, v146
                                        ; implicit-def: $vgpr133
	s_delay_alu instid0(VALU_DEP_3)
	v_cmpx_ne_u32_e64 v135, v145
	s_xor_b32 s14, exec_lo, s14
; %bb.1397:                             ;   in Loop: Header=BB2_1345 Depth=4
	s_delay_alu instid0(VALU_DEP_2) | instskip(SKIP_2) | instid1(VALU_DEP_2)
	v_cmp_lt_u32_e32 vcc_lo, 0xffffff, v134
	v_sub_nc_u32_e32 v133, v135, v145
	v_cndmask_b32_e64 v135, 0, 1, vcc_lo
	v_add_co_ci_u32_e32 v133, vcc_lo, 0, v133, vcc_lo
	s_delay_alu instid0(VALU_DEP_2)
	v_lshrrev_b32_e32 v134, v135, v134
; %bb.1398:                             ;   in Loop: Header=BB2_1345 Depth=4
	s_and_not1_saveexec_b32 s14, s14
; %bb.1399:                             ;   in Loop: Header=BB2_1345 Depth=4
	s_delay_alu instid0(VALU_DEP_1)
	v_bfe_u32 v133, v134, 23, 1
; %bb.1400:                             ;   in Loop: Header=BB2_1345 Depth=4
	s_or_b32 exec_lo, exec_lo, s14
	v_lshrrev_b32_e32 v134, 21, v134
	s_delay_alu instid0(VALU_DEP_2) | instskip(SKIP_2) | instid1(VALU_DEP_4)
	v_cmp_gt_i32_e32 vcc_lo, 32, v133
	v_lshrrev_b32_e32 v8, 24, v8
	v_min_i32_e32 v135, 31, v133
	v_cndmask_b32_e32 v134, 3, v134, vcc_lo
	s_delay_alu instid0(VALU_DEP_3) | instskip(NEXT) | instid1(VALU_DEP_3)
	v_and_b32_e32 v8, 0x80, v8
	v_lshlrev_b32_e32 v135, 2, v135
	s_delay_alu instid0(VALU_DEP_3) | instskip(SKIP_1) | instid1(VALU_DEP_2)
	v_and_b32_e32 v145, 3, v134
	v_or_b32_e32 v133, v133, v134
	v_or3_b32 v8, v135, v8, v145
	s_delay_alu instid0(VALU_DEP_2) | instskip(NEXT) | instid1(VALU_DEP_2)
	v_cmp_ne_u32_e32 vcc_lo, 0, v133
	v_cndmask_b32_e32 v161, 0, v8, vcc_lo
.LBB2_1401:                             ;   in Loop: Header=BB2_1345 Depth=4
	s_or_b32 exec_lo, exec_lo, s37
.LBB2_1402:                             ;   in Loop: Header=BB2_1345 Depth=4
	s_delay_alu instid0(SALU_CYCLE_1) | instskip(SKIP_3) | instid1(VALU_DEP_1)
	s_or_b32 exec_lo, exec_lo, s36
	v_and_b32_e32 v133, 0xff, v9
	s_mov_b32 s14, 0
	s_mov_b32 s37, exec_lo
                                        ; implicit-def: $sgpr36
	v_cmpx_lt_i16_e64 0x7f, v133
	s_xor_b32 s37, exec_lo, s37
	s_cbranch_execnz .LBB2_1816
; %bb.1403:                             ;   in Loop: Header=BB2_1345 Depth=4
	s_or_saveexec_b32 s37, s37
	v_mov_b32_e32 v8, s36
	s_xor_b32 exec_lo, exec_lo, s37
	s_cbranch_execnz .LBB2_1819
.LBB2_1404:                             ;   in Loop: Header=BB2_1345 Depth=4
	s_or_b32 exec_lo, exec_lo, s37
	s_and_saveexec_b32 s36, s14
	s_cbranch_execz .LBB2_1406
.LBB2_1405:                             ;   in Loop: Header=BB2_1345 Depth=4
	v_and_b32_e32 v8, 3, v9
	v_bfe_u32 v135, v9, 2, 5
	s_delay_alu instid0(VALU_DEP_2) | instskip(NEXT) | instid1(VALU_DEP_2)
	v_clz_i32_u32_e32 v133, v8
	v_cmp_eq_u32_e32 vcc_lo, 0, v135
	s_delay_alu instid0(VALU_DEP_2) | instskip(NEXT) | instid1(VALU_DEP_1)
	v_min_u32_e32 v133, 32, v133
	v_subrev_nc_u32_e32 v134, 29, v133
	v_sub_nc_u32_e32 v133, 30, v133
	s_delay_alu instid0(VALU_DEP_2) | instskip(NEXT) | instid1(VALU_DEP_1)
	v_lshlrev_b32_e32 v134, v134, v9
	v_dual_cndmask_b32 v133, v135, v133 :: v_dual_and_b32 v134, 3, v134
	v_lshlrev_b32_e32 v145, 24, v9
	s_delay_alu instid0(VALU_DEP_2) | instskip(NEXT) | instid1(VALU_DEP_3)
	v_lshl_add_u32 v133, v133, 23, 0x37800000
	v_cndmask_b32_e32 v8, v8, v134, vcc_lo
	s_delay_alu instid0(VALU_DEP_3) | instskip(NEXT) | instid1(VALU_DEP_2)
	v_and_b32_e32 v134, 0x80000000, v145
	v_lshlrev_b32_e32 v8, 21, v8
	s_delay_alu instid0(VALU_DEP_1)
	v_or3_b32 v8, v134, v133, v8
.LBB2_1406:                             ;   in Loop: Header=BB2_1345 Depth=4
	s_or_b32 exec_lo, exec_lo, s36
	s_delay_alu instid0(VALU_DEP_1) | instskip(SKIP_2) | instid1(VALU_DEP_2)
	v_mul_f32_e32 v8, s35, v8
	v_mov_b32_e32 v160, 0x80
	s_mov_b32 s36, exec_lo
	v_and_b32_e32 v133, 0x7f800000, v8
	s_delay_alu instid0(VALU_DEP_1)
	v_cmpx_ne_u32_e32 0x7f800000, v133
	s_cbranch_execz .LBB2_1414
; %bb.1407:                             ;   in Loop: Header=BB2_1345 Depth=4
	v_mov_b32_e32 v160, 0
	s_mov_b32 s37, exec_lo
	v_cmpx_ne_u32_e32 0, v8
	s_cbranch_execz .LBB2_1413
; %bb.1408:                             ;   in Loop: Header=BB2_1345 Depth=4
	v_bfe_u32 v133, v8, 23, 8
	s_delay_alu instid0(VALU_DEP_1) | instskip(SKIP_1) | instid1(VALU_DEP_2)
	v_sub_nc_u32_e32 v135, 0x70, v133
	v_cmp_gt_u32_e32 vcc_lo, 0x71, v133
	v_dual_cndmask_b32 v135, 0, v135 :: v_dual_and_b32 v134, 0x7fffff, v8
	s_delay_alu instid0(VALU_DEP_1) | instskip(SKIP_2) | instid1(VALU_DEP_4)
	v_or_b32_e32 v145, 0x800000, v134
	v_cmp_eq_u32_e32 vcc_lo, 0, v133
	v_add_nc_u32_e32 v133, 0xffffff91, v133
	v_cndmask_b32_e64 v135, v135, 0x6f, vcc_lo
	s_delay_alu instid0(VALU_DEP_4) | instskip(NEXT) | instid1(VALU_DEP_3)
	v_cndmask_b32_e32 v134, v145, v134, vcc_lo
	v_cndmask_b32_e64 v133, v133, 0xffffff92, vcc_lo
	s_delay_alu instid0(VALU_DEP_3) | instskip(NEXT) | instid1(VALU_DEP_3)
	v_lshl_add_u32 v145, 0x200000, v135, -1
	v_lshrrev_b32_e32 v146, v135, v134
	v_lshlrev_b32_e64 v148, v135, 0x100000
	s_delay_alu instid0(VALU_DEP_4) | instskip(NEXT) | instid1(VALU_DEP_4)
	v_add_nc_u32_e32 v135, v135, v133
	v_and_b32_e32 v134, v145, v134
	s_delay_alu instid0(VALU_DEP_4) | instskip(NEXT) | instid1(VALU_DEP_2)
	v_bfe_u32 v147, v146, 21, 1
	v_cmp_eq_u32_e64 s14, v134, v148
	s_delay_alu instid0(VALU_DEP_2) | instskip(NEXT) | instid1(VALU_DEP_1)
	v_add_nc_u32_e32 v145, -1, v147
	v_cndmask_b32_e64 v134, 0, v145, s14
	v_lshrrev_b32_e32 v145, 23, v146
	s_mov_b32 s14, exec_lo
	s_delay_alu instid0(VALU_DEP_2) | instskip(NEXT) | instid1(VALU_DEP_2)
	v_add_nc_u32_e32 v134, v134, v146
	v_xor_b32_e32 v145, 1, v145
	s_delay_alu instid0(VALU_DEP_2) | instskip(NEXT) | instid1(VALU_DEP_1)
	v_and_b32_e32 v133, 0x1fffff, v134
	v_add_nc_u32_e32 v134, v133, v146
                                        ; implicit-def: $vgpr133
	s_delay_alu instid0(VALU_DEP_3)
	v_cmpx_ne_u32_e64 v135, v145
	s_xor_b32 s14, exec_lo, s14
; %bb.1409:                             ;   in Loop: Header=BB2_1345 Depth=4
	s_delay_alu instid0(VALU_DEP_2) | instskip(SKIP_2) | instid1(VALU_DEP_2)
	v_cmp_lt_u32_e32 vcc_lo, 0xffffff, v134
	v_sub_nc_u32_e32 v133, v135, v145
	v_cndmask_b32_e64 v135, 0, 1, vcc_lo
	v_add_co_ci_u32_e32 v133, vcc_lo, 0, v133, vcc_lo
	s_delay_alu instid0(VALU_DEP_2)
	v_lshrrev_b32_e32 v134, v135, v134
; %bb.1410:                             ;   in Loop: Header=BB2_1345 Depth=4
	s_and_not1_saveexec_b32 s14, s14
; %bb.1411:                             ;   in Loop: Header=BB2_1345 Depth=4
	s_delay_alu instid0(VALU_DEP_1)
	v_bfe_u32 v133, v134, 23, 1
; %bb.1412:                             ;   in Loop: Header=BB2_1345 Depth=4
	s_or_b32 exec_lo, exec_lo, s14
	v_lshrrev_b32_e32 v134, 21, v134
	s_delay_alu instid0(VALU_DEP_2) | instskip(SKIP_2) | instid1(VALU_DEP_2)
	v_cmp_gt_i32_e32 vcc_lo, 32, v133
	v_min_i32_e32 v135, 31, v133
	v_lshrrev_b32_e32 v8, 24, v8
	v_dual_cndmask_b32 v134, 3, v134 :: v_dual_lshlrev_b32 v135, 2, v135
	s_delay_alu instid0(VALU_DEP_2) | instskip(NEXT) | instid1(VALU_DEP_2)
	v_and_b32_e32 v8, 0x80, v8
	v_or_b32_e32 v133, v133, v134
	s_delay_alu instid0(VALU_DEP_3) | instskip(NEXT) | instid1(VALU_DEP_2)
	v_and_b32_e32 v135, 0xfc, v135
	v_cmp_ne_u32_e32 vcc_lo, 0, v133
	v_and_b32_e32 v145, 3, v134
	s_delay_alu instid0(VALU_DEP_1) | instskip(NEXT) | instid1(VALU_DEP_1)
	v_or3_b32 v8, v135, v8, v145
	v_cndmask_b32_e32 v160, 0, v8, vcc_lo
.LBB2_1413:                             ;   in Loop: Header=BB2_1345 Depth=4
	s_or_b32 exec_lo, exec_lo, s37
.LBB2_1414:                             ;   in Loop: Header=BB2_1345 Depth=4
	s_delay_alu instid0(SALU_CYCLE_1) | instskip(SKIP_3) | instid1(VALU_DEP_1)
	s_or_b32 exec_lo, exec_lo, s36
	v_lshrrev_b16 v8, 8, v9
	s_mov_b32 s14, 0
	s_mov_b32 s37, exec_lo
                                        ; implicit-def: $sgpr36
	v_cmpx_lt_i16_e32 0x7f, v8
	s_xor_b32 s37, exec_lo, s37
	s_cbranch_execnz .LBB2_1820
; %bb.1415:                             ;   in Loop: Header=BB2_1345 Depth=4
	s_or_saveexec_b32 s37, s37
	v_mov_b32_e32 v133, s36
	s_xor_b32 exec_lo, exec_lo, s37
	s_cbranch_execnz .LBB2_1823
.LBB2_1416:                             ;   in Loop: Header=BB2_1345 Depth=4
	s_or_b32 exec_lo, exec_lo, s37
	s_and_saveexec_b32 s36, s14
	s_cbranch_execz .LBB2_1418
.LBB2_1417:                             ;   in Loop: Header=BB2_1345 Depth=4
	v_and_b32_e32 v133, 0xffff, v8
	v_lshlrev_b32_e32 v8, 24, v8
	s_delay_alu instid0(VALU_DEP_2) | instskip(NEXT) | instid1(VALU_DEP_2)
	v_and_b32_e32 v134, 3, v133
	v_and_b32_e32 v8, 0x80000000, v8
	s_delay_alu instid0(VALU_DEP_2) | instskip(NEXT) | instid1(VALU_DEP_1)
	v_clz_i32_u32_e32 v135, v134
	v_min_u32_e32 v135, 32, v135
	s_delay_alu instid0(VALU_DEP_1) | instskip(SKIP_1) | instid1(VALU_DEP_2)
	v_subrev_nc_u32_e32 v145, 29, v135
	v_sub_nc_u32_e32 v135, 30, v135
	v_lshlrev_b32_e32 v145, v145, v133
	v_bfe_u32 v133, v133, 2, 5
	s_delay_alu instid0(VALU_DEP_2) | instskip(NEXT) | instid1(VALU_DEP_2)
	v_and_b32_e32 v145, 3, v145
	v_cmp_eq_u32_e32 vcc_lo, 0, v133
	s_delay_alu instid0(VALU_DEP_2) | instskip(NEXT) | instid1(VALU_DEP_1)
	v_dual_cndmask_b32 v133, v133, v135 :: v_dual_cndmask_b32 v134, v134, v145
	v_lshl_add_u32 v133, v133, 23, 0x37800000
	s_delay_alu instid0(VALU_DEP_2) | instskip(NEXT) | instid1(VALU_DEP_1)
	v_lshlrev_b32_e32 v134, 21, v134
	v_or3_b32 v133, v8, v133, v134
.LBB2_1418:                             ;   in Loop: Header=BB2_1345 Depth=4
	s_or_b32 exec_lo, exec_lo, s36
	s_delay_alu instid0(VALU_DEP_1) | instskip(SKIP_1) | instid1(VALU_DEP_1)
	v_dual_mul_f32 v8, s35, v133 :: v_dual_mov_b32 v163, 0x8000
	s_mov_b32 s36, exec_lo
	v_and_b32_e32 v133, 0x7f800000, v8
	s_delay_alu instid0(VALU_DEP_1)
	v_cmpx_ne_u32_e32 0x7f800000, v133
	s_cbranch_execz .LBB2_1426
; %bb.1419:                             ;   in Loop: Header=BB2_1345 Depth=4
	v_mov_b32_e32 v163, 0
	s_mov_b32 s37, exec_lo
	v_cmpx_ne_u32_e32 0, v8
	s_cbranch_execz .LBB2_1425
; %bb.1420:                             ;   in Loop: Header=BB2_1345 Depth=4
	v_bfe_u32 v133, v8, 23, 8
	s_delay_alu instid0(VALU_DEP_1) | instskip(SKIP_1) | instid1(VALU_DEP_2)
	v_sub_nc_u32_e32 v135, 0x70, v133
	v_cmp_gt_u32_e32 vcc_lo, 0x71, v133
	v_dual_cndmask_b32 v135, 0, v135 :: v_dual_and_b32 v134, 0x7fffff, v8
	s_delay_alu instid0(VALU_DEP_1) | instskip(SKIP_2) | instid1(VALU_DEP_4)
	v_or_b32_e32 v145, 0x800000, v134
	v_cmp_eq_u32_e32 vcc_lo, 0, v133
	v_add_nc_u32_e32 v133, 0xffffff91, v133
	v_cndmask_b32_e64 v135, v135, 0x6f, vcc_lo
	s_delay_alu instid0(VALU_DEP_4) | instskip(NEXT) | instid1(VALU_DEP_3)
	v_cndmask_b32_e32 v134, v145, v134, vcc_lo
	v_cndmask_b32_e64 v133, v133, 0xffffff92, vcc_lo
	s_delay_alu instid0(VALU_DEP_3) | instskip(NEXT) | instid1(VALU_DEP_3)
	v_lshl_add_u32 v145, 0x200000, v135, -1
	v_lshrrev_b32_e32 v146, v135, v134
	v_lshlrev_b32_e64 v148, v135, 0x100000
	s_delay_alu instid0(VALU_DEP_4) | instskip(NEXT) | instid1(VALU_DEP_4)
	v_add_nc_u32_e32 v135, v135, v133
	v_and_b32_e32 v134, v145, v134
	s_delay_alu instid0(VALU_DEP_4) | instskip(NEXT) | instid1(VALU_DEP_2)
	v_bfe_u32 v147, v146, 21, 1
	v_cmp_eq_u32_e64 s14, v134, v148
	s_delay_alu instid0(VALU_DEP_2) | instskip(NEXT) | instid1(VALU_DEP_1)
	v_add_nc_u32_e32 v145, -1, v147
	v_cndmask_b32_e64 v134, 0, v145, s14
	v_lshrrev_b32_e32 v145, 23, v146
	s_mov_b32 s14, exec_lo
	s_delay_alu instid0(VALU_DEP_2) | instskip(NEXT) | instid1(VALU_DEP_2)
	v_add_nc_u32_e32 v134, v134, v146
	v_xor_b32_e32 v145, 1, v145
	s_delay_alu instid0(VALU_DEP_2) | instskip(NEXT) | instid1(VALU_DEP_1)
	v_and_b32_e32 v133, 0x1fffff, v134
	v_add_nc_u32_e32 v134, v133, v146
                                        ; implicit-def: $vgpr133
	s_delay_alu instid0(VALU_DEP_3)
	v_cmpx_ne_u32_e64 v135, v145
	s_xor_b32 s14, exec_lo, s14
; %bb.1421:                             ;   in Loop: Header=BB2_1345 Depth=4
	s_delay_alu instid0(VALU_DEP_2) | instskip(SKIP_2) | instid1(VALU_DEP_2)
	v_cmp_lt_u32_e32 vcc_lo, 0xffffff, v134
	v_sub_nc_u32_e32 v133, v135, v145
	v_cndmask_b32_e64 v135, 0, 1, vcc_lo
	v_add_co_ci_u32_e32 v133, vcc_lo, 0, v133, vcc_lo
	s_delay_alu instid0(VALU_DEP_2)
	v_lshrrev_b32_e32 v134, v135, v134
; %bb.1422:                             ;   in Loop: Header=BB2_1345 Depth=4
	s_and_not1_saveexec_b32 s14, s14
; %bb.1423:                             ;   in Loop: Header=BB2_1345 Depth=4
	s_delay_alu instid0(VALU_DEP_1)
	v_bfe_u32 v133, v134, 23, 1
; %bb.1424:                             ;   in Loop: Header=BB2_1345 Depth=4
	s_or_b32 exec_lo, exec_lo, s14
	v_lshrrev_b32_e32 v134, 21, v134
	s_delay_alu instid0(VALU_DEP_2) | instskip(SKIP_2) | instid1(VALU_DEP_3)
	v_min_i32_e32 v135, 31, v133
	v_cmp_gt_i32_e32 vcc_lo, 32, v133
	v_lshrrev_b32_e32 v8, 24, v8
	v_dual_cndmask_b32 v134, 3, v134 :: v_dual_lshlrev_b32 v135, 2, v135
	s_delay_alu instid0(VALU_DEP_2) | instskip(NEXT) | instid1(VALU_DEP_2)
	v_and_b32_e32 v8, 0x80, v8
	v_and_b32_e32 v135, 0xfc, v135
	s_delay_alu instid0(VALU_DEP_3) | instskip(SKIP_1) | instid1(VALU_DEP_2)
	v_and_b32_e32 v145, 3, v134
	v_or_b32_e32 v133, v133, v134
	v_or3_b32 v8, v8, v135, v145
	s_delay_alu instid0(VALU_DEP_2) | instskip(NEXT) | instid1(VALU_DEP_2)
	v_cmp_ne_u32_e32 vcc_lo, 0, v133
	v_lshlrev_b32_e32 v8, 8, v8
	s_delay_alu instid0(VALU_DEP_1)
	v_cndmask_b32_e32 v163, 0, v8, vcc_lo
.LBB2_1425:                             ;   in Loop: Header=BB2_1345 Depth=4
	s_or_b32 exec_lo, exec_lo, s37
.LBB2_1426:                             ;   in Loop: Header=BB2_1345 Depth=4
	s_delay_alu instid0(SALU_CYCLE_1) | instskip(SKIP_3) | instid1(VALU_DEP_1)
	s_or_b32 exec_lo, exec_lo, s36
	v_lshrrev_b32_e32 v8, 16, v9
	s_mov_b32 s14, 0
	s_mov_b32 s37, exec_lo
                                        ; implicit-def: $sgpr36
	v_and_b32_e32 v134, 0xff, v8
	s_delay_alu instid0(VALU_DEP_1)
	v_cmpx_lt_i16_e64 0x7f, v134
	s_xor_b32 s37, exec_lo, s37
	s_cbranch_execnz .LBB2_1824
; %bb.1427:                             ;   in Loop: Header=BB2_1345 Depth=4
	s_or_saveexec_b32 s37, s37
	v_mov_b32_e32 v133, s36
	s_xor_b32 exec_lo, exec_lo, s37
	s_cbranch_execnz .LBB2_1827
.LBB2_1428:                             ;   in Loop: Header=BB2_1345 Depth=4
	s_or_b32 exec_lo, exec_lo, s37
	s_and_saveexec_b32 s36, s14
	s_cbranch_execz .LBB2_1430
.LBB2_1429:                             ;   in Loop: Header=BB2_1345 Depth=4
	v_bfe_u32 v133, v9, 16, 2
	s_delay_alu instid0(VALU_DEP_1) | instskip(NEXT) | instid1(VALU_DEP_1)
	v_clz_i32_u32_e32 v134, v133
	v_min_u32_e32 v134, 32, v134
	s_delay_alu instid0(VALU_DEP_1) | instskip(SKIP_1) | instid1(VALU_DEP_2)
	v_subrev_nc_u32_e32 v135, 29, v134
	v_sub_nc_u32_e32 v134, 30, v134
	v_lshlrev_b32_e32 v8, v135, v8
	v_bfe_u32 v135, v9, 18, 5
	s_delay_alu instid0(VALU_DEP_2) | instskip(NEXT) | instid1(VALU_DEP_2)
	v_and_b32_e32 v8, 3, v8
	v_cmp_eq_u32_e32 vcc_lo, 0, v135
	v_dual_cndmask_b32 v134, v135, v134 :: v_dual_lshlrev_b32 v145, 8, v9
	s_delay_alu instid0(VALU_DEP_1) | instskip(NEXT) | instid1(VALU_DEP_2)
	v_dual_cndmask_b32 v8, v133, v8 :: v_dual_and_b32 v133, 0x80000000, v145
	v_lshl_add_u32 v134, v134, 23, 0x37800000
	s_delay_alu instid0(VALU_DEP_2) | instskip(NEXT) | instid1(VALU_DEP_1)
	v_lshlrev_b32_e32 v8, 21, v8
	v_or3_b32 v133, v133, v134, v8
.LBB2_1430:                             ;   in Loop: Header=BB2_1345 Depth=4
	s_or_b32 exec_lo, exec_lo, s36
	s_delay_alu instid0(VALU_DEP_1) | instskip(SKIP_1) | instid1(VALU_DEP_1)
	v_dual_mul_f32 v8, s35, v133 :: v_dual_mov_b32 v151, 0x80
	s_mov_b32 s36, exec_lo
	v_and_b32_e32 v133, 0x7f800000, v8
	s_delay_alu instid0(VALU_DEP_1)
	v_cmpx_ne_u32_e32 0x7f800000, v133
	s_cbranch_execz .LBB2_1438
; %bb.1431:                             ;   in Loop: Header=BB2_1345 Depth=4
	v_mov_b32_e32 v151, 0
	s_mov_b32 s37, exec_lo
	v_cmpx_ne_u32_e32 0, v8
	s_cbranch_execz .LBB2_1437
; %bb.1432:                             ;   in Loop: Header=BB2_1345 Depth=4
	v_bfe_u32 v133, v8, 23, 8
	s_delay_alu instid0(VALU_DEP_1) | instskip(SKIP_1) | instid1(VALU_DEP_2)
	v_sub_nc_u32_e32 v135, 0x70, v133
	v_cmp_gt_u32_e32 vcc_lo, 0x71, v133
	v_dual_cndmask_b32 v135, 0, v135 :: v_dual_and_b32 v134, 0x7fffff, v8
	s_delay_alu instid0(VALU_DEP_1) | instskip(SKIP_2) | instid1(VALU_DEP_4)
	v_or_b32_e32 v145, 0x800000, v134
	v_cmp_eq_u32_e32 vcc_lo, 0, v133
	v_add_nc_u32_e32 v133, 0xffffff91, v133
	v_cndmask_b32_e64 v135, v135, 0x6f, vcc_lo
	s_delay_alu instid0(VALU_DEP_4) | instskip(NEXT) | instid1(VALU_DEP_3)
	v_cndmask_b32_e32 v134, v145, v134, vcc_lo
	v_cndmask_b32_e64 v133, v133, 0xffffff92, vcc_lo
	s_delay_alu instid0(VALU_DEP_3) | instskip(NEXT) | instid1(VALU_DEP_3)
	v_lshl_add_u32 v145, 0x200000, v135, -1
	v_lshrrev_b32_e32 v146, v135, v134
	v_lshlrev_b32_e64 v148, v135, 0x100000
	s_delay_alu instid0(VALU_DEP_4) | instskip(NEXT) | instid1(VALU_DEP_4)
	v_add_nc_u32_e32 v135, v135, v133
	v_and_b32_e32 v134, v145, v134
	s_delay_alu instid0(VALU_DEP_4) | instskip(NEXT) | instid1(VALU_DEP_2)
	v_bfe_u32 v147, v146, 21, 1
	v_cmp_eq_u32_e64 s14, v134, v148
	s_delay_alu instid0(VALU_DEP_2) | instskip(NEXT) | instid1(VALU_DEP_1)
	v_add_nc_u32_e32 v145, -1, v147
	v_cndmask_b32_e64 v134, 0, v145, s14
	v_lshrrev_b32_e32 v145, 23, v146
	s_mov_b32 s14, exec_lo
	s_delay_alu instid0(VALU_DEP_2) | instskip(NEXT) | instid1(VALU_DEP_2)
	v_add_nc_u32_e32 v134, v134, v146
	v_xor_b32_e32 v145, 1, v145
	s_delay_alu instid0(VALU_DEP_2) | instskip(NEXT) | instid1(VALU_DEP_1)
	v_and_b32_e32 v133, 0x1fffff, v134
	v_add_nc_u32_e32 v134, v133, v146
                                        ; implicit-def: $vgpr133
	s_delay_alu instid0(VALU_DEP_3)
	v_cmpx_ne_u32_e64 v135, v145
	s_xor_b32 s14, exec_lo, s14
; %bb.1433:                             ;   in Loop: Header=BB2_1345 Depth=4
	s_delay_alu instid0(VALU_DEP_2) | instskip(SKIP_2) | instid1(VALU_DEP_2)
	v_cmp_lt_u32_e32 vcc_lo, 0xffffff, v134
	v_sub_nc_u32_e32 v133, v135, v145
	v_cndmask_b32_e64 v135, 0, 1, vcc_lo
	v_add_co_ci_u32_e32 v133, vcc_lo, 0, v133, vcc_lo
	s_delay_alu instid0(VALU_DEP_2)
	v_lshrrev_b32_e32 v134, v135, v134
; %bb.1434:                             ;   in Loop: Header=BB2_1345 Depth=4
	s_and_not1_saveexec_b32 s14, s14
; %bb.1435:                             ;   in Loop: Header=BB2_1345 Depth=4
	s_delay_alu instid0(VALU_DEP_1)
	v_bfe_u32 v133, v134, 23, 1
; %bb.1436:                             ;   in Loop: Header=BB2_1345 Depth=4
	s_or_b32 exec_lo, exec_lo, s14
	v_lshrrev_b32_e32 v134, 21, v134
	s_delay_alu instid0(VALU_DEP_2) | instskip(SKIP_2) | instid1(VALU_DEP_3)
	v_min_i32_e32 v135, 31, v133
	v_cmp_gt_i32_e32 vcc_lo, 32, v133
	v_lshrrev_b32_e32 v8, 24, v8
	v_dual_cndmask_b32 v134, 3, v134 :: v_dual_lshlrev_b32 v135, 2, v135
	s_delay_alu instid0(VALU_DEP_2) | instskip(NEXT) | instid1(VALU_DEP_2)
	v_and_b32_e32 v8, 0x80, v8
	v_and_b32_e32 v135, 0xfc, v135
	s_delay_alu instid0(VALU_DEP_3) | instskip(SKIP_1) | instid1(VALU_DEP_2)
	v_and_b32_e32 v145, 3, v134
	v_or_b32_e32 v133, v133, v134
	v_or3_b32 v8, v135, v8, v145
	s_delay_alu instid0(VALU_DEP_2) | instskip(NEXT) | instid1(VALU_DEP_2)
	v_cmp_ne_u32_e32 vcc_lo, 0, v133
	v_cndmask_b32_e32 v151, 0, v8, vcc_lo
.LBB2_1437:                             ;   in Loop: Header=BB2_1345 Depth=4
	s_or_b32 exec_lo, exec_lo, s37
.LBB2_1438:                             ;   in Loop: Header=BB2_1345 Depth=4
	s_delay_alu instid0(SALU_CYCLE_1) | instskip(SKIP_3) | instid1(VALU_DEP_1)
	s_or_b32 exec_lo, exec_lo, s36
	v_lshrrev_b32_e32 v8, 24, v9
	s_mov_b32 s14, 0
	s_mov_b32 s37, exec_lo
                                        ; implicit-def: $sgpr36
	v_cmpx_lt_i16_e32 0x7f, v8
	s_xor_b32 s37, exec_lo, s37
	s_cbranch_execnz .LBB2_1828
; %bb.1439:                             ;   in Loop: Header=BB2_1345 Depth=4
	s_or_saveexec_b32 s37, s37
	v_mov_b32_e32 v133, s36
	s_xor_b32 exec_lo, exec_lo, s37
	s_cbranch_execnz .LBB2_1831
.LBB2_1440:                             ;   in Loop: Header=BB2_1345 Depth=4
	s_or_b32 exec_lo, exec_lo, s37
	s_and_saveexec_b32 s36, s14
	s_cbranch_execz .LBB2_1442
.LBB2_1441:                             ;   in Loop: Header=BB2_1345 Depth=4
	v_bfe_u32 v133, v9, 24, 2
	s_delay_alu instid0(VALU_DEP_1) | instskip(NEXT) | instid1(VALU_DEP_1)
	v_clz_i32_u32_e32 v134, v133
	v_min_u32_e32 v134, 32, v134
	s_delay_alu instid0(VALU_DEP_1) | instskip(SKIP_1) | instid1(VALU_DEP_2)
	v_subrev_nc_u32_e32 v135, 29, v134
	v_sub_nc_u32_e32 v134, 30, v134
	v_lshlrev_b32_e32 v8, v135, v8
	v_bfe_u32 v135, v9, 26, 5
	v_and_b32_e32 v9, 0x80000000, v9
	s_delay_alu instid0(VALU_DEP_3) | instskip(NEXT) | instid1(VALU_DEP_3)
	v_and_b32_e32 v8, 3, v8
	v_cmp_eq_u32_e32 vcc_lo, 0, v135
	v_cndmask_b32_e32 v134, v135, v134, vcc_lo
	s_delay_alu instid0(VALU_DEP_3) | instskip(NEXT) | instid1(VALU_DEP_2)
	v_cndmask_b32_e32 v8, v133, v8, vcc_lo
	v_lshl_add_u32 v133, v134, 23, 0x37800000
	s_delay_alu instid0(VALU_DEP_2) | instskip(NEXT) | instid1(VALU_DEP_1)
	v_lshlrev_b32_e32 v8, 21, v8
	v_or3_b32 v133, v9, v133, v8
.LBB2_1442:                             ;   in Loop: Header=BB2_1345 Depth=4
	s_or_b32 exec_lo, exec_lo, s36
	s_delay_alu instid0(VALU_DEP_1) | instskip(SKIP_2) | instid1(VALU_DEP_2)
	v_mul_f32_e32 v8, s35, v133
	v_mov_b32_e32 v162, 0x8000
	s_mov_b32 s36, exec_lo
	v_and_b32_e32 v9, 0x7f800000, v8
	s_delay_alu instid0(VALU_DEP_1)
	v_cmpx_ne_u32_e32 0x7f800000, v9
	s_cbranch_execz .LBB2_1450
; %bb.1443:                             ;   in Loop: Header=BB2_1345 Depth=4
	v_mov_b32_e32 v162, 0
	s_mov_b32 s37, exec_lo
	v_cmpx_ne_u32_e32 0, v8
	s_cbranch_execz .LBB2_1449
; %bb.1444:                             ;   in Loop: Header=BB2_1345 Depth=4
	v_bfe_u32 v9, v8, 23, 8
	s_delay_alu instid0(VALU_DEP_1) | instskip(SKIP_1) | instid1(VALU_DEP_2)
	v_sub_nc_u32_e32 v134, 0x70, v9
	v_cmp_gt_u32_e32 vcc_lo, 0x71, v9
	v_dual_cndmask_b32 v134, 0, v134 :: v_dual_and_b32 v133, 0x7fffff, v8
	s_delay_alu instid0(VALU_DEP_1) | instskip(SKIP_2) | instid1(VALU_DEP_4)
	v_or_b32_e32 v135, 0x800000, v133
	v_cmp_eq_u32_e32 vcc_lo, 0, v9
	v_add_nc_u32_e32 v9, 0xffffff91, v9
	v_cndmask_b32_e64 v134, v134, 0x6f, vcc_lo
	s_delay_alu instid0(VALU_DEP_4) | instskip(NEXT) | instid1(VALU_DEP_3)
	v_cndmask_b32_e32 v133, v135, v133, vcc_lo
	v_cndmask_b32_e64 v9, v9, 0xffffff92, vcc_lo
	s_delay_alu instid0(VALU_DEP_3) | instskip(NEXT) | instid1(VALU_DEP_3)
	v_lshl_add_u32 v135, 0x200000, v134, -1
	v_lshrrev_b32_e32 v145, v134, v133
	v_lshlrev_b32_e64 v147, v134, 0x100000
	s_delay_alu instid0(VALU_DEP_4) | instskip(NEXT) | instid1(VALU_DEP_4)
	v_add_nc_u32_e32 v134, v134, v9
	v_and_b32_e32 v133, v135, v133
	s_delay_alu instid0(VALU_DEP_4) | instskip(NEXT) | instid1(VALU_DEP_2)
	v_bfe_u32 v146, v145, 21, 1
	v_cmp_eq_u32_e64 s14, v133, v147
	s_delay_alu instid0(VALU_DEP_2) | instskip(NEXT) | instid1(VALU_DEP_1)
	v_add_nc_u32_e32 v135, -1, v146
	v_cndmask_b32_e64 v133, 0, v135, s14
	v_lshrrev_b32_e32 v135, 23, v145
	s_mov_b32 s14, exec_lo
	s_delay_alu instid0(VALU_DEP_2) | instskip(NEXT) | instid1(VALU_DEP_2)
	v_add_nc_u32_e32 v133, v133, v145
	v_xor_b32_e32 v135, 1, v135
	s_delay_alu instid0(VALU_DEP_2) | instskip(NEXT) | instid1(VALU_DEP_1)
	v_and_b32_e32 v9, 0x1fffff, v133
	v_add_nc_u32_e32 v133, v9, v145
                                        ; implicit-def: $vgpr9
	s_delay_alu instid0(VALU_DEP_3)
	v_cmpx_ne_u32_e64 v134, v135
	s_xor_b32 s14, exec_lo, s14
; %bb.1445:                             ;   in Loop: Header=BB2_1345 Depth=4
	s_delay_alu instid0(VALU_DEP_2) | instskip(SKIP_2) | instid1(VALU_DEP_2)
	v_cmp_lt_u32_e32 vcc_lo, 0xffffff, v133
	v_sub_nc_u32_e32 v9, v134, v135
	v_cndmask_b32_e64 v134, 0, 1, vcc_lo
	v_add_co_ci_u32_e32 v9, vcc_lo, 0, v9, vcc_lo
	s_delay_alu instid0(VALU_DEP_2)
	v_lshrrev_b32_e32 v133, v134, v133
; %bb.1446:                             ;   in Loop: Header=BB2_1345 Depth=4
	s_and_not1_saveexec_b32 s14, s14
; %bb.1447:                             ;   in Loop: Header=BB2_1345 Depth=4
	s_delay_alu instid0(VALU_DEP_1)
	v_bfe_u32 v9, v133, 23, 1
; %bb.1448:                             ;   in Loop: Header=BB2_1345 Depth=4
	s_or_b32 exec_lo, exec_lo, s14
	v_lshrrev_b32_e32 v133, 21, v133
	s_delay_alu instid0(VALU_DEP_2) | instskip(SKIP_2) | instid1(VALU_DEP_2)
	v_cmp_gt_i32_e32 vcc_lo, 32, v9
	v_min_i32_e32 v134, 31, v9
	v_lshrrev_b32_e32 v8, 24, v8
	v_dual_cndmask_b32 v133, 3, v133 :: v_dual_lshlrev_b32 v134, 2, v134
	s_delay_alu instid0(VALU_DEP_2) | instskip(NEXT) | instid1(VALU_DEP_2)
	v_and_b32_e32 v8, 0x80, v8
	v_or_b32_e32 v9, v9, v133
	s_delay_alu instid0(VALU_DEP_3) | instskip(NEXT) | instid1(VALU_DEP_2)
	v_and_b32_e32 v134, 0xfc, v134
	v_cmp_ne_u32_e32 vcc_lo, 0, v9
	v_and_b32_e32 v135, 3, v133
	s_delay_alu instid0(VALU_DEP_1) | instskip(NEXT) | instid1(VALU_DEP_1)
	v_or3_b32 v8, v8, v134, v135
	v_lshlrev_b32_e32 v8, 8, v8
	s_delay_alu instid0(VALU_DEP_1)
	v_cndmask_b32_e32 v162, 0, v8, vcc_lo
.LBB2_1449:                             ;   in Loop: Header=BB2_1345 Depth=4
	s_or_b32 exec_lo, exec_lo, s37
.LBB2_1450:                             ;   in Loop: Header=BB2_1345 Depth=4
	s_delay_alu instid0(SALU_CYCLE_1) | instskip(SKIP_3) | instid1(VALU_DEP_1)
	s_or_b32 exec_lo, exec_lo, s36
	v_and_b32_e32 v9, 0xff, v10
	s_mov_b32 s14, 0
	s_mov_b32 s37, exec_lo
                                        ; implicit-def: $sgpr36
	v_cmpx_lt_i16_e32 0x7f, v9
	s_xor_b32 s37, exec_lo, s37
	s_cbranch_execnz .LBB2_1832
; %bb.1451:                             ;   in Loop: Header=BB2_1345 Depth=4
	s_or_saveexec_b32 s37, s37
	v_mov_b32_e32 v8, s36
	s_xor_b32 exec_lo, exec_lo, s37
	s_cbranch_execnz .LBB2_1835
.LBB2_1452:                             ;   in Loop: Header=BB2_1345 Depth=4
	s_or_b32 exec_lo, exec_lo, s37
	s_and_saveexec_b32 s36, s14
	s_cbranch_execz .LBB2_1454
.LBB2_1453:                             ;   in Loop: Header=BB2_1345 Depth=4
	v_bfe_u32 v134, v10, 2, 5
	s_delay_alu instid0(VALU_DEP_1) | instskip(SKIP_1) | instid1(VALU_DEP_1)
	v_cmp_eq_u32_e32 vcc_lo, 0, v134
	v_and_b32_e32 v8, 3, v10
	v_clz_i32_u32_e32 v9, v8
	s_delay_alu instid0(VALU_DEP_1) | instskip(NEXT) | instid1(VALU_DEP_1)
	v_min_u32_e32 v9, 32, v9
	v_subrev_nc_u32_e32 v133, 29, v9
	v_sub_nc_u32_e32 v9, 30, v9
	s_delay_alu instid0(VALU_DEP_2) | instskip(NEXT) | instid1(VALU_DEP_2)
	v_lshlrev_b32_e32 v133, v133, v10
	v_cndmask_b32_e32 v9, v134, v9, vcc_lo
	s_delay_alu instid0(VALU_DEP_2) | instskip(SKIP_1) | instid1(VALU_DEP_3)
	v_and_b32_e32 v133, 3, v133
	v_lshlrev_b32_e32 v135, 24, v10
	v_lshl_add_u32 v9, v9, 23, 0x37800000
	s_delay_alu instid0(VALU_DEP_2) | instskip(NEXT) | instid1(VALU_DEP_1)
	v_dual_cndmask_b32 v8, v8, v133 :: v_dual_and_b32 v133, 0x80000000, v135
	v_lshlrev_b32_e32 v8, 21, v8
	s_delay_alu instid0(VALU_DEP_1)
	v_or3_b32 v8, v133, v9, v8
.LBB2_1454:                             ;   in Loop: Header=BB2_1345 Depth=4
	s_or_b32 exec_lo, exec_lo, s36
	s_delay_alu instid0(VALU_DEP_1) | instskip(SKIP_1) | instid1(VALU_DEP_1)
	v_dual_mul_f32 v8, s35, v8 :: v_dual_mov_b32 v149, 0x80
	s_mov_b32 s36, exec_lo
	v_and_b32_e32 v9, 0x7f800000, v8
	s_delay_alu instid0(VALU_DEP_1)
	v_cmpx_ne_u32_e32 0x7f800000, v9
	s_cbranch_execz .LBB2_1462
; %bb.1455:                             ;   in Loop: Header=BB2_1345 Depth=4
	v_mov_b32_e32 v149, 0
	s_mov_b32 s37, exec_lo
	v_cmpx_ne_u32_e32 0, v8
	s_cbranch_execz .LBB2_1461
; %bb.1456:                             ;   in Loop: Header=BB2_1345 Depth=4
	v_bfe_u32 v9, v8, 23, 8
	s_delay_alu instid0(VALU_DEP_1) | instskip(SKIP_1) | instid1(VALU_DEP_2)
	v_sub_nc_u32_e32 v134, 0x70, v9
	v_cmp_gt_u32_e32 vcc_lo, 0x71, v9
	v_dual_cndmask_b32 v134, 0, v134 :: v_dual_and_b32 v133, 0x7fffff, v8
	s_delay_alu instid0(VALU_DEP_1) | instskip(SKIP_2) | instid1(VALU_DEP_4)
	v_or_b32_e32 v135, 0x800000, v133
	v_cmp_eq_u32_e32 vcc_lo, 0, v9
	v_add_nc_u32_e32 v9, 0xffffff91, v9
	v_cndmask_b32_e64 v134, v134, 0x6f, vcc_lo
	s_delay_alu instid0(VALU_DEP_4) | instskip(NEXT) | instid1(VALU_DEP_3)
	v_cndmask_b32_e32 v133, v135, v133, vcc_lo
	v_cndmask_b32_e64 v9, v9, 0xffffff92, vcc_lo
	s_delay_alu instid0(VALU_DEP_3) | instskip(NEXT) | instid1(VALU_DEP_3)
	v_lshl_add_u32 v135, 0x200000, v134, -1
	v_lshrrev_b32_e32 v145, v134, v133
	v_lshlrev_b32_e64 v147, v134, 0x100000
	s_delay_alu instid0(VALU_DEP_4) | instskip(NEXT) | instid1(VALU_DEP_4)
	v_add_nc_u32_e32 v134, v134, v9
	v_and_b32_e32 v133, v135, v133
	s_delay_alu instid0(VALU_DEP_4) | instskip(NEXT) | instid1(VALU_DEP_2)
	v_bfe_u32 v146, v145, 21, 1
	v_cmp_eq_u32_e64 s14, v133, v147
	s_delay_alu instid0(VALU_DEP_2) | instskip(NEXT) | instid1(VALU_DEP_1)
	v_add_nc_u32_e32 v135, -1, v146
	v_cndmask_b32_e64 v133, 0, v135, s14
	v_lshrrev_b32_e32 v135, 23, v145
	s_mov_b32 s14, exec_lo
	s_delay_alu instid0(VALU_DEP_2) | instskip(NEXT) | instid1(VALU_DEP_2)
	v_add_nc_u32_e32 v133, v133, v145
	v_xor_b32_e32 v135, 1, v135
	s_delay_alu instid0(VALU_DEP_2) | instskip(NEXT) | instid1(VALU_DEP_1)
	v_and_b32_e32 v9, 0x1fffff, v133
	v_add_nc_u32_e32 v133, v9, v145
                                        ; implicit-def: $vgpr9
	s_delay_alu instid0(VALU_DEP_3)
	v_cmpx_ne_u32_e64 v134, v135
	s_xor_b32 s14, exec_lo, s14
; %bb.1457:                             ;   in Loop: Header=BB2_1345 Depth=4
	s_delay_alu instid0(VALU_DEP_2) | instskip(SKIP_2) | instid1(VALU_DEP_2)
	v_cmp_lt_u32_e32 vcc_lo, 0xffffff, v133
	v_sub_nc_u32_e32 v9, v134, v135
	v_cndmask_b32_e64 v134, 0, 1, vcc_lo
	v_add_co_ci_u32_e32 v9, vcc_lo, 0, v9, vcc_lo
	s_delay_alu instid0(VALU_DEP_2)
	v_lshrrev_b32_e32 v133, v134, v133
; %bb.1458:                             ;   in Loop: Header=BB2_1345 Depth=4
	s_and_not1_saveexec_b32 s14, s14
; %bb.1459:                             ;   in Loop: Header=BB2_1345 Depth=4
	s_delay_alu instid0(VALU_DEP_1)
	v_bfe_u32 v9, v133, 23, 1
; %bb.1460:                             ;   in Loop: Header=BB2_1345 Depth=4
	s_or_b32 exec_lo, exec_lo, s14
	v_lshrrev_b32_e32 v133, 21, v133
	s_delay_alu instid0(VALU_DEP_2) | instskip(SKIP_2) | instid1(VALU_DEP_2)
	v_cmp_gt_i32_e32 vcc_lo, 32, v9
	v_lshrrev_b32_e32 v8, 24, v8
	v_min_i32_e32 v134, 31, v9
	v_dual_cndmask_b32 v133, 3, v133 :: v_dual_and_b32 v8, 0x80, v8
	s_delay_alu instid0(VALU_DEP_1) | instskip(SKIP_1) | instid1(VALU_DEP_2)
	v_or_b32_e32 v9, v9, v133
	v_and_b32_e32 v135, 3, v133
	v_cmp_ne_u32_e32 vcc_lo, 0, v9
	v_lshlrev_b32_e32 v134, 2, v134
	s_delay_alu instid0(VALU_DEP_1) | instskip(NEXT) | instid1(VALU_DEP_1)
	v_or3_b32 v8, v134, v8, v135
	v_cndmask_b32_e32 v149, 0, v8, vcc_lo
.LBB2_1461:                             ;   in Loop: Header=BB2_1345 Depth=4
	s_or_b32 exec_lo, exec_lo, s37
.LBB2_1462:                             ;   in Loop: Header=BB2_1345 Depth=4
	s_delay_alu instid0(SALU_CYCLE_1) | instskip(SKIP_3) | instid1(VALU_DEP_1)
	s_or_b32 exec_lo, exec_lo, s36
	v_lshrrev_b16 v8, 8, v10
	s_mov_b32 s14, 0
	s_mov_b32 s37, exec_lo
                                        ; implicit-def: $sgpr36
	v_cmpx_lt_i16_e32 0x7f, v8
	s_xor_b32 s37, exec_lo, s37
	s_cbranch_execnz .LBB2_1836
; %bb.1463:                             ;   in Loop: Header=BB2_1345 Depth=4
	s_or_saveexec_b32 s37, s37
	v_mov_b32_e32 v9, s36
	s_xor_b32 exec_lo, exec_lo, s37
	s_cbranch_execnz .LBB2_1839
.LBB2_1464:                             ;   in Loop: Header=BB2_1345 Depth=4
	s_or_b32 exec_lo, exec_lo, s37
	s_and_saveexec_b32 s36, s14
	s_cbranch_execz .LBB2_1466
.LBB2_1465:                             ;   in Loop: Header=BB2_1345 Depth=4
	v_and_b32_e32 v9, 0xffff, v8
	s_delay_alu instid0(VALU_DEP_1) | instskip(NEXT) | instid1(VALU_DEP_1)
	v_and_b32_e32 v133, 3, v9
	v_clz_i32_u32_e32 v134, v133
	s_delay_alu instid0(VALU_DEP_1) | instskip(NEXT) | instid1(VALU_DEP_1)
	v_min_u32_e32 v134, 32, v134
	v_subrev_nc_u32_e32 v135, 29, v134
	v_sub_nc_u32_e32 v134, 30, v134
	s_delay_alu instid0(VALU_DEP_2) | instskip(SKIP_1) | instid1(VALU_DEP_2)
	v_lshlrev_b32_e32 v135, v135, v9
	v_bfe_u32 v9, v9, 2, 5
	v_and_b32_e32 v135, 3, v135
	s_delay_alu instid0(VALU_DEP_2) | instskip(SKIP_1) | instid1(VALU_DEP_1)
	v_cmp_eq_u32_e32 vcc_lo, 0, v9
	v_dual_cndmask_b32 v9, v9, v134 :: v_dual_lshlrev_b32 v8, 24, v8
	v_dual_cndmask_b32 v133, v133, v135 :: v_dual_and_b32 v8, 0x80000000, v8
	s_delay_alu instid0(VALU_DEP_2) | instskip(NEXT) | instid1(VALU_DEP_2)
	v_lshl_add_u32 v9, v9, 23, 0x37800000
	v_lshlrev_b32_e32 v133, 21, v133
	s_delay_alu instid0(VALU_DEP_1)
	v_or3_b32 v9, v8, v9, v133
.LBB2_1466:                             ;   in Loop: Header=BB2_1345 Depth=4
	s_or_b32 exec_lo, exec_lo, s36
	s_delay_alu instid0(VALU_DEP_1) | instskip(SKIP_1) | instid1(VALU_DEP_1)
	v_dual_mul_f32 v8, s35, v9 :: v_dual_mov_b32 v147, 0x80
	s_mov_b32 s36, exec_lo
	v_and_b32_e32 v9, 0x7f800000, v8
	s_delay_alu instid0(VALU_DEP_1)
	v_cmpx_ne_u32_e32 0x7f800000, v9
	s_cbranch_execz .LBB2_1474
; %bb.1467:                             ;   in Loop: Header=BB2_1345 Depth=4
	v_mov_b32_e32 v147, 0
	s_mov_b32 s37, exec_lo
	v_cmpx_ne_u32_e32 0, v8
	s_cbranch_execz .LBB2_1473
; %bb.1468:                             ;   in Loop: Header=BB2_1345 Depth=4
	v_bfe_u32 v9, v8, 23, 8
	s_delay_alu instid0(VALU_DEP_1) | instskip(SKIP_1) | instid1(VALU_DEP_2)
	v_sub_nc_u32_e32 v134, 0x70, v9
	v_cmp_gt_u32_e32 vcc_lo, 0x71, v9
	v_dual_cndmask_b32 v134, 0, v134 :: v_dual_and_b32 v133, 0x7fffff, v8
	s_delay_alu instid0(VALU_DEP_1) | instskip(SKIP_2) | instid1(VALU_DEP_4)
	v_or_b32_e32 v135, 0x800000, v133
	v_cmp_eq_u32_e32 vcc_lo, 0, v9
	v_add_nc_u32_e32 v9, 0xffffff91, v9
	v_cndmask_b32_e64 v134, v134, 0x6f, vcc_lo
	s_delay_alu instid0(VALU_DEP_4) | instskip(NEXT) | instid1(VALU_DEP_3)
	v_cndmask_b32_e32 v133, v135, v133, vcc_lo
	v_cndmask_b32_e64 v9, v9, 0xffffff92, vcc_lo
	s_delay_alu instid0(VALU_DEP_3) | instskip(NEXT) | instid1(VALU_DEP_3)
	v_lshl_add_u32 v135, 0x200000, v134, -1
	v_lshrrev_b32_e32 v145, v134, v133
	v_lshlrev_b32_e64 v147, v134, 0x100000
	s_delay_alu instid0(VALU_DEP_4) | instskip(NEXT) | instid1(VALU_DEP_4)
	v_add_nc_u32_e32 v134, v134, v9
	v_and_b32_e32 v133, v135, v133
	s_delay_alu instid0(VALU_DEP_4) | instskip(NEXT) | instid1(VALU_DEP_2)
	v_bfe_u32 v146, v145, 21, 1
	v_cmp_eq_u32_e64 s14, v133, v147
	s_delay_alu instid0(VALU_DEP_2) | instskip(NEXT) | instid1(VALU_DEP_1)
	v_add_nc_u32_e32 v135, -1, v146
	v_cndmask_b32_e64 v133, 0, v135, s14
	v_lshrrev_b32_e32 v135, 23, v145
	s_mov_b32 s14, exec_lo
	s_delay_alu instid0(VALU_DEP_2) | instskip(NEXT) | instid1(VALU_DEP_2)
	v_add_nc_u32_e32 v133, v133, v145
	v_xor_b32_e32 v135, 1, v135
	s_delay_alu instid0(VALU_DEP_2) | instskip(NEXT) | instid1(VALU_DEP_1)
	v_and_b32_e32 v9, 0x1fffff, v133
	v_add_nc_u32_e32 v133, v9, v145
                                        ; implicit-def: $vgpr9
	s_delay_alu instid0(VALU_DEP_3)
	v_cmpx_ne_u32_e64 v134, v135
	s_xor_b32 s14, exec_lo, s14
; %bb.1469:                             ;   in Loop: Header=BB2_1345 Depth=4
	s_delay_alu instid0(VALU_DEP_2) | instskip(SKIP_2) | instid1(VALU_DEP_2)
	v_cmp_lt_u32_e32 vcc_lo, 0xffffff, v133
	v_sub_nc_u32_e32 v9, v134, v135
	v_cndmask_b32_e64 v134, 0, 1, vcc_lo
	v_add_co_ci_u32_e32 v9, vcc_lo, 0, v9, vcc_lo
	s_delay_alu instid0(VALU_DEP_2)
	v_lshrrev_b32_e32 v133, v134, v133
; %bb.1470:                             ;   in Loop: Header=BB2_1345 Depth=4
	s_and_not1_saveexec_b32 s14, s14
; %bb.1471:                             ;   in Loop: Header=BB2_1345 Depth=4
	s_delay_alu instid0(VALU_DEP_1)
	v_bfe_u32 v9, v133, 23, 1
; %bb.1472:                             ;   in Loop: Header=BB2_1345 Depth=4
	s_or_b32 exec_lo, exec_lo, s14
	v_lshrrev_b32_e32 v133, 21, v133
	s_delay_alu instid0(VALU_DEP_2) | instskip(SKIP_2) | instid1(VALU_DEP_2)
	v_cmp_gt_i32_e32 vcc_lo, 32, v9
	v_lshrrev_b32_e32 v8, 24, v8
	v_min_i32_e32 v134, 31, v9
	v_dual_cndmask_b32 v133, 3, v133 :: v_dual_and_b32 v8, 0x80, v8
	s_delay_alu instid0(VALU_DEP_1) | instskip(SKIP_1) | instid1(VALU_DEP_2)
	v_or_b32_e32 v9, v9, v133
	v_and_b32_e32 v135, 3, v133
	v_cmp_ne_u32_e32 vcc_lo, 0, v9
	v_lshlrev_b32_e32 v134, 2, v134
	s_delay_alu instid0(VALU_DEP_1) | instskip(NEXT) | instid1(VALU_DEP_1)
	v_or3_b32 v8, v134, v8, v135
	v_cndmask_b32_e32 v147, 0, v8, vcc_lo
.LBB2_1473:                             ;   in Loop: Header=BB2_1345 Depth=4
	s_or_b32 exec_lo, exec_lo, s37
.LBB2_1474:                             ;   in Loop: Header=BB2_1345 Depth=4
	s_delay_alu instid0(SALU_CYCLE_1) | instskip(SKIP_3) | instid1(VALU_DEP_1)
	s_or_b32 exec_lo, exec_lo, s36
	v_lshrrev_b32_e32 v8, 16, v10
	s_mov_b32 s14, 0
	s_mov_b32 s37, exec_lo
                                        ; implicit-def: $sgpr36
	v_and_b32_e32 v133, 0xff, v8
	s_delay_alu instid0(VALU_DEP_1)
	v_cmpx_lt_i16_e64 0x7f, v133
	s_xor_b32 s37, exec_lo, s37
	s_cbranch_execnz .LBB2_1840
; %bb.1475:                             ;   in Loop: Header=BB2_1345 Depth=4
	s_or_saveexec_b32 s37, s37
	v_mov_b32_e32 v9, s36
	s_xor_b32 exec_lo, exec_lo, s37
	s_cbranch_execnz .LBB2_1843
.LBB2_1476:                             ;   in Loop: Header=BB2_1345 Depth=4
	s_or_b32 exec_lo, exec_lo, s37
	s_and_saveexec_b32 s36, s14
	s_cbranch_execz .LBB2_1478
.LBB2_1477:                             ;   in Loop: Header=BB2_1345 Depth=4
	v_bfe_u32 v9, v10, 16, 2
	s_delay_alu instid0(VALU_DEP_1) | instskip(NEXT) | instid1(VALU_DEP_1)
	v_clz_i32_u32_e32 v133, v9
	v_min_u32_e32 v133, 32, v133
	s_delay_alu instid0(VALU_DEP_1) | instskip(SKIP_1) | instid1(VALU_DEP_2)
	v_subrev_nc_u32_e32 v134, 29, v133
	v_sub_nc_u32_e32 v133, 30, v133
	v_lshlrev_b32_e32 v8, v134, v8
	v_bfe_u32 v134, v10, 18, 5
	s_delay_alu instid0(VALU_DEP_1) | instskip(NEXT) | instid1(VALU_DEP_3)
	v_cmp_eq_u32_e32 vcc_lo, 0, v134
	v_dual_cndmask_b32 v133, v134, v133 :: v_dual_and_b32 v8, 3, v8
	s_delay_alu instid0(VALU_DEP_1) | instskip(NEXT) | instid1(VALU_DEP_2)
	v_dual_cndmask_b32 v8, v9, v8 :: v_dual_lshlrev_b32 v135, 8, v10
	v_lshl_add_u32 v133, v133, 23, 0x37800000
	s_delay_alu instid0(VALU_DEP_2) | instskip(NEXT) | instid1(VALU_DEP_3)
	v_and_b32_e32 v9, 0x80000000, v135
	v_lshlrev_b32_e32 v8, 21, v8
	s_delay_alu instid0(VALU_DEP_1)
	v_or3_b32 v9, v9, v133, v8
.LBB2_1478:                             ;   in Loop: Header=BB2_1345 Depth=4
	s_or_b32 exec_lo, exec_lo, s36
	s_delay_alu instid0(VALU_DEP_1) | instskip(SKIP_2) | instid1(VALU_DEP_2)
	v_mul_f32_e32 v8, s35, v9
	v_mov_b32_e32 v146, 0x80
	s_mov_b32 s36, exec_lo
	v_and_b32_e32 v9, 0x7f800000, v8
	s_delay_alu instid0(VALU_DEP_1)
	v_cmpx_ne_u32_e32 0x7f800000, v9
	s_cbranch_execz .LBB2_1486
; %bb.1479:                             ;   in Loop: Header=BB2_1345 Depth=4
	v_mov_b32_e32 v146, 0
	s_mov_b32 s37, exec_lo
	v_cmpx_ne_u32_e32 0, v8
	s_cbranch_execz .LBB2_1485
; %bb.1480:                             ;   in Loop: Header=BB2_1345 Depth=4
	v_bfe_u32 v9, v8, 23, 8
	s_delay_alu instid0(VALU_DEP_1) | instskip(SKIP_1) | instid1(VALU_DEP_2)
	v_sub_nc_u32_e32 v134, 0x70, v9
	v_cmp_gt_u32_e32 vcc_lo, 0x71, v9
	v_dual_cndmask_b32 v134, 0, v134 :: v_dual_and_b32 v133, 0x7fffff, v8
	s_delay_alu instid0(VALU_DEP_1) | instskip(SKIP_2) | instid1(VALU_DEP_4)
	v_or_b32_e32 v135, 0x800000, v133
	v_cmp_eq_u32_e32 vcc_lo, 0, v9
	v_add_nc_u32_e32 v9, 0xffffff91, v9
	v_cndmask_b32_e64 v134, v134, 0x6f, vcc_lo
	s_delay_alu instid0(VALU_DEP_4) | instskip(NEXT) | instid1(VALU_DEP_3)
	v_cndmask_b32_e32 v133, v135, v133, vcc_lo
	v_cndmask_b32_e64 v9, v9, 0xffffff92, vcc_lo
	s_delay_alu instid0(VALU_DEP_3) | instskip(NEXT) | instid1(VALU_DEP_3)
	v_lshl_add_u32 v135, 0x200000, v134, -1
	v_lshrrev_b32_e32 v145, v134, v133
	v_lshlrev_b32_e64 v148, v134, 0x100000
	s_delay_alu instid0(VALU_DEP_4) | instskip(NEXT) | instid1(VALU_DEP_4)
	v_add_nc_u32_e32 v134, v134, v9
	v_and_b32_e32 v133, v135, v133
	s_delay_alu instid0(VALU_DEP_4) | instskip(NEXT) | instid1(VALU_DEP_2)
	v_bfe_u32 v146, v145, 21, 1
	v_cmp_eq_u32_e64 s14, v133, v148
	s_delay_alu instid0(VALU_DEP_2) | instskip(NEXT) | instid1(VALU_DEP_1)
	v_add_nc_u32_e32 v135, -1, v146
	v_cndmask_b32_e64 v133, 0, v135, s14
	v_lshrrev_b32_e32 v135, 23, v145
	s_mov_b32 s14, exec_lo
	s_delay_alu instid0(VALU_DEP_2) | instskip(NEXT) | instid1(VALU_DEP_2)
	v_add_nc_u32_e32 v133, v133, v145
	v_xor_b32_e32 v135, 1, v135
	s_delay_alu instid0(VALU_DEP_2) | instskip(NEXT) | instid1(VALU_DEP_1)
	v_and_b32_e32 v9, 0x1fffff, v133
	v_add_nc_u32_e32 v133, v9, v145
                                        ; implicit-def: $vgpr9
	s_delay_alu instid0(VALU_DEP_3)
	v_cmpx_ne_u32_e64 v134, v135
	s_xor_b32 s14, exec_lo, s14
; %bb.1481:                             ;   in Loop: Header=BB2_1345 Depth=4
	s_delay_alu instid0(VALU_DEP_2) | instskip(SKIP_2) | instid1(VALU_DEP_2)
	v_cmp_lt_u32_e32 vcc_lo, 0xffffff, v133
	v_sub_nc_u32_e32 v9, v134, v135
	v_cndmask_b32_e64 v134, 0, 1, vcc_lo
	v_add_co_ci_u32_e32 v9, vcc_lo, 0, v9, vcc_lo
	s_delay_alu instid0(VALU_DEP_2)
	v_lshrrev_b32_e32 v133, v134, v133
; %bb.1482:                             ;   in Loop: Header=BB2_1345 Depth=4
	s_and_not1_saveexec_b32 s14, s14
; %bb.1483:                             ;   in Loop: Header=BB2_1345 Depth=4
	s_delay_alu instid0(VALU_DEP_1)
	v_bfe_u32 v9, v133, 23, 1
; %bb.1484:                             ;   in Loop: Header=BB2_1345 Depth=4
	s_or_b32 exec_lo, exec_lo, s14
	v_lshrrev_b32_e32 v133, 21, v133
	s_delay_alu instid0(VALU_DEP_2) | instskip(SKIP_2) | instid1(VALU_DEP_2)
	v_cmp_gt_i32_e32 vcc_lo, 32, v9
	v_lshrrev_b32_e32 v8, 24, v8
	v_min_i32_e32 v134, 31, v9
	v_dual_cndmask_b32 v133, 3, v133 :: v_dual_and_b32 v8, 0x80, v8
	s_delay_alu instid0(VALU_DEP_2) | instskip(NEXT) | instid1(VALU_DEP_2)
	v_lshlrev_b32_e32 v134, 2, v134
	v_or_b32_e32 v9, v9, v133
	s_delay_alu instid0(VALU_DEP_1) | instskip(SKIP_1) | instid1(VALU_DEP_1)
	v_cmp_ne_u32_e32 vcc_lo, 0, v9
	v_and_b32_e32 v135, 3, v133
	v_or3_b32 v8, v134, v8, v135
	s_delay_alu instid0(VALU_DEP_1)
	v_cndmask_b32_e32 v146, 0, v8, vcc_lo
.LBB2_1485:                             ;   in Loop: Header=BB2_1345 Depth=4
	s_or_b32 exec_lo, exec_lo, s37
.LBB2_1486:                             ;   in Loop: Header=BB2_1345 Depth=4
	s_delay_alu instid0(SALU_CYCLE_1) | instskip(SKIP_3) | instid1(VALU_DEP_1)
	s_or_b32 exec_lo, exec_lo, s36
	v_lshrrev_b32_e32 v8, 24, v10
	s_mov_b32 s14, 0
	s_mov_b32 s37, exec_lo
                                        ; implicit-def: $sgpr36
	v_cmpx_lt_i16_e32 0x7f, v8
	s_xor_b32 s37, exec_lo, s37
	s_cbranch_execnz .LBB2_1844
; %bb.1487:                             ;   in Loop: Header=BB2_1345 Depth=4
	s_or_saveexec_b32 s37, s37
	v_mov_b32_e32 v9, s36
	s_xor_b32 exec_lo, exec_lo, s37
	s_cbranch_execnz .LBB2_1847
.LBB2_1488:                             ;   in Loop: Header=BB2_1345 Depth=4
	s_or_b32 exec_lo, exec_lo, s37
	s_and_saveexec_b32 s36, s14
	s_cbranch_execz .LBB2_1490
.LBB2_1489:                             ;   in Loop: Header=BB2_1345 Depth=4
	v_bfe_u32 v9, v10, 24, 2
	s_delay_alu instid0(VALU_DEP_1) | instskip(NEXT) | instid1(VALU_DEP_1)
	v_clz_i32_u32_e32 v133, v9
	v_min_u32_e32 v133, 32, v133
	s_delay_alu instid0(VALU_DEP_1) | instskip(SKIP_1) | instid1(VALU_DEP_2)
	v_subrev_nc_u32_e32 v134, 29, v133
	v_sub_nc_u32_e32 v133, 30, v133
	v_lshlrev_b32_e32 v8, v134, v8
	v_bfe_u32 v134, v10, 26, 5
	s_delay_alu instid0(VALU_DEP_1) | instskip(NEXT) | instid1(VALU_DEP_3)
	v_cmp_eq_u32_e32 vcc_lo, 0, v134
	v_dual_cndmask_b32 v133, v134, v133 :: v_dual_and_b32 v8, 3, v8
	s_delay_alu instid0(VALU_DEP_1) | instskip(NEXT) | instid1(VALU_DEP_2)
	v_dual_cndmask_b32 v8, v9, v8 :: v_dual_and_b32 v9, 0x80000000, v10
	v_lshl_add_u32 v10, v133, 23, 0x37800000
	s_delay_alu instid0(VALU_DEP_2) | instskip(NEXT) | instid1(VALU_DEP_1)
	v_lshlrev_b32_e32 v8, 21, v8
	v_or3_b32 v9, v9, v10, v8
.LBB2_1490:                             ;   in Loop: Header=BB2_1345 Depth=4
	s_or_b32 exec_lo, exec_lo, s36
	s_delay_alu instid0(VALU_DEP_1) | instskip(SKIP_1) | instid1(VALU_DEP_1)
	v_dual_mul_f32 v8, s35, v9 :: v_dual_mov_b32 v135, 0x80
	s_mov_b32 s36, exec_lo
	v_and_b32_e32 v9, 0x7f800000, v8
	s_delay_alu instid0(VALU_DEP_1)
	v_cmpx_ne_u32_e32 0x7f800000, v9
	s_cbranch_execz .LBB2_1498
; %bb.1491:                             ;   in Loop: Header=BB2_1345 Depth=4
	v_mov_b32_e32 v135, 0
	s_mov_b32 s37, exec_lo
	v_cmpx_ne_u32_e32 0, v8
	s_cbranch_execz .LBB2_1497
; %bb.1492:                             ;   in Loop: Header=BB2_1345 Depth=4
	v_bfe_u32 v9, v8, 23, 8
	s_delay_alu instid0(VALU_DEP_1) | instskip(SKIP_1) | instid1(VALU_DEP_2)
	v_sub_nc_u32_e32 v133, 0x70, v9
	v_cmp_gt_u32_e32 vcc_lo, 0x71, v9
	v_dual_cndmask_b32 v133, 0, v133 :: v_dual_and_b32 v10, 0x7fffff, v8
	s_delay_alu instid0(VALU_DEP_1) | instskip(SKIP_2) | instid1(VALU_DEP_4)
	v_or_b32_e32 v134, 0x800000, v10
	v_cmp_eq_u32_e32 vcc_lo, 0, v9
	v_add_nc_u32_e32 v9, 0xffffff91, v9
	v_cndmask_b32_e64 v133, v133, 0x6f, vcc_lo
	s_delay_alu instid0(VALU_DEP_4) | instskip(NEXT) | instid1(VALU_DEP_3)
	v_cndmask_b32_e32 v10, v134, v10, vcc_lo
	v_cndmask_b32_e64 v9, v9, 0xffffff92, vcc_lo
	s_delay_alu instid0(VALU_DEP_3) | instskip(NEXT) | instid1(VALU_DEP_3)
	v_lshl_add_u32 v134, 0x200000, v133, -1
	v_lshrrev_b32_e32 v135, v133, v10
	v_lshlrev_b32_e64 v148, v133, 0x100000
	s_delay_alu instid0(VALU_DEP_4) | instskip(NEXT) | instid1(VALU_DEP_4)
	v_add_nc_u32_e32 v133, v133, v9
	v_and_b32_e32 v10, v134, v10
	s_delay_alu instid0(VALU_DEP_4) | instskip(NEXT) | instid1(VALU_DEP_2)
	v_bfe_u32 v145, v135, 21, 1
	v_cmp_eq_u32_e64 s14, v10, v148
	s_delay_alu instid0(VALU_DEP_2) | instskip(NEXT) | instid1(VALU_DEP_1)
	v_add_nc_u32_e32 v134, -1, v145
	v_cndmask_b32_e64 v10, 0, v134, s14
	v_lshrrev_b32_e32 v134, 23, v135
	s_mov_b32 s14, exec_lo
	s_delay_alu instid0(VALU_DEP_2) | instskip(NEXT) | instid1(VALU_DEP_2)
	v_add_nc_u32_e32 v10, v10, v135
	v_xor_b32_e32 v134, 1, v134
	s_delay_alu instid0(VALU_DEP_2) | instskip(NEXT) | instid1(VALU_DEP_1)
	v_and_b32_e32 v9, 0x1fffff, v10
	v_add_nc_u32_e32 v10, v9, v135
                                        ; implicit-def: $vgpr9
	s_delay_alu instid0(VALU_DEP_3)
	v_cmpx_ne_u32_e64 v133, v134
	s_xor_b32 s14, exec_lo, s14
; %bb.1493:                             ;   in Loop: Header=BB2_1345 Depth=4
	s_delay_alu instid0(VALU_DEP_2) | instskip(SKIP_2) | instid1(VALU_DEP_2)
	v_cmp_lt_u32_e32 vcc_lo, 0xffffff, v10
	v_sub_nc_u32_e32 v9, v133, v134
	v_cndmask_b32_e64 v133, 0, 1, vcc_lo
	v_add_co_ci_u32_e32 v9, vcc_lo, 0, v9, vcc_lo
	s_delay_alu instid0(VALU_DEP_2)
	v_lshrrev_b32_e32 v10, v133, v10
; %bb.1494:                             ;   in Loop: Header=BB2_1345 Depth=4
	s_and_not1_saveexec_b32 s14, s14
; %bb.1495:                             ;   in Loop: Header=BB2_1345 Depth=4
	s_delay_alu instid0(VALU_DEP_1)
	v_bfe_u32 v9, v10, 23, 1
; %bb.1496:                             ;   in Loop: Header=BB2_1345 Depth=4
	s_or_b32 exec_lo, exec_lo, s14
	v_lshrrev_b32_e32 v10, 21, v10
	s_delay_alu instid0(VALU_DEP_2) | instskip(SKIP_2) | instid1(VALU_DEP_2)
	v_cmp_gt_i32_e32 vcc_lo, 32, v9
	v_min_i32_e32 v133, 31, v9
	v_lshrrev_b32_e32 v8, 24, v8
	v_dual_cndmask_b32 v10, 3, v10 :: v_dual_lshlrev_b32 v133, 2, v133
	s_delay_alu instid0(VALU_DEP_2) | instskip(NEXT) | instid1(VALU_DEP_2)
	v_and_b32_e32 v8, 0x80, v8
	v_or_b32_e32 v9, v9, v10
	s_delay_alu instid0(VALU_DEP_1) | instskip(SKIP_1) | instid1(VALU_DEP_1)
	v_cmp_ne_u32_e32 vcc_lo, 0, v9
	v_and_b32_e32 v134, 3, v10
	v_or3_b32 v8, v133, v8, v134
	s_delay_alu instid0(VALU_DEP_1)
	v_cndmask_b32_e32 v135, 0, v8, vcc_lo
.LBB2_1497:                             ;   in Loop: Header=BB2_1345 Depth=4
	s_or_b32 exec_lo, exec_lo, s37
.LBB2_1498:                             ;   in Loop: Header=BB2_1345 Depth=4
	s_delay_alu instid0(SALU_CYCLE_1) | instskip(SKIP_3) | instid1(VALU_DEP_1)
	s_or_b32 exec_lo, exec_lo, s36
	v_and_b32_e32 v9, 0xff, v11
	s_mov_b32 s14, 0
	s_mov_b32 s37, exec_lo
                                        ; implicit-def: $sgpr36
	v_cmpx_lt_i16_e32 0x7f, v9
	s_xor_b32 s37, exec_lo, s37
	s_cbranch_execnz .LBB2_1848
; %bb.1499:                             ;   in Loop: Header=BB2_1345 Depth=4
	s_or_saveexec_b32 s37, s37
	v_mov_b32_e32 v8, s36
	s_xor_b32 exec_lo, exec_lo, s37
	s_cbranch_execnz .LBB2_1851
.LBB2_1500:                             ;   in Loop: Header=BB2_1345 Depth=4
	s_or_b32 exec_lo, exec_lo, s37
	s_and_saveexec_b32 s36, s14
	s_cbranch_execz .LBB2_1502
.LBB2_1501:                             ;   in Loop: Header=BB2_1345 Depth=4
	v_bfe_u32 v133, v11, 2, 5
	v_lshlrev_b32_e32 v134, 24, v11
	s_delay_alu instid0(VALU_DEP_2) | instskip(SKIP_1) | instid1(VALU_DEP_1)
	v_cmp_eq_u32_e32 vcc_lo, 0, v133
	v_and_b32_e32 v8, 3, v11
	v_clz_i32_u32_e32 v9, v8
	s_delay_alu instid0(VALU_DEP_1) | instskip(NEXT) | instid1(VALU_DEP_1)
	v_min_u32_e32 v9, 32, v9
	v_subrev_nc_u32_e32 v10, 29, v9
	v_sub_nc_u32_e32 v9, 30, v9
	s_delay_alu instid0(VALU_DEP_1) | instskip(NEXT) | instid1(VALU_DEP_1)
	v_dual_cndmask_b32 v9, v133, v9 :: v_dual_lshlrev_b32 v10, v10, v11
	v_and_b32_e32 v10, 3, v10
	s_delay_alu instid0(VALU_DEP_2) | instskip(NEXT) | instid1(VALU_DEP_2)
	v_lshl_add_u32 v9, v9, 23, 0x37800000
	v_cndmask_b32_e32 v8, v8, v10, vcc_lo
	v_and_b32_e32 v10, 0x80000000, v134
	s_delay_alu instid0(VALU_DEP_2) | instskip(NEXT) | instid1(VALU_DEP_1)
	v_lshlrev_b32_e32 v8, 21, v8
	v_or3_b32 v8, v10, v9, v8
.LBB2_1502:                             ;   in Loop: Header=BB2_1345 Depth=4
	s_or_b32 exec_lo, exec_lo, s36
	s_delay_alu instid0(VALU_DEP_1) | instskip(SKIP_2) | instid1(VALU_DEP_2)
	v_mul_f32_e32 v8, s35, v8
	v_mov_b32_e32 v134, 0x80
	s_mov_b32 s36, exec_lo
	v_and_b32_e32 v9, 0x7f800000, v8
	s_delay_alu instid0(VALU_DEP_1)
	v_cmpx_ne_u32_e32 0x7f800000, v9
	s_cbranch_execz .LBB2_1510
; %bb.1503:                             ;   in Loop: Header=BB2_1345 Depth=4
	v_mov_b32_e32 v134, 0
	s_mov_b32 s37, exec_lo
	v_cmpx_ne_u32_e32 0, v8
	s_cbranch_execz .LBB2_1509
; %bb.1504:                             ;   in Loop: Header=BB2_1345 Depth=4
	v_bfe_u32 v9, v8, 23, 8
	s_delay_alu instid0(VALU_DEP_1) | instskip(SKIP_1) | instid1(VALU_DEP_2)
	v_sub_nc_u32_e32 v133, 0x70, v9
	v_cmp_gt_u32_e32 vcc_lo, 0x71, v9
	v_dual_cndmask_b32 v133, 0, v133 :: v_dual_and_b32 v10, 0x7fffff, v8
	s_delay_alu instid0(VALU_DEP_1) | instskip(SKIP_2) | instid1(VALU_DEP_4)
	v_or_b32_e32 v134, 0x800000, v10
	v_cmp_eq_u32_e32 vcc_lo, 0, v9
	v_add_nc_u32_e32 v9, 0xffffff91, v9
	v_cndmask_b32_e64 v133, v133, 0x6f, vcc_lo
	s_delay_alu instid0(VALU_DEP_4) | instskip(NEXT) | instid1(VALU_DEP_3)
	v_cndmask_b32_e32 v10, v134, v10, vcc_lo
	v_cndmask_b32_e64 v9, v9, 0xffffff92, vcc_lo
	s_delay_alu instid0(VALU_DEP_3) | instskip(NEXT) | instid1(VALU_DEP_3)
	v_lshl_add_u32 v134, 0x200000, v133, -1
	v_lshrrev_b32_e32 v145, v133, v10
	v_lshlrev_b32_e64 v164, v133, 0x100000
	s_delay_alu instid0(VALU_DEP_4) | instskip(NEXT) | instid1(VALU_DEP_4)
	v_add_nc_u32_e32 v133, v133, v9
	v_and_b32_e32 v10, v134, v10
	s_delay_alu instid0(VALU_DEP_4) | instskip(NEXT) | instid1(VALU_DEP_2)
	v_bfe_u32 v148, v145, 21, 1
	v_cmp_eq_u32_e64 s14, v10, v164
	s_delay_alu instid0(VALU_DEP_2) | instskip(NEXT) | instid1(VALU_DEP_1)
	v_add_nc_u32_e32 v134, -1, v148
	v_cndmask_b32_e64 v10, 0, v134, s14
	v_lshrrev_b32_e32 v134, 23, v145
	s_mov_b32 s14, exec_lo
	s_delay_alu instid0(VALU_DEP_2) | instskip(NEXT) | instid1(VALU_DEP_2)
	v_add_nc_u32_e32 v10, v10, v145
	v_xor_b32_e32 v134, 1, v134
	s_delay_alu instid0(VALU_DEP_2) | instskip(NEXT) | instid1(VALU_DEP_1)
	v_and_b32_e32 v9, 0x1fffff, v10
	v_add_nc_u32_e32 v10, v9, v145
                                        ; implicit-def: $vgpr9
	s_delay_alu instid0(VALU_DEP_3)
	v_cmpx_ne_u32_e64 v133, v134
	s_xor_b32 s14, exec_lo, s14
; %bb.1505:                             ;   in Loop: Header=BB2_1345 Depth=4
	s_delay_alu instid0(VALU_DEP_2) | instskip(SKIP_2) | instid1(VALU_DEP_2)
	v_cmp_lt_u32_e32 vcc_lo, 0xffffff, v10
	v_sub_nc_u32_e32 v9, v133, v134
	v_cndmask_b32_e64 v133, 0, 1, vcc_lo
	v_add_co_ci_u32_e32 v9, vcc_lo, 0, v9, vcc_lo
	s_delay_alu instid0(VALU_DEP_2)
	v_lshrrev_b32_e32 v10, v133, v10
; %bb.1506:                             ;   in Loop: Header=BB2_1345 Depth=4
	s_and_not1_saveexec_b32 s14, s14
; %bb.1507:                             ;   in Loop: Header=BB2_1345 Depth=4
	s_delay_alu instid0(VALU_DEP_1)
	v_bfe_u32 v9, v10, 23, 1
; %bb.1508:                             ;   in Loop: Header=BB2_1345 Depth=4
	s_or_b32 exec_lo, exec_lo, s14
	v_lshrrev_b32_e32 v10, 21, v10
	s_delay_alu instid0(VALU_DEP_2) | instskip(SKIP_2) | instid1(VALU_DEP_2)
	v_cmp_gt_i32_e32 vcc_lo, 32, v9
	v_min_i32_e32 v133, 31, v9
	v_lshrrev_b32_e32 v8, 24, v8
	v_dual_cndmask_b32 v10, 3, v10 :: v_dual_lshlrev_b32 v133, 2, v133
	s_delay_alu instid0(VALU_DEP_2) | instskip(NEXT) | instid1(VALU_DEP_2)
	v_and_b32_e32 v8, 0x80, v8
	v_or_b32_e32 v9, v9, v10
	v_and_b32_e32 v134, 3, v10
	s_delay_alu instid0(VALU_DEP_2) | instskip(SKIP_1) | instid1(VALU_DEP_1)
	v_cmp_ne_u32_e32 vcc_lo, 0, v9
	v_and_b32_e32 v133, 0xfc, v133
	v_or3_b32 v8, v133, v8, v134
	s_delay_alu instid0(VALU_DEP_1)
	v_cndmask_b32_e32 v134, 0, v8, vcc_lo
.LBB2_1509:                             ;   in Loop: Header=BB2_1345 Depth=4
	s_or_b32 exec_lo, exec_lo, s37
.LBB2_1510:                             ;   in Loop: Header=BB2_1345 Depth=4
	s_delay_alu instid0(SALU_CYCLE_1) | instskip(SKIP_3) | instid1(VALU_DEP_1)
	s_or_b32 exec_lo, exec_lo, s36
	v_lshrrev_b16 v8, 8, v11
	s_mov_b32 s14, 0
	s_mov_b32 s37, exec_lo
                                        ; implicit-def: $sgpr36
	v_cmpx_lt_i16_e32 0x7f, v8
	s_xor_b32 s37, exec_lo, s37
	s_cbranch_execnz .LBB2_1852
; %bb.1511:                             ;   in Loop: Header=BB2_1345 Depth=4
	s_or_saveexec_b32 s37, s37
	v_mov_b32_e32 v9, s36
	s_xor_b32 exec_lo, exec_lo, s37
	s_cbranch_execnz .LBB2_1855
.LBB2_1512:                             ;   in Loop: Header=BB2_1345 Depth=4
	s_or_b32 exec_lo, exec_lo, s37
	s_and_saveexec_b32 s36, s14
	s_cbranch_execz .LBB2_1514
.LBB2_1513:                             ;   in Loop: Header=BB2_1345 Depth=4
	v_and_b32_e32 v9, 0xffff, v8
	s_delay_alu instid0(VALU_DEP_1) | instskip(NEXT) | instid1(VALU_DEP_1)
	v_and_b32_e32 v10, 3, v9
	v_clz_i32_u32_e32 v133, v10
	s_delay_alu instid0(VALU_DEP_1) | instskip(NEXT) | instid1(VALU_DEP_1)
	v_min_u32_e32 v133, 32, v133
	v_subrev_nc_u32_e32 v145, 29, v133
	v_sub_nc_u32_e32 v133, 30, v133
	s_delay_alu instid0(VALU_DEP_2) | instskip(SKIP_1) | instid1(VALU_DEP_2)
	v_lshlrev_b32_e32 v145, v145, v9
	v_bfe_u32 v9, v9, 2, 5
	v_and_b32_e32 v145, 3, v145
	s_delay_alu instid0(VALU_DEP_2) | instskip(SKIP_1) | instid1(VALU_DEP_3)
	v_cmp_eq_u32_e32 vcc_lo, 0, v9
	v_dual_cndmask_b32 v9, v9, v133 :: v_dual_lshlrev_b32 v8, 24, v8
	v_cndmask_b32_e32 v10, v10, v145, vcc_lo
	s_delay_alu instid0(VALU_DEP_2) | instskip(NEXT) | instid1(VALU_DEP_3)
	v_and_b32_e32 v8, 0x80000000, v8
	v_lshl_add_u32 v9, v9, 23, 0x37800000
	s_delay_alu instid0(VALU_DEP_3) | instskip(NEXT) | instid1(VALU_DEP_1)
	v_lshlrev_b32_e32 v10, 21, v10
	v_or3_b32 v9, v8, v9, v10
.LBB2_1514:                             ;   in Loop: Header=BB2_1345 Depth=4
	s_or_b32 exec_lo, exec_lo, s36
	s_delay_alu instid0(VALU_DEP_1) | instskip(SKIP_2) | instid1(VALU_DEP_2)
	v_mul_f32_e32 v8, s35, v9
	v_mov_b32_e32 v148, 0x8000
	s_mov_b32 s36, exec_lo
	v_and_b32_e32 v9, 0x7f800000, v8
	s_delay_alu instid0(VALU_DEP_1)
	v_cmpx_ne_u32_e32 0x7f800000, v9
	s_cbranch_execz .LBB2_1522
; %bb.1515:                             ;   in Loop: Header=BB2_1345 Depth=4
	v_mov_b32_e32 v148, 0
	s_mov_b32 s37, exec_lo
	v_cmpx_ne_u32_e32 0, v8
	s_cbranch_execz .LBB2_1521
; %bb.1516:                             ;   in Loop: Header=BB2_1345 Depth=4
	v_bfe_u32 v9, v8, 23, 8
	s_delay_alu instid0(VALU_DEP_1) | instskip(SKIP_1) | instid1(VALU_DEP_2)
	v_sub_nc_u32_e32 v133, 0x70, v9
	v_cmp_gt_u32_e32 vcc_lo, 0x71, v9
	v_dual_cndmask_b32 v133, 0, v133 :: v_dual_and_b32 v10, 0x7fffff, v8
	s_delay_alu instid0(VALU_DEP_1) | instskip(SKIP_2) | instid1(VALU_DEP_4)
	v_or_b32_e32 v145, 0x800000, v10
	v_cmp_eq_u32_e32 vcc_lo, 0, v9
	v_add_nc_u32_e32 v9, 0xffffff91, v9
	v_cndmask_b32_e64 v133, v133, 0x6f, vcc_lo
	s_delay_alu instid0(VALU_DEP_4) | instskip(NEXT) | instid1(VALU_DEP_3)
	v_cndmask_b32_e32 v10, v145, v10, vcc_lo
	v_cndmask_b32_e64 v9, v9, 0xffffff92, vcc_lo
	s_delay_alu instid0(VALU_DEP_3) | instskip(NEXT) | instid1(VALU_DEP_3)
	v_lshl_add_u32 v145, 0x200000, v133, -1
	v_lshrrev_b32_e32 v148, v133, v10
	v_lshlrev_b32_e64 v165, v133, 0x100000
	s_delay_alu instid0(VALU_DEP_4) | instskip(NEXT) | instid1(VALU_DEP_4)
	v_add_nc_u32_e32 v133, v133, v9
	v_and_b32_e32 v10, v145, v10
	s_delay_alu instid0(VALU_DEP_4) | instskip(NEXT) | instid1(VALU_DEP_2)
	v_bfe_u32 v164, v148, 21, 1
	v_cmp_eq_u32_e64 s14, v10, v165
	s_delay_alu instid0(VALU_DEP_2) | instskip(NEXT) | instid1(VALU_DEP_1)
	v_add_nc_u32_e32 v145, -1, v164
	v_cndmask_b32_e64 v10, 0, v145, s14
	v_lshrrev_b32_e32 v145, 23, v148
	s_mov_b32 s14, exec_lo
	s_delay_alu instid0(VALU_DEP_2) | instskip(NEXT) | instid1(VALU_DEP_2)
	v_add_nc_u32_e32 v10, v10, v148
	v_xor_b32_e32 v145, 1, v145
	s_delay_alu instid0(VALU_DEP_2) | instskip(NEXT) | instid1(VALU_DEP_1)
	v_and_b32_e32 v9, 0x1fffff, v10
	v_add_nc_u32_e32 v10, v9, v148
                                        ; implicit-def: $vgpr9
	s_delay_alu instid0(VALU_DEP_3)
	v_cmpx_ne_u32_e64 v133, v145
	s_xor_b32 s14, exec_lo, s14
; %bb.1517:                             ;   in Loop: Header=BB2_1345 Depth=4
	s_delay_alu instid0(VALU_DEP_2) | instskip(SKIP_2) | instid1(VALU_DEP_2)
	v_cmp_lt_u32_e32 vcc_lo, 0xffffff, v10
	v_sub_nc_u32_e32 v9, v133, v145
	v_cndmask_b32_e64 v133, 0, 1, vcc_lo
	v_add_co_ci_u32_e32 v9, vcc_lo, 0, v9, vcc_lo
	s_delay_alu instid0(VALU_DEP_2)
	v_lshrrev_b32_e32 v10, v133, v10
; %bb.1518:                             ;   in Loop: Header=BB2_1345 Depth=4
	s_and_not1_saveexec_b32 s14, s14
; %bb.1519:                             ;   in Loop: Header=BB2_1345 Depth=4
	s_delay_alu instid0(VALU_DEP_1)
	v_bfe_u32 v9, v10, 23, 1
; %bb.1520:                             ;   in Loop: Header=BB2_1345 Depth=4
	s_or_b32 exec_lo, exec_lo, s14
	v_lshrrev_b32_e32 v10, 21, v10
	s_delay_alu instid0(VALU_DEP_2) | instskip(SKIP_2) | instid1(VALU_DEP_2)
	v_cmp_gt_i32_e32 vcc_lo, 32, v9
	v_min_i32_e32 v133, 31, v9
	v_lshrrev_b32_e32 v8, 24, v8
	v_dual_cndmask_b32 v10, 3, v10 :: v_dual_lshlrev_b32 v133, 2, v133
	s_delay_alu instid0(VALU_DEP_2) | instskip(NEXT) | instid1(VALU_DEP_2)
	v_and_b32_e32 v8, 0x80, v8
	v_or_b32_e32 v9, v9, v10
	s_delay_alu instid0(VALU_DEP_3) | instskip(NEXT) | instid1(VALU_DEP_2)
	v_and_b32_e32 v133, 0xfc, v133
	v_cmp_ne_u32_e32 vcc_lo, 0, v9
	v_and_b32_e32 v145, 3, v10
	s_delay_alu instid0(VALU_DEP_1) | instskip(NEXT) | instid1(VALU_DEP_1)
	v_or3_b32 v8, v8, v133, v145
	v_lshlrev_b32_e32 v8, 8, v8
	s_delay_alu instid0(VALU_DEP_1)
	v_cndmask_b32_e32 v148, 0, v8, vcc_lo
.LBB2_1521:                             ;   in Loop: Header=BB2_1345 Depth=4
	s_or_b32 exec_lo, exec_lo, s37
.LBB2_1522:                             ;   in Loop: Header=BB2_1345 Depth=4
	s_delay_alu instid0(SALU_CYCLE_1) | instskip(SKIP_3) | instid1(VALU_DEP_1)
	s_or_b32 exec_lo, exec_lo, s36
	v_lshrrev_b32_e32 v8, 16, v11
	s_mov_b32 s14, 0
	s_mov_b32 s37, exec_lo
                                        ; implicit-def: $sgpr36
	v_and_b32_e32 v10, 0xff, v8
	s_delay_alu instid0(VALU_DEP_1)
	v_cmpx_lt_i16_e32 0x7f, v10
	s_xor_b32 s37, exec_lo, s37
	s_cbranch_execnz .LBB2_1856
; %bb.1523:                             ;   in Loop: Header=BB2_1345 Depth=4
	s_or_saveexec_b32 s37, s37
	v_mov_b32_e32 v9, s36
	s_xor_b32 exec_lo, exec_lo, s37
	s_cbranch_execnz .LBB2_1859
.LBB2_1524:                             ;   in Loop: Header=BB2_1345 Depth=4
	s_or_b32 exec_lo, exec_lo, s37
	s_and_saveexec_b32 s36, s14
	s_cbranch_execz .LBB2_1526
.LBB2_1525:                             ;   in Loop: Header=BB2_1345 Depth=4
	v_bfe_u32 v9, v11, 16, 2
	s_delay_alu instid0(VALU_DEP_1) | instskip(NEXT) | instid1(VALU_DEP_1)
	v_clz_i32_u32_e32 v10, v9
	v_min_u32_e32 v10, 32, v10
	s_delay_alu instid0(VALU_DEP_1) | instskip(SKIP_1) | instid1(VALU_DEP_2)
	v_subrev_nc_u32_e32 v133, 29, v10
	v_sub_nc_u32_e32 v10, 30, v10
	v_lshlrev_b32_e32 v8, v133, v8
	v_bfe_u32 v133, v11, 18, 5
	s_delay_alu instid0(VALU_DEP_2) | instskip(NEXT) | instid1(VALU_DEP_2)
	v_and_b32_e32 v8, 3, v8
	v_cmp_eq_u32_e32 vcc_lo, 0, v133
	v_dual_cndmask_b32 v10, v133, v10 :: v_dual_lshlrev_b32 v145, 8, v11
	s_delay_alu instid0(VALU_DEP_1) | instskip(NEXT) | instid1(VALU_DEP_2)
	v_dual_cndmask_b32 v8, v9, v8 :: v_dual_and_b32 v9, 0x80000000, v145
	v_lshl_add_u32 v10, v10, 23, 0x37800000
	s_delay_alu instid0(VALU_DEP_2) | instskip(NEXT) | instid1(VALU_DEP_1)
	v_lshlrev_b32_e32 v8, 21, v8
	v_or3_b32 v9, v9, v10, v8
.LBB2_1526:                             ;   in Loop: Header=BB2_1345 Depth=4
	s_or_b32 exec_lo, exec_lo, s36
	s_delay_alu instid0(VALU_DEP_1) | instskip(SKIP_1) | instid1(VALU_DEP_1)
	v_dual_mul_f32 v8, s35, v9 :: v_dual_mov_b32 v133, 0x80
	s_mov_b32 s36, exec_lo
	v_and_b32_e32 v9, 0x7f800000, v8
	s_delay_alu instid0(VALU_DEP_1)
	v_cmpx_ne_u32_e32 0x7f800000, v9
	s_cbranch_execz .LBB2_1534
; %bb.1527:                             ;   in Loop: Header=BB2_1345 Depth=4
	v_mov_b32_e32 v133, 0
	s_mov_b32 s37, exec_lo
	v_cmpx_ne_u32_e32 0, v8
	s_cbranch_execz .LBB2_1533
; %bb.1528:                             ;   in Loop: Header=BB2_1345 Depth=4
	v_bfe_u32 v9, v8, 23, 8
	s_delay_alu instid0(VALU_DEP_1) | instskip(SKIP_1) | instid1(VALU_DEP_2)
	v_sub_nc_u32_e32 v133, 0x70, v9
	v_cmp_gt_u32_e32 vcc_lo, 0x71, v9
	v_dual_cndmask_b32 v133, 0, v133 :: v_dual_and_b32 v10, 0x7fffff, v8
	s_delay_alu instid0(VALU_DEP_1) | instskip(SKIP_2) | instid1(VALU_DEP_4)
	v_or_b32_e32 v145, 0x800000, v10
	v_cmp_eq_u32_e32 vcc_lo, 0, v9
	v_add_nc_u32_e32 v9, 0xffffff91, v9
	v_cndmask_b32_e64 v133, v133, 0x6f, vcc_lo
	s_delay_alu instid0(VALU_DEP_4) | instskip(NEXT) | instid1(VALU_DEP_3)
	v_cndmask_b32_e32 v10, v145, v10, vcc_lo
	v_cndmask_b32_e64 v9, v9, 0xffffff92, vcc_lo
	s_delay_alu instid0(VALU_DEP_3) | instskip(NEXT) | instid1(VALU_DEP_3)
	v_lshl_add_u32 v145, 0x200000, v133, -1
	v_lshrrev_b32_e32 v164, v133, v10
	v_lshlrev_b32_e64 v166, v133, 0x100000
	s_delay_alu instid0(VALU_DEP_4) | instskip(NEXT) | instid1(VALU_DEP_4)
	v_add_nc_u32_e32 v133, v133, v9
	v_and_b32_e32 v10, v145, v10
	s_delay_alu instid0(VALU_DEP_4) | instskip(NEXT) | instid1(VALU_DEP_2)
	v_bfe_u32 v165, v164, 21, 1
	v_cmp_eq_u32_e64 s14, v10, v166
	s_delay_alu instid0(VALU_DEP_2) | instskip(NEXT) | instid1(VALU_DEP_1)
	v_add_nc_u32_e32 v145, -1, v165
	v_cndmask_b32_e64 v10, 0, v145, s14
	v_lshrrev_b32_e32 v145, 23, v164
	s_mov_b32 s14, exec_lo
	s_delay_alu instid0(VALU_DEP_2) | instskip(NEXT) | instid1(VALU_DEP_2)
	v_add_nc_u32_e32 v10, v10, v164
	v_xor_b32_e32 v145, 1, v145
	s_delay_alu instid0(VALU_DEP_2) | instskip(NEXT) | instid1(VALU_DEP_1)
	v_and_b32_e32 v9, 0x1fffff, v10
	v_add_nc_u32_e32 v10, v9, v164
                                        ; implicit-def: $vgpr9
	s_delay_alu instid0(VALU_DEP_3)
	v_cmpx_ne_u32_e64 v133, v145
	s_xor_b32 s14, exec_lo, s14
; %bb.1529:                             ;   in Loop: Header=BB2_1345 Depth=4
	s_delay_alu instid0(VALU_DEP_2) | instskip(SKIP_2) | instid1(VALU_DEP_2)
	v_cmp_lt_u32_e32 vcc_lo, 0xffffff, v10
	v_sub_nc_u32_e32 v9, v133, v145
	v_cndmask_b32_e64 v133, 0, 1, vcc_lo
	v_add_co_ci_u32_e32 v9, vcc_lo, 0, v9, vcc_lo
	s_delay_alu instid0(VALU_DEP_2)
	v_lshrrev_b32_e32 v10, v133, v10
; %bb.1530:                             ;   in Loop: Header=BB2_1345 Depth=4
	s_and_not1_saveexec_b32 s14, s14
; %bb.1531:                             ;   in Loop: Header=BB2_1345 Depth=4
	s_delay_alu instid0(VALU_DEP_1)
	v_bfe_u32 v9, v10, 23, 1
; %bb.1532:                             ;   in Loop: Header=BB2_1345 Depth=4
	s_or_b32 exec_lo, exec_lo, s14
	v_lshrrev_b32_e32 v10, 21, v10
	s_delay_alu instid0(VALU_DEP_2) | instskip(SKIP_2) | instid1(VALU_DEP_3)
	v_min_i32_e32 v133, 31, v9
	v_cmp_gt_i32_e32 vcc_lo, 32, v9
	v_lshrrev_b32_e32 v8, 24, v8
	v_dual_cndmask_b32 v10, 3, v10 :: v_dual_lshlrev_b32 v133, 2, v133
	s_delay_alu instid0(VALU_DEP_2) | instskip(NEXT) | instid1(VALU_DEP_2)
	v_and_b32_e32 v8, 0x80, v8
	v_and_b32_e32 v133, 0xfc, v133
	s_delay_alu instid0(VALU_DEP_3) | instskip(SKIP_1) | instid1(VALU_DEP_2)
	v_and_b32_e32 v145, 3, v10
	v_or_b32_e32 v9, v9, v10
	v_or3_b32 v8, v133, v8, v145
	s_delay_alu instid0(VALU_DEP_2) | instskip(NEXT) | instid1(VALU_DEP_2)
	v_cmp_ne_u32_e32 vcc_lo, 0, v9
	v_cndmask_b32_e32 v133, 0, v8, vcc_lo
.LBB2_1533:                             ;   in Loop: Header=BB2_1345 Depth=4
	s_or_b32 exec_lo, exec_lo, s37
.LBB2_1534:                             ;   in Loop: Header=BB2_1345 Depth=4
	s_delay_alu instid0(SALU_CYCLE_1) | instskip(SKIP_3) | instid1(VALU_DEP_1)
	s_or_b32 exec_lo, exec_lo, s36
	v_lshrrev_b32_e32 v8, 24, v11
	s_mov_b32 s14, 0
	s_mov_b32 s37, exec_lo
                                        ; implicit-def: $sgpr36
	v_cmpx_lt_i16_e32 0x7f, v8
	s_xor_b32 s37, exec_lo, s37
	s_cbranch_execnz .LBB2_1860
; %bb.1535:                             ;   in Loop: Header=BB2_1345 Depth=4
	s_or_saveexec_b32 s37, s37
	v_mov_b32_e32 v9, s36
	s_xor_b32 exec_lo, exec_lo, s37
	s_cbranch_execnz .LBB2_1863
.LBB2_1536:                             ;   in Loop: Header=BB2_1345 Depth=4
	s_or_b32 exec_lo, exec_lo, s37
	s_and_saveexec_b32 s36, s14
	s_cbranch_execz .LBB2_1538
.LBB2_1537:                             ;   in Loop: Header=BB2_1345 Depth=4
	v_bfe_u32 v9, v11, 24, 2
	s_delay_alu instid0(VALU_DEP_1) | instskip(NEXT) | instid1(VALU_DEP_1)
	v_clz_i32_u32_e32 v10, v9
	v_min_u32_e32 v10, 32, v10
	s_delay_alu instid0(VALU_DEP_1) | instskip(SKIP_1) | instid1(VALU_DEP_2)
	v_subrev_nc_u32_e32 v145, 29, v10
	v_sub_nc_u32_e32 v10, 30, v10
	v_lshlrev_b32_e32 v8, v145, v8
	v_bfe_u32 v145, v11, 26, 5
	s_delay_alu instid0(VALU_DEP_2) | instskip(NEXT) | instid1(VALU_DEP_2)
	v_and_b32_e32 v8, 3, v8
	v_cmp_eq_u32_e32 vcc_lo, 0, v145
	v_cndmask_b32_e32 v10, v145, v10, vcc_lo
	s_delay_alu instid0(VALU_DEP_3) | instskip(NEXT) | instid1(VALU_DEP_2)
	v_dual_cndmask_b32 v8, v9, v8 :: v_dual_and_b32 v9, 0x80000000, v11
	v_lshl_add_u32 v10, v10, 23, 0x37800000
	s_delay_alu instid0(VALU_DEP_2) | instskip(NEXT) | instid1(VALU_DEP_1)
	v_lshlrev_b32_e32 v8, 21, v8
	v_or3_b32 v9, v9, v10, v8
.LBB2_1538:                             ;   in Loop: Header=BB2_1345 Depth=4
	s_or_b32 exec_lo, exec_lo, s36
	s_delay_alu instid0(VALU_DEP_1) | instskip(SKIP_1) | instid1(VALU_DEP_1)
	v_dual_mul_f32 v8, s35, v9 :: v_dual_mov_b32 v145, 0x8000
	s_mov_b32 s35, exec_lo
	v_and_b32_e32 v9, 0x7f800000, v8
	s_delay_alu instid0(VALU_DEP_1)
	v_cmpx_ne_u32_e32 0x7f800000, v9
	s_cbranch_execz .LBB2_1546
; %bb.1539:                             ;   in Loop: Header=BB2_1345 Depth=4
	v_mov_b32_e32 v145, 0
	s_mov_b32 s36, exec_lo
	v_cmpx_ne_u32_e32 0, v8
	s_cbranch_execz .LBB2_1545
; %bb.1540:                             ;   in Loop: Header=BB2_1345 Depth=4
	v_bfe_u32 v9, v8, 23, 8
	s_delay_alu instid0(VALU_DEP_1) | instskip(SKIP_1) | instid1(VALU_DEP_2)
	v_sub_nc_u32_e32 v11, 0x70, v9
	v_cmp_gt_u32_e32 vcc_lo, 0x71, v9
	v_dual_cndmask_b32 v11, 0, v11 :: v_dual_and_b32 v10, 0x7fffff, v8
	s_delay_alu instid0(VALU_DEP_1) | instskip(SKIP_2) | instid1(VALU_DEP_4)
	v_or_b32_e32 v145, 0x800000, v10
	v_cmp_eq_u32_e32 vcc_lo, 0, v9
	v_add_nc_u32_e32 v9, 0xffffff91, v9
	v_cndmask_b32_e64 v11, v11, 0x6f, vcc_lo
	s_delay_alu instid0(VALU_DEP_4) | instskip(NEXT) | instid1(VALU_DEP_3)
	v_cndmask_b32_e32 v10, v145, v10, vcc_lo
	v_cndmask_b32_e64 v9, v9, 0xffffff92, vcc_lo
	s_delay_alu instid0(VALU_DEP_3) | instskip(NEXT) | instid1(VALU_DEP_3)
	v_lshl_add_u32 v145, 0x200000, v11, -1
	v_lshrrev_b32_e32 v164, v11, v10
	v_lshlrev_b32_e64 v166, v11, 0x100000
	s_delay_alu instid0(VALU_DEP_4) | instskip(NEXT) | instid1(VALU_DEP_4)
	v_add_nc_u32_e32 v11, v11, v9
	v_and_b32_e32 v10, v145, v10
	s_delay_alu instid0(VALU_DEP_4) | instskip(NEXT) | instid1(VALU_DEP_2)
	v_bfe_u32 v165, v164, 21, 1
	v_cmp_eq_u32_e64 s14, v10, v166
	s_delay_alu instid0(VALU_DEP_2) | instskip(NEXT) | instid1(VALU_DEP_1)
	v_add_nc_u32_e32 v145, -1, v165
	v_cndmask_b32_e64 v10, 0, v145, s14
	v_lshrrev_b32_e32 v145, 23, v164
	s_mov_b32 s14, exec_lo
	s_delay_alu instid0(VALU_DEP_2) | instskip(NEXT) | instid1(VALU_DEP_2)
	v_add_nc_u32_e32 v10, v10, v164
	v_xor_b32_e32 v145, 1, v145
	s_delay_alu instid0(VALU_DEP_2) | instskip(NEXT) | instid1(VALU_DEP_1)
	v_and_b32_e32 v9, 0x1fffff, v10
	v_add_nc_u32_e32 v10, v9, v164
                                        ; implicit-def: $vgpr9
	s_delay_alu instid0(VALU_DEP_3)
	v_cmpx_ne_u32_e64 v11, v145
	s_xor_b32 s14, exec_lo, s14
; %bb.1541:                             ;   in Loop: Header=BB2_1345 Depth=4
	s_delay_alu instid0(VALU_DEP_2) | instskip(SKIP_2) | instid1(VALU_DEP_2)
	v_cmp_lt_u32_e32 vcc_lo, 0xffffff, v10
	v_sub_nc_u32_e32 v9, v11, v145
	v_cndmask_b32_e64 v11, 0, 1, vcc_lo
	v_add_co_ci_u32_e32 v9, vcc_lo, 0, v9, vcc_lo
	s_delay_alu instid0(VALU_DEP_2)
	v_lshrrev_b32_e32 v10, v11, v10
; %bb.1542:                             ;   in Loop: Header=BB2_1345 Depth=4
	s_and_not1_saveexec_b32 s14, s14
; %bb.1543:                             ;   in Loop: Header=BB2_1345 Depth=4
	s_delay_alu instid0(VALU_DEP_1)
	v_bfe_u32 v9, v10, 23, 1
; %bb.1544:                             ;   in Loop: Header=BB2_1345 Depth=4
	s_or_b32 exec_lo, exec_lo, s14
	v_lshrrev_b32_e32 v10, 21, v10
	s_delay_alu instid0(VALU_DEP_2) | instskip(SKIP_2) | instid1(VALU_DEP_3)
	v_min_i32_e32 v11, 31, v9
	v_cmp_gt_i32_e32 vcc_lo, 32, v9
	v_lshrrev_b32_e32 v8, 24, v8
	v_dual_cndmask_b32 v10, 3, v10 :: v_dual_lshlrev_b32 v11, 2, v11
	s_delay_alu instid0(VALU_DEP_2) | instskip(NEXT) | instid1(VALU_DEP_2)
	v_and_b32_e32 v8, 0x80, v8
	v_and_b32_e32 v11, 0xfc, v11
	s_delay_alu instid0(VALU_DEP_3) | instskip(SKIP_1) | instid1(VALU_DEP_2)
	v_and_b32_e32 v145, 3, v10
	v_or_b32_e32 v9, v9, v10
	v_or3_b32 v8, v8, v11, v145
	s_delay_alu instid0(VALU_DEP_2) | instskip(NEXT) | instid1(VALU_DEP_2)
	v_cmp_ne_u32_e32 vcc_lo, 0, v9
	v_lshlrev_b32_e32 v8, 8, v8
	s_delay_alu instid0(VALU_DEP_1)
	v_cndmask_b32_e32 v145, 0, v8, vcc_lo
.LBB2_1545:                             ;   in Loop: Header=BB2_1345 Depth=4
	s_or_b32 exec_lo, exec_lo, s36
.LBB2_1546:                             ;   in Loop: Header=BB2_1345 Depth=4
	s_delay_alu instid0(SALU_CYCLE_1) | instskip(SKIP_4) | instid1(VALU_DEP_1)
	s_or_b32 exec_lo, exec_lo, s35
	global_load_b128 v[8:11], v[64:65], off slc dlc
	v_and_b32_e32 v165, 0xff, v132
	s_mov_b32 s14, 0
	s_mov_b32 s36, exec_lo
                                        ; implicit-def: $sgpr35
	v_cmpx_lt_i16_e64 0x7f, v165
	s_xor_b32 s36, exec_lo, s36
	s_cbranch_execnz .LBB2_1864
; %bb.1547:                             ;   in Loop: Header=BB2_1345 Depth=4
	s_or_saveexec_b32 s36, s36
	v_mov_b32_e32 v164, s35
	s_xor_b32 exec_lo, exec_lo, s36
	s_cbranch_execnz .LBB2_1867
.LBB2_1548:                             ;   in Loop: Header=BB2_1345 Depth=4
	s_or_b32 exec_lo, exec_lo, s36
	s_and_saveexec_b32 s35, s14
	s_cbranch_execz .LBB2_1550
.LBB2_1549:                             ;   in Loop: Header=BB2_1345 Depth=4
	v_bfe_u32 v167, v132, 2, 5
	s_delay_alu instid0(VALU_DEP_1) | instskip(SKIP_1) | instid1(VALU_DEP_1)
	v_cmp_eq_u32_e32 vcc_lo, 0, v167
	v_and_b32_e32 v164, 3, v132
	v_clz_i32_u32_e32 v165, v164
	s_delay_alu instid0(VALU_DEP_1) | instskip(NEXT) | instid1(VALU_DEP_1)
	v_min_u32_e32 v165, 32, v165
	v_subrev_nc_u32_e32 v166, 29, v165
	v_sub_nc_u32_e32 v165, 30, v165
	s_delay_alu instid0(VALU_DEP_1) | instskip(SKIP_1) | instid1(VALU_DEP_2)
	v_dual_cndmask_b32 v165, v167, v165 :: v_dual_lshlrev_b32 v166, v166, v132
	v_lshlrev_b32_e32 v132, 24, v132
	v_and_b32_e32 v166, 3, v166
	s_delay_alu instid0(VALU_DEP_3) | instskip(NEXT) | instid1(VALU_DEP_3)
	v_lshl_add_u32 v165, v165, 23, 0x37800000
	v_and_b32_e32 v132, 0x80000000, v132
	s_delay_alu instid0(VALU_DEP_3) | instskip(NEXT) | instid1(VALU_DEP_1)
	v_cndmask_b32_e32 v164, v164, v166, vcc_lo
	v_lshlrev_b32_e32 v164, 21, v164
	s_delay_alu instid0(VALU_DEP_1)
	v_or3_b32 v164, v132, v165, v164
.LBB2_1550:                             ;   in Loop: Header=BB2_1345 Depth=4
	s_or_b32 exec_lo, exec_lo, s35
	s_waitcnt vmcnt(0)
	v_and_b32_e32 v165, 0xff, v8
	s_mov_b32 s14, 0
	s_mov_b32 s36, exec_lo
                                        ; implicit-def: $sgpr35
	s_delay_alu instid0(VALU_DEP_1)
	v_cmpx_lt_i16_e64 0x7f, v165
	s_xor_b32 s36, exec_lo, s36
	s_cbranch_execnz .LBB2_1868
; %bb.1551:                             ;   in Loop: Header=BB2_1345 Depth=4
	s_or_saveexec_b32 s36, s36
	v_mov_b32_e32 v132, s35
	s_xor_b32 exec_lo, exec_lo, s36
	s_cbranch_execnz .LBB2_1871
.LBB2_1552:                             ;   in Loop: Header=BB2_1345 Depth=4
	s_or_b32 exec_lo, exec_lo, s36
	s_and_saveexec_b32 s35, s14
	s_cbranch_execz .LBB2_1554
.LBB2_1553:                             ;   in Loop: Header=BB2_1345 Depth=4
	v_bfe_u32 v167, v8, 2, 5
	v_lshlrev_b32_e32 v176, 24, v8
	s_delay_alu instid0(VALU_DEP_2) | instskip(SKIP_1) | instid1(VALU_DEP_1)
	v_cmp_eq_u32_e32 vcc_lo, 0, v167
	v_and_b32_e32 v132, 3, v8
	v_clz_i32_u32_e32 v165, v132
	s_delay_alu instid0(VALU_DEP_1) | instskip(NEXT) | instid1(VALU_DEP_1)
	v_min_u32_e32 v165, 32, v165
	v_subrev_nc_u32_e32 v166, 29, v165
	v_sub_nc_u32_e32 v165, 30, v165
	s_delay_alu instid0(VALU_DEP_1) | instskip(NEXT) | instid1(VALU_DEP_1)
	v_dual_cndmask_b32 v165, v167, v165 :: v_dual_lshlrev_b32 v166, v166, v8
	v_and_b32_e32 v166, 3, v166
	s_delay_alu instid0(VALU_DEP_2) | instskip(NEXT) | instid1(VALU_DEP_2)
	v_lshl_add_u32 v165, v165, 23, 0x37800000
	v_cndmask_b32_e32 v132, v132, v166, vcc_lo
	v_and_b32_e32 v166, 0x80000000, v176
	s_delay_alu instid0(VALU_DEP_2) | instskip(NEXT) | instid1(VALU_DEP_1)
	v_lshlrev_b32_e32 v132, 21, v132
	v_or3_b32 v132, v166, v165, v132
.LBB2_1554:                             ;   in Loop: Header=BB2_1345 Depth=4
	s_or_b32 exec_lo, exec_lo, s35
	s_delay_alu instid0(VALU_DEP_1) | instskip(NEXT) | instid1(VALU_DEP_1)
	v_add_f32_e32 v164, v164, v132
	v_and_b32_e32 v132, 0x7f800000, v164
	s_delay_alu instid0(VALU_DEP_1)
	v_cmp_ne_u32_e32 vcc_lo, 0x7f800000, v132
	v_mov_b32_e32 v132, 0x80
	s_and_saveexec_b32 s35, vcc_lo
	s_cbranch_execz .LBB2_1562
; %bb.1555:                             ;   in Loop: Header=BB2_1345 Depth=4
	v_mov_b32_e32 v132, 0
	s_mov_b32 s36, exec_lo
	v_cmpx_ne_u32_e32 0, v164
	s_cbranch_execz .LBB2_1561
; %bb.1556:                             ;   in Loop: Header=BB2_1345 Depth=4
	v_bfe_u32 v132, v164, 23, 8
	s_delay_alu instid0(VALU_DEP_1) | instskip(SKIP_1) | instid1(VALU_DEP_2)
	v_sub_nc_u32_e32 v166, 0x70, v132
	v_cmp_gt_u32_e32 vcc_lo, 0x71, v132
	v_dual_cndmask_b32 v166, 0, v166 :: v_dual_and_b32 v165, 0x7fffff, v164
	s_delay_alu instid0(VALU_DEP_1) | instskip(SKIP_2) | instid1(VALU_DEP_4)
	v_or_b32_e32 v167, 0x800000, v165
	v_cmp_eq_u32_e32 vcc_lo, 0, v132
	v_add_nc_u32_e32 v132, 0xffffff91, v132
	v_cndmask_b32_e64 v166, v166, 0x6f, vcc_lo
	s_delay_alu instid0(VALU_DEP_4) | instskip(NEXT) | instid1(VALU_DEP_3)
	v_cndmask_b32_e32 v165, v167, v165, vcc_lo
	v_cndmask_b32_e64 v132, v132, 0xffffff92, vcc_lo
	s_delay_alu instid0(VALU_DEP_3) | instskip(NEXT) | instid1(VALU_DEP_3)
	v_lshl_add_u32 v167, 0x200000, v166, -1
	v_lshrrev_b32_e32 v176, v166, v165
	v_lshlrev_b32_e64 v178, v166, 0x100000
	s_delay_alu instid0(VALU_DEP_4) | instskip(NEXT) | instid1(VALU_DEP_4)
	v_add_nc_u32_e32 v166, v166, v132
	v_and_b32_e32 v165, v167, v165
	s_delay_alu instid0(VALU_DEP_4) | instskip(NEXT) | instid1(VALU_DEP_2)
	v_bfe_u32 v177, v176, 21, 1
	v_cmp_eq_u32_e64 s14, v165, v178
	s_delay_alu instid0(VALU_DEP_2) | instskip(NEXT) | instid1(VALU_DEP_1)
	v_add_nc_u32_e32 v167, -1, v177
	v_cndmask_b32_e64 v165, 0, v167, s14
	v_lshrrev_b32_e32 v167, 23, v176
	s_mov_b32 s14, exec_lo
	s_delay_alu instid0(VALU_DEP_2) | instskip(NEXT) | instid1(VALU_DEP_2)
	v_add_nc_u32_e32 v165, v165, v176
	v_xor_b32_e32 v167, 1, v167
	s_delay_alu instid0(VALU_DEP_2) | instskip(NEXT) | instid1(VALU_DEP_1)
	v_and_b32_e32 v132, 0x1fffff, v165
	v_add_nc_u32_e32 v165, v132, v176
                                        ; implicit-def: $vgpr132
	s_delay_alu instid0(VALU_DEP_3)
	v_cmpx_ne_u32_e64 v166, v167
	s_xor_b32 s14, exec_lo, s14
; %bb.1557:                             ;   in Loop: Header=BB2_1345 Depth=4
	s_delay_alu instid0(VALU_DEP_2) | instskip(SKIP_2) | instid1(VALU_DEP_2)
	v_cmp_lt_u32_e32 vcc_lo, 0xffffff, v165
	v_sub_nc_u32_e32 v132, v166, v167
	v_cndmask_b32_e64 v166, 0, 1, vcc_lo
	v_add_co_ci_u32_e32 v132, vcc_lo, 0, v132, vcc_lo
	s_delay_alu instid0(VALU_DEP_2)
	v_lshrrev_b32_e32 v165, v166, v165
; %bb.1558:                             ;   in Loop: Header=BB2_1345 Depth=4
	s_and_not1_saveexec_b32 s14, s14
; %bb.1559:                             ;   in Loop: Header=BB2_1345 Depth=4
	s_delay_alu instid0(VALU_DEP_1)
	v_bfe_u32 v132, v165, 23, 1
; %bb.1560:                             ;   in Loop: Header=BB2_1345 Depth=4
	s_or_b32 exec_lo, exec_lo, s14
	v_lshrrev_b32_e32 v165, 21, v165
	s_delay_alu instid0(VALU_DEP_2) | instskip(SKIP_2) | instid1(VALU_DEP_2)
	v_cmp_gt_i32_e32 vcc_lo, 32, v132
	v_lshrrev_b32_e32 v164, 24, v164
	v_min_i32_e32 v166, 31, v132
	v_dual_cndmask_b32 v165, 3, v165 :: v_dual_and_b32 v164, 0x80, v164
	s_delay_alu instid0(VALU_DEP_2) | instskip(NEXT) | instid1(VALU_DEP_2)
	v_lshlrev_b32_e32 v166, 2, v166
	v_or_b32_e32 v132, v132, v165
	s_delay_alu instid0(VALU_DEP_1) | instskip(SKIP_1) | instid1(VALU_DEP_1)
	v_cmp_ne_u32_e32 vcc_lo, 0, v132
	v_and_b32_e32 v167, 3, v165
	v_or3_b32 v164, v166, v164, v167
	s_delay_alu instid0(VALU_DEP_1)
	v_cndmask_b32_e32 v132, 0, v164, vcc_lo
.LBB2_1561:                             ;   in Loop: Header=BB2_1345 Depth=4
	s_or_b32 exec_lo, exec_lo, s36
.LBB2_1562:                             ;   in Loop: Header=BB2_1345 Depth=4
	s_delay_alu instid0(SALU_CYCLE_1) | instskip(SKIP_3) | instid1(VALU_DEP_1)
	s_or_b32 exec_lo, exec_lo, s35
	v_and_b32_e32 v165, 0xff, v144
	s_mov_b32 s14, 0
	s_mov_b32 s36, exec_lo
                                        ; implicit-def: $sgpr35
	v_cmpx_lt_i16_e64 0x7f, v165
	s_xor_b32 s36, exec_lo, s36
	s_cbranch_execnz .LBB2_1872
; %bb.1563:                             ;   in Loop: Header=BB2_1345 Depth=4
	s_or_saveexec_b32 s36, s36
	v_mov_b32_e32 v164, s35
	s_xor_b32 exec_lo, exec_lo, s36
	s_cbranch_execnz .LBB2_1875
.LBB2_1564:                             ;   in Loop: Header=BB2_1345 Depth=4
	s_or_b32 exec_lo, exec_lo, s36
	s_and_saveexec_b32 s35, s14
	s_cbranch_execz .LBB2_1566
.LBB2_1565:                             ;   in Loop: Header=BB2_1345 Depth=4
	v_bfe_u32 v167, v144, 2, 5
	s_delay_alu instid0(VALU_DEP_1) | instskip(SKIP_1) | instid1(VALU_DEP_1)
	v_cmp_eq_u32_e32 vcc_lo, 0, v167
	v_and_b32_e32 v164, 3, v144
	v_clz_i32_u32_e32 v165, v164
	s_delay_alu instid0(VALU_DEP_1) | instskip(NEXT) | instid1(VALU_DEP_1)
	v_min_u32_e32 v165, 32, v165
	v_subrev_nc_u32_e32 v166, 29, v165
	v_sub_nc_u32_e32 v165, 30, v165
	s_delay_alu instid0(VALU_DEP_1) | instskip(SKIP_1) | instid1(VALU_DEP_2)
	v_dual_cndmask_b32 v165, v167, v165 :: v_dual_lshlrev_b32 v166, v166, v144
	v_lshlrev_b32_e32 v144, 24, v144
	v_and_b32_e32 v166, 3, v166
	s_delay_alu instid0(VALU_DEP_3) | instskip(NEXT) | instid1(VALU_DEP_3)
	v_lshl_add_u32 v165, v165, 23, 0x37800000
	v_and_b32_e32 v144, 0x80000000, v144
	s_delay_alu instid0(VALU_DEP_3) | instskip(NEXT) | instid1(VALU_DEP_1)
	v_cndmask_b32_e32 v164, v164, v166, vcc_lo
	v_lshlrev_b32_e32 v164, 21, v164
	s_delay_alu instid0(VALU_DEP_1)
	v_or3_b32 v164, v144, v165, v164
.LBB2_1566:                             ;   in Loop: Header=BB2_1345 Depth=4
	s_or_b32 exec_lo, exec_lo, s35
	v_lshrrev_b16 v144, 8, v8
	s_mov_b32 s14, 0
	s_mov_b32 s36, exec_lo
                                        ; implicit-def: $sgpr35
	s_delay_alu instid0(VALU_DEP_1)
	v_cmpx_lt_i16_e64 0x7f, v144
	s_xor_b32 s36, exec_lo, s36
	s_cbranch_execnz .LBB2_1876
; %bb.1567:                             ;   in Loop: Header=BB2_1345 Depth=4
	s_or_saveexec_b32 s36, s36
	v_mov_b32_e32 v165, s35
	s_xor_b32 exec_lo, exec_lo, s36
	s_cbranch_execnz .LBB2_1879
.LBB2_1568:                             ;   in Loop: Header=BB2_1345 Depth=4
	s_or_b32 exec_lo, exec_lo, s36
	s_and_saveexec_b32 s35, s14
	s_cbranch_execz .LBB2_1570
.LBB2_1569:                             ;   in Loop: Header=BB2_1345 Depth=4
	v_and_b32_e32 v165, 0xffff, v144
	v_lshlrev_b32_e32 v144, 24, v144
	s_delay_alu instid0(VALU_DEP_2) | instskip(NEXT) | instid1(VALU_DEP_2)
	v_and_b32_e32 v166, 3, v165
	v_and_b32_e32 v144, 0x80000000, v144
	s_delay_alu instid0(VALU_DEP_2) | instskip(NEXT) | instid1(VALU_DEP_1)
	v_clz_i32_u32_e32 v167, v166
	v_min_u32_e32 v167, 32, v167
	s_delay_alu instid0(VALU_DEP_1) | instskip(SKIP_1) | instid1(VALU_DEP_2)
	v_subrev_nc_u32_e32 v176, 29, v167
	v_sub_nc_u32_e32 v167, 30, v167
	v_lshlrev_b32_e32 v176, v176, v165
	v_bfe_u32 v165, v165, 2, 5
	s_delay_alu instid0(VALU_DEP_2) | instskip(NEXT) | instid1(VALU_DEP_2)
	v_and_b32_e32 v176, 3, v176
	v_cmp_eq_u32_e32 vcc_lo, 0, v165
	s_delay_alu instid0(VALU_DEP_2) | instskip(NEXT) | instid1(VALU_DEP_1)
	v_dual_cndmask_b32 v165, v165, v167 :: v_dual_cndmask_b32 v166, v166, v176
	v_lshl_add_u32 v165, v165, 23, 0x37800000
	s_delay_alu instid0(VALU_DEP_2) | instskip(NEXT) | instid1(VALU_DEP_1)
	v_lshlrev_b32_e32 v166, 21, v166
	v_or3_b32 v165, v144, v165, v166
.LBB2_1570:                             ;   in Loop: Header=BB2_1345 Depth=4
	s_or_b32 exec_lo, exec_lo, s35
	s_delay_alu instid0(VALU_DEP_1) | instskip(NEXT) | instid1(VALU_DEP_1)
	v_add_f32_e32 v164, v164, v165
	v_and_b32_e32 v144, 0x7f800000, v164
	s_delay_alu instid0(VALU_DEP_1)
	v_cmp_ne_u32_e32 vcc_lo, 0x7f800000, v144
	v_mov_b32_e32 v144, 0x80
	s_and_saveexec_b32 s35, vcc_lo
	s_cbranch_execz .LBB2_1578
; %bb.1571:                             ;   in Loop: Header=BB2_1345 Depth=4
	v_mov_b32_e32 v144, 0
	s_mov_b32 s36, exec_lo
	v_cmpx_ne_u32_e32 0, v164
	s_cbranch_execz .LBB2_1577
; %bb.1572:                             ;   in Loop: Header=BB2_1345 Depth=4
	v_bfe_u32 v144, v164, 23, 8
	s_delay_alu instid0(VALU_DEP_1) | instskip(SKIP_1) | instid1(VALU_DEP_2)
	v_sub_nc_u32_e32 v166, 0x70, v144
	v_cmp_gt_u32_e32 vcc_lo, 0x71, v144
	v_dual_cndmask_b32 v166, 0, v166 :: v_dual_and_b32 v165, 0x7fffff, v164
	s_delay_alu instid0(VALU_DEP_1) | instskip(SKIP_2) | instid1(VALU_DEP_4)
	v_or_b32_e32 v167, 0x800000, v165
	v_cmp_eq_u32_e32 vcc_lo, 0, v144
	v_add_nc_u32_e32 v144, 0xffffff91, v144
	v_cndmask_b32_e64 v166, v166, 0x6f, vcc_lo
	s_delay_alu instid0(VALU_DEP_4) | instskip(NEXT) | instid1(VALU_DEP_3)
	v_cndmask_b32_e32 v165, v167, v165, vcc_lo
	v_cndmask_b32_e64 v144, v144, 0xffffff92, vcc_lo
	s_delay_alu instid0(VALU_DEP_3) | instskip(NEXT) | instid1(VALU_DEP_3)
	v_lshl_add_u32 v167, 0x200000, v166, -1
	v_lshrrev_b32_e32 v176, v166, v165
	v_lshlrev_b32_e64 v178, v166, 0x100000
	s_delay_alu instid0(VALU_DEP_4) | instskip(NEXT) | instid1(VALU_DEP_4)
	v_add_nc_u32_e32 v166, v166, v144
	v_and_b32_e32 v165, v167, v165
	s_delay_alu instid0(VALU_DEP_4) | instskip(NEXT) | instid1(VALU_DEP_2)
	v_bfe_u32 v177, v176, 21, 1
	v_cmp_eq_u32_e64 s14, v165, v178
	s_delay_alu instid0(VALU_DEP_2) | instskip(NEXT) | instid1(VALU_DEP_1)
	v_add_nc_u32_e32 v167, -1, v177
	v_cndmask_b32_e64 v165, 0, v167, s14
	v_lshrrev_b32_e32 v167, 23, v176
	s_mov_b32 s14, exec_lo
	s_delay_alu instid0(VALU_DEP_2) | instskip(NEXT) | instid1(VALU_DEP_2)
	v_add_nc_u32_e32 v165, v165, v176
	v_xor_b32_e32 v167, 1, v167
	s_delay_alu instid0(VALU_DEP_2) | instskip(NEXT) | instid1(VALU_DEP_1)
	v_and_b32_e32 v144, 0x1fffff, v165
	v_add_nc_u32_e32 v165, v144, v176
                                        ; implicit-def: $vgpr144
	s_delay_alu instid0(VALU_DEP_3)
	v_cmpx_ne_u32_e64 v166, v167
	s_xor_b32 s14, exec_lo, s14
; %bb.1573:                             ;   in Loop: Header=BB2_1345 Depth=4
	s_delay_alu instid0(VALU_DEP_2) | instskip(SKIP_2) | instid1(VALU_DEP_2)
	v_cmp_lt_u32_e32 vcc_lo, 0xffffff, v165
	v_sub_nc_u32_e32 v144, v166, v167
	v_cndmask_b32_e64 v166, 0, 1, vcc_lo
	v_add_co_ci_u32_e32 v144, vcc_lo, 0, v144, vcc_lo
	s_delay_alu instid0(VALU_DEP_2)
	v_lshrrev_b32_e32 v165, v166, v165
; %bb.1574:                             ;   in Loop: Header=BB2_1345 Depth=4
	s_and_not1_saveexec_b32 s14, s14
; %bb.1575:                             ;   in Loop: Header=BB2_1345 Depth=4
	s_delay_alu instid0(VALU_DEP_1)
	v_bfe_u32 v144, v165, 23, 1
; %bb.1576:                             ;   in Loop: Header=BB2_1345 Depth=4
	s_or_b32 exec_lo, exec_lo, s14
	v_lshrrev_b32_e32 v165, 21, v165
	s_delay_alu instid0(VALU_DEP_2) | instskip(SKIP_2) | instid1(VALU_DEP_2)
	v_cmp_gt_i32_e32 vcc_lo, 32, v144
	v_lshrrev_b32_e32 v164, 24, v164
	v_min_i32_e32 v166, 31, v144
	v_dual_cndmask_b32 v165, 3, v165 :: v_dual_and_b32 v164, 0x80, v164
	s_delay_alu instid0(VALU_DEP_2) | instskip(NEXT) | instid1(VALU_DEP_2)
	v_lshlrev_b32_e32 v166, 2, v166
	v_or_b32_e32 v144, v144, v165
	s_delay_alu instid0(VALU_DEP_1) | instskip(SKIP_1) | instid1(VALU_DEP_1)
	v_cmp_ne_u32_e32 vcc_lo, 0, v144
	v_and_b32_e32 v167, 3, v165
	v_or3_b32 v164, v166, v164, v167
	s_delay_alu instid0(VALU_DEP_1)
	v_cndmask_b32_e32 v144, 0, v164, vcc_lo
.LBB2_1577:                             ;   in Loop: Header=BB2_1345 Depth=4
	s_or_b32 exec_lo, exec_lo, s36
.LBB2_1578:                             ;   in Loop: Header=BB2_1345 Depth=4
	s_delay_alu instid0(SALU_CYCLE_1) | instskip(SKIP_3) | instid1(VALU_DEP_1)
	s_or_b32 exec_lo, exec_lo, s35
	v_and_b32_e32 v165, 0xff, v150
	s_mov_b32 s14, 0
	s_mov_b32 s36, exec_lo
                                        ; implicit-def: $sgpr35
	v_cmpx_lt_i16_e64 0x7f, v165
	s_xor_b32 s36, exec_lo, s36
	s_cbranch_execnz .LBB2_1880
; %bb.1579:                             ;   in Loop: Header=BB2_1345 Depth=4
	s_or_saveexec_b32 s36, s36
	v_mov_b32_e32 v164, s35
	s_xor_b32 exec_lo, exec_lo, s36
	s_cbranch_execnz .LBB2_1883
.LBB2_1580:                             ;   in Loop: Header=BB2_1345 Depth=4
	s_or_b32 exec_lo, exec_lo, s36
	s_and_saveexec_b32 s35, s14
	s_cbranch_execz .LBB2_1582
.LBB2_1581:                             ;   in Loop: Header=BB2_1345 Depth=4
	v_bfe_u32 v167, v150, 2, 5
	s_delay_alu instid0(VALU_DEP_1) | instskip(SKIP_1) | instid1(VALU_DEP_1)
	v_cmp_eq_u32_e32 vcc_lo, 0, v167
	v_and_b32_e32 v164, 3, v150
	v_clz_i32_u32_e32 v165, v164
	s_delay_alu instid0(VALU_DEP_1) | instskip(NEXT) | instid1(VALU_DEP_1)
	v_min_u32_e32 v165, 32, v165
	v_subrev_nc_u32_e32 v166, 29, v165
	v_sub_nc_u32_e32 v165, 30, v165
	s_delay_alu instid0(VALU_DEP_1) | instskip(SKIP_1) | instid1(VALU_DEP_2)
	v_dual_cndmask_b32 v165, v167, v165 :: v_dual_lshlrev_b32 v166, v166, v150
	v_lshlrev_b32_e32 v150, 24, v150
	v_and_b32_e32 v166, 3, v166
	s_delay_alu instid0(VALU_DEP_3) | instskip(NEXT) | instid1(VALU_DEP_3)
	v_lshl_add_u32 v165, v165, 23, 0x37800000
	v_and_b32_e32 v150, 0x80000000, v150
	s_delay_alu instid0(VALU_DEP_3) | instskip(NEXT) | instid1(VALU_DEP_1)
	v_cndmask_b32_e32 v164, v164, v166, vcc_lo
	v_lshlrev_b32_e32 v164, 21, v164
	s_delay_alu instid0(VALU_DEP_1)
	v_or3_b32 v164, v150, v165, v164
.LBB2_1582:                             ;   in Loop: Header=BB2_1345 Depth=4
	s_or_b32 exec_lo, exec_lo, s35
	v_lshrrev_b32_e32 v150, 16, v8
	s_mov_b32 s14, 0
	s_mov_b32 s36, exec_lo
                                        ; implicit-def: $sgpr35
	s_delay_alu instid0(VALU_DEP_1) | instskip(NEXT) | instid1(VALU_DEP_1)
	v_and_b32_e32 v166, 0xff, v150
	v_cmpx_lt_i16_e64 0x7f, v166
	s_xor_b32 s36, exec_lo, s36
	s_cbranch_execnz .LBB2_1884
; %bb.1583:                             ;   in Loop: Header=BB2_1345 Depth=4
	s_or_saveexec_b32 s36, s36
	v_mov_b32_e32 v165, s35
	s_xor_b32 exec_lo, exec_lo, s36
	s_cbranch_execnz .LBB2_1887
.LBB2_1584:                             ;   in Loop: Header=BB2_1345 Depth=4
	s_or_b32 exec_lo, exec_lo, s36
	s_and_saveexec_b32 s35, s14
	s_cbranch_execz .LBB2_1586
.LBB2_1585:                             ;   in Loop: Header=BB2_1345 Depth=4
	v_bfe_u32 v165, v8, 16, 2
	v_lshlrev_b32_e32 v176, 8, v8
	s_delay_alu instid0(VALU_DEP_2) | instskip(NEXT) | instid1(VALU_DEP_1)
	v_clz_i32_u32_e32 v166, v165
	v_min_u32_e32 v166, 32, v166
	s_delay_alu instid0(VALU_DEP_1) | instskip(SKIP_1) | instid1(VALU_DEP_2)
	v_subrev_nc_u32_e32 v167, 29, v166
	v_sub_nc_u32_e32 v166, 30, v166
	v_lshlrev_b32_e32 v150, v167, v150
	v_bfe_u32 v167, v8, 18, 5
	s_delay_alu instid0(VALU_DEP_2) | instskip(NEXT) | instid1(VALU_DEP_2)
	v_and_b32_e32 v150, 3, v150
	v_cmp_eq_u32_e32 vcc_lo, 0, v167
	v_cndmask_b32_e32 v166, v167, v166, vcc_lo
	s_delay_alu instid0(VALU_DEP_3) | instskip(NEXT) | instid1(VALU_DEP_2)
	v_dual_cndmask_b32 v150, v165, v150 :: v_dual_and_b32 v165, 0x80000000, v176
	v_lshl_add_u32 v166, v166, 23, 0x37800000
	s_delay_alu instid0(VALU_DEP_2) | instskip(NEXT) | instid1(VALU_DEP_1)
	v_lshlrev_b32_e32 v150, 21, v150
	v_or3_b32 v165, v165, v166, v150
.LBB2_1586:                             ;   in Loop: Header=BB2_1345 Depth=4
	s_or_b32 exec_lo, exec_lo, s35
	s_delay_alu instid0(VALU_DEP_1) | instskip(NEXT) | instid1(VALU_DEP_1)
	v_add_f32_e32 v164, v164, v165
	v_and_b32_e32 v150, 0x7f800000, v164
	s_delay_alu instid0(VALU_DEP_1)
	v_cmp_ne_u32_e32 vcc_lo, 0x7f800000, v150
	v_mov_b32_e32 v150, 0x80
	s_and_saveexec_b32 s35, vcc_lo
	s_cbranch_execz .LBB2_1594
; %bb.1587:                             ;   in Loop: Header=BB2_1345 Depth=4
	v_mov_b32_e32 v150, 0
	s_mov_b32 s36, exec_lo
	v_cmpx_ne_u32_e32 0, v164
	s_cbranch_execz .LBB2_1593
; %bb.1588:                             ;   in Loop: Header=BB2_1345 Depth=4
	v_bfe_u32 v150, v164, 23, 8
	s_delay_alu instid0(VALU_DEP_1) | instskip(SKIP_1) | instid1(VALU_DEP_2)
	v_sub_nc_u32_e32 v166, 0x70, v150
	v_cmp_gt_u32_e32 vcc_lo, 0x71, v150
	v_dual_cndmask_b32 v166, 0, v166 :: v_dual_and_b32 v165, 0x7fffff, v164
	s_delay_alu instid0(VALU_DEP_1) | instskip(SKIP_2) | instid1(VALU_DEP_4)
	v_or_b32_e32 v167, 0x800000, v165
	v_cmp_eq_u32_e32 vcc_lo, 0, v150
	v_add_nc_u32_e32 v150, 0xffffff91, v150
	v_cndmask_b32_e64 v166, v166, 0x6f, vcc_lo
	s_delay_alu instid0(VALU_DEP_4) | instskip(NEXT) | instid1(VALU_DEP_3)
	v_cndmask_b32_e32 v165, v167, v165, vcc_lo
	v_cndmask_b32_e64 v150, v150, 0xffffff92, vcc_lo
	s_delay_alu instid0(VALU_DEP_3) | instskip(NEXT) | instid1(VALU_DEP_3)
	v_lshl_add_u32 v167, 0x200000, v166, -1
	v_lshrrev_b32_e32 v176, v166, v165
	v_lshlrev_b32_e64 v178, v166, 0x100000
	s_delay_alu instid0(VALU_DEP_4) | instskip(NEXT) | instid1(VALU_DEP_4)
	v_add_nc_u32_e32 v166, v166, v150
	v_and_b32_e32 v165, v167, v165
	s_delay_alu instid0(VALU_DEP_4) | instskip(NEXT) | instid1(VALU_DEP_2)
	v_bfe_u32 v177, v176, 21, 1
	v_cmp_eq_u32_e64 s14, v165, v178
	s_delay_alu instid0(VALU_DEP_2) | instskip(NEXT) | instid1(VALU_DEP_1)
	v_add_nc_u32_e32 v167, -1, v177
	v_cndmask_b32_e64 v165, 0, v167, s14
	v_lshrrev_b32_e32 v167, 23, v176
	s_mov_b32 s14, exec_lo
	s_delay_alu instid0(VALU_DEP_2) | instskip(NEXT) | instid1(VALU_DEP_2)
	v_add_nc_u32_e32 v165, v165, v176
	v_xor_b32_e32 v167, 1, v167
	s_delay_alu instid0(VALU_DEP_2) | instskip(NEXT) | instid1(VALU_DEP_1)
	v_and_b32_e32 v150, 0x1fffff, v165
	v_add_nc_u32_e32 v165, v150, v176
                                        ; implicit-def: $vgpr150
	s_delay_alu instid0(VALU_DEP_3)
	v_cmpx_ne_u32_e64 v166, v167
	s_xor_b32 s14, exec_lo, s14
; %bb.1589:                             ;   in Loop: Header=BB2_1345 Depth=4
	s_delay_alu instid0(VALU_DEP_2) | instskip(SKIP_2) | instid1(VALU_DEP_2)
	v_cmp_lt_u32_e32 vcc_lo, 0xffffff, v165
	v_sub_nc_u32_e32 v150, v166, v167
	v_cndmask_b32_e64 v166, 0, 1, vcc_lo
	v_add_co_ci_u32_e32 v150, vcc_lo, 0, v150, vcc_lo
	s_delay_alu instid0(VALU_DEP_2)
	v_lshrrev_b32_e32 v165, v166, v165
; %bb.1590:                             ;   in Loop: Header=BB2_1345 Depth=4
	s_and_not1_saveexec_b32 s14, s14
; %bb.1591:                             ;   in Loop: Header=BB2_1345 Depth=4
	s_delay_alu instid0(VALU_DEP_1)
	v_bfe_u32 v150, v165, 23, 1
; %bb.1592:                             ;   in Loop: Header=BB2_1345 Depth=4
	s_or_b32 exec_lo, exec_lo, s14
	v_lshrrev_b32_e32 v165, 21, v165
	s_delay_alu instid0(VALU_DEP_2) | instskip(SKIP_2) | instid1(VALU_DEP_2)
	v_cmp_gt_i32_e32 vcc_lo, 32, v150
	v_lshrrev_b32_e32 v164, 24, v164
	v_min_i32_e32 v166, 31, v150
	v_dual_cndmask_b32 v165, 3, v165 :: v_dual_and_b32 v164, 0x80, v164
	s_delay_alu instid0(VALU_DEP_2) | instskip(NEXT) | instid1(VALU_DEP_2)
	v_lshlrev_b32_e32 v166, 2, v166
	v_or_b32_e32 v150, v150, v165
	s_delay_alu instid0(VALU_DEP_1) | instskip(SKIP_1) | instid1(VALU_DEP_1)
	v_cmp_ne_u32_e32 vcc_lo, 0, v150
	v_and_b32_e32 v167, 3, v165
	v_or3_b32 v164, v166, v164, v167
	s_delay_alu instid0(VALU_DEP_1)
	v_cndmask_b32_e32 v150, 0, v164, vcc_lo
.LBB2_1593:                             ;   in Loop: Header=BB2_1345 Depth=4
	s_or_b32 exec_lo, exec_lo, s36
.LBB2_1594:                             ;   in Loop: Header=BB2_1345 Depth=4
	s_delay_alu instid0(SALU_CYCLE_1) | instskip(SKIP_3) | instid1(VALU_DEP_1)
	s_or_b32 exec_lo, exec_lo, s35
	v_and_b32_e32 v165, 0xff, v161
	s_mov_b32 s14, 0
	s_mov_b32 s36, exec_lo
                                        ; implicit-def: $sgpr35
	v_cmpx_lt_i16_e64 0x7f, v165
	s_xor_b32 s36, exec_lo, s36
	s_cbranch_execnz .LBB2_1888
; %bb.1595:                             ;   in Loop: Header=BB2_1345 Depth=4
	s_or_saveexec_b32 s36, s36
	v_mov_b32_e32 v164, s35
	s_xor_b32 exec_lo, exec_lo, s36
	s_cbranch_execnz .LBB2_1891
.LBB2_1596:                             ;   in Loop: Header=BB2_1345 Depth=4
	s_or_b32 exec_lo, exec_lo, s36
	s_and_saveexec_b32 s35, s14
	s_cbranch_execz .LBB2_1598
.LBB2_1597:                             ;   in Loop: Header=BB2_1345 Depth=4
	v_lshlrev_b32_e32 v161, 8, v161
	s_delay_alu instid0(VALU_DEP_1) | instskip(SKIP_1) | instid1(VALU_DEP_2)
	v_and_b32_e32 v164, 0xff00, v161
	v_bfe_u32 v161, v161, 10, 5
	v_bfe_u32 v166, v164, 8, 2
	s_delay_alu instid0(VALU_DEP_2) | instskip(NEXT) | instid1(VALU_DEP_2)
	v_cmp_eq_u32_e32 vcc_lo, 0, v161
	v_clz_i32_u32_e32 v167, v166
	s_delay_alu instid0(VALU_DEP_1) | instskip(NEXT) | instid1(VALU_DEP_1)
	v_min_u32_e32 v167, 32, v167
	v_subrev_nc_u32_e32 v176, 29, v167
	v_sub_nc_u32_e32 v167, 30, v167
	s_delay_alu instid0(VALU_DEP_2) | instskip(NEXT) | instid1(VALU_DEP_2)
	v_lshlrev_b32_e32 v165, v176, v165
	v_cndmask_b32_e32 v161, v161, v167, vcc_lo
	s_delay_alu instid0(VALU_DEP_2) | instskip(SKIP_1) | instid1(VALU_DEP_3)
	v_and_b32_e32 v165, 3, v165
	v_lshlrev_b32_e32 v164, 16, v164
	v_lshl_add_u32 v161, v161, 23, 0x37800000
	s_delay_alu instid0(VALU_DEP_2) | instskip(NEXT) | instid1(VALU_DEP_1)
	v_dual_cndmask_b32 v165, v166, v165 :: v_dual_and_b32 v164, 0x80000000, v164
	v_lshlrev_b32_e32 v165, 21, v165
	s_delay_alu instid0(VALU_DEP_1)
	v_or3_b32 v164, v164, v161, v165
.LBB2_1598:                             ;   in Loop: Header=BB2_1345 Depth=4
	s_or_b32 exec_lo, exec_lo, s35
	v_lshrrev_b32_e32 v161, 24, v8
	s_mov_b32 s14, 0
	s_mov_b32 s36, exec_lo
                                        ; implicit-def: $sgpr35
	s_delay_alu instid0(VALU_DEP_1)
	v_cmpx_lt_i16_e64 0x7f, v161
	s_xor_b32 s36, exec_lo, s36
	s_cbranch_execnz .LBB2_1892
; %bb.1599:                             ;   in Loop: Header=BB2_1345 Depth=4
	s_or_saveexec_b32 s36, s36
	v_mov_b32_e32 v165, s35
	s_xor_b32 exec_lo, exec_lo, s36
	s_cbranch_execnz .LBB2_1895
.LBB2_1600:                             ;   in Loop: Header=BB2_1345 Depth=4
	s_or_b32 exec_lo, exec_lo, s36
	s_and_saveexec_b32 s35, s14
	s_cbranch_execz .LBB2_1602
.LBB2_1601:                             ;   in Loop: Header=BB2_1345 Depth=4
	v_bfe_u32 v165, v8, 24, 2
	s_delay_alu instid0(VALU_DEP_1) | instskip(NEXT) | instid1(VALU_DEP_1)
	v_clz_i32_u32_e32 v166, v165
	v_min_u32_e32 v166, 32, v166
	s_delay_alu instid0(VALU_DEP_1) | instskip(SKIP_1) | instid1(VALU_DEP_2)
	v_subrev_nc_u32_e32 v167, 29, v166
	v_sub_nc_u32_e32 v166, 30, v166
	v_lshlrev_b32_e32 v161, v167, v161
	v_bfe_u32 v167, v8, 26, 5
	v_and_b32_e32 v8, 0x80000000, v8
	s_delay_alu instid0(VALU_DEP_2) | instskip(NEXT) | instid1(VALU_DEP_4)
	v_cmp_eq_u32_e32 vcc_lo, 0, v167
	v_dual_cndmask_b32 v166, v167, v166 :: v_dual_and_b32 v161, 3, v161
	s_delay_alu instid0(VALU_DEP_1) | instskip(NEXT) | instid1(VALU_DEP_2)
	v_cndmask_b32_e32 v161, v165, v161, vcc_lo
	v_lshl_add_u32 v165, v166, 23, 0x37800000
	s_delay_alu instid0(VALU_DEP_2) | instskip(NEXT) | instid1(VALU_DEP_1)
	v_lshlrev_b32_e32 v161, 21, v161
	v_or3_b32 v165, v8, v165, v161
.LBB2_1602:                             ;   in Loop: Header=BB2_1345 Depth=4
	s_or_b32 exec_lo, exec_lo, s35
	s_delay_alu instid0(VALU_DEP_1) | instskip(NEXT) | instid1(VALU_DEP_1)
	v_add_f32_e32 v161, v164, v165
	v_and_b32_e32 v8, 0x7f800000, v161
	s_delay_alu instid0(VALU_DEP_1)
	v_cmp_ne_u32_e32 vcc_lo, 0x7f800000, v8
	v_mov_b32_e32 v8, 0x80
	s_and_saveexec_b32 s35, vcc_lo
	s_cbranch_execz .LBB2_1610
; %bb.1603:                             ;   in Loop: Header=BB2_1345 Depth=4
	v_mov_b32_e32 v8, 0
	s_mov_b32 s36, exec_lo
	v_cmpx_ne_u32_e32 0, v161
	s_cbranch_execz .LBB2_1609
; %bb.1604:                             ;   in Loop: Header=BB2_1345 Depth=4
	v_bfe_u32 v8, v161, 23, 8
	v_and_b32_e32 v164, 0x7fffff, v161
	s_delay_alu instid0(VALU_DEP_2) | instskip(SKIP_1) | instid1(VALU_DEP_3)
	v_sub_nc_u32_e32 v165, 0x70, v8
	v_cmp_gt_u32_e32 vcc_lo, 0x71, v8
	v_or_b32_e32 v166, 0x800000, v164
	s_delay_alu instid0(VALU_DEP_3) | instskip(SKIP_2) | instid1(VALU_DEP_4)
	v_cndmask_b32_e32 v165, 0, v165, vcc_lo
	v_cmp_eq_u32_e32 vcc_lo, 0, v8
	v_add_nc_u32_e32 v8, 0xffffff91, v8
	v_cndmask_b32_e32 v164, v166, v164, vcc_lo
	s_delay_alu instid0(VALU_DEP_4) | instskip(NEXT) | instid1(VALU_DEP_3)
	v_cndmask_b32_e64 v165, v165, 0x6f, vcc_lo
	v_cndmask_b32_e64 v8, v8, 0xffffff92, vcc_lo
	s_delay_alu instid0(VALU_DEP_2) | instskip(SKIP_2) | instid1(VALU_DEP_4)
	v_lshrrev_b32_e32 v167, v165, v164
	v_lshl_add_u32 v166, 0x200000, v165, -1
	v_lshlrev_b32_e64 v177, v165, 0x100000
	v_add_nc_u32_e32 v165, v165, v8
	s_delay_alu instid0(VALU_DEP_4) | instskip(NEXT) | instid1(VALU_DEP_4)
	v_bfe_u32 v176, v167, 21, 1
	v_and_b32_e32 v164, v166, v164
	s_delay_alu instid0(VALU_DEP_2) | instskip(NEXT) | instid1(VALU_DEP_2)
	v_add_nc_u32_e32 v166, -1, v176
	v_cmp_eq_u32_e64 s14, v164, v177
	s_delay_alu instid0(VALU_DEP_1) | instskip(SKIP_2) | instid1(VALU_DEP_2)
	v_cndmask_b32_e64 v164, 0, v166, s14
	v_lshrrev_b32_e32 v166, 23, v167
	s_mov_b32 s14, exec_lo
	v_add_nc_u32_e32 v164, v164, v167
	s_delay_alu instid0(VALU_DEP_2) | instskip(NEXT) | instid1(VALU_DEP_2)
	v_xor_b32_e32 v166, 1, v166
	v_and_b32_e32 v8, 0x1fffff, v164
	s_delay_alu instid0(VALU_DEP_1) | instskip(NEXT) | instid1(VALU_DEP_3)
	v_add_nc_u32_e32 v164, v8, v167
                                        ; implicit-def: $vgpr8
	v_cmpx_ne_u32_e64 v165, v166
	s_xor_b32 s14, exec_lo, s14
; %bb.1605:                             ;   in Loop: Header=BB2_1345 Depth=4
	s_delay_alu instid0(VALU_DEP_2) | instskip(SKIP_2) | instid1(VALU_DEP_2)
	v_cmp_lt_u32_e32 vcc_lo, 0xffffff, v164
	v_sub_nc_u32_e32 v8, v165, v166
	v_cndmask_b32_e64 v165, 0, 1, vcc_lo
	v_add_co_ci_u32_e32 v8, vcc_lo, 0, v8, vcc_lo
	s_delay_alu instid0(VALU_DEP_2)
	v_lshrrev_b32_e32 v164, v165, v164
; %bb.1606:                             ;   in Loop: Header=BB2_1345 Depth=4
	s_and_not1_saveexec_b32 s14, s14
; %bb.1607:                             ;   in Loop: Header=BB2_1345 Depth=4
	s_delay_alu instid0(VALU_DEP_1)
	v_bfe_u32 v8, v164, 23, 1
; %bb.1608:                             ;   in Loop: Header=BB2_1345 Depth=4
	s_or_b32 exec_lo, exec_lo, s14
	v_lshrrev_b32_e32 v164, 21, v164
	s_delay_alu instid0(VALU_DEP_2) | instskip(SKIP_2) | instid1(VALU_DEP_2)
	v_cmp_gt_i32_e32 vcc_lo, 32, v8
	v_lshrrev_b32_e32 v161, 24, v161
	v_min_i32_e32 v165, 31, v8
	v_dual_cndmask_b32 v164, 3, v164 :: v_dual_and_b32 v161, 0x80, v161
	s_delay_alu instid0(VALU_DEP_2) | instskip(NEXT) | instid1(VALU_DEP_2)
	v_lshlrev_b32_e32 v165, 2, v165
	v_and_b32_e32 v166, 3, v164
	v_or_b32_e32 v8, v8, v164
	s_delay_alu instid0(VALU_DEP_2) | instskip(NEXT) | instid1(VALU_DEP_2)
	v_or3_b32 v161, v165, v161, v166
	v_cmp_ne_u32_e32 vcc_lo, 0, v8
	s_delay_alu instid0(VALU_DEP_2)
	v_cndmask_b32_e32 v8, 0, v161, vcc_lo
.LBB2_1609:                             ;   in Loop: Header=BB2_1345 Depth=4
	s_or_b32 exec_lo, exec_lo, s36
.LBB2_1610:                             ;   in Loop: Header=BB2_1345 Depth=4
	s_delay_alu instid0(SALU_CYCLE_1) | instskip(SKIP_3) | instid1(VALU_DEP_1)
	s_or_b32 exec_lo, exec_lo, s35
	v_or_b32_e32 v163, v163, v160
	s_mov_b32 s14, 0
	s_mov_b32 s36, exec_lo
                                        ; implicit-def: $sgpr35
	v_and_b32_e32 v161, 0xff, v163
	s_delay_alu instid0(VALU_DEP_1)
	v_cmpx_lt_i16_e64 0x7f, v161
	s_xor_b32 s36, exec_lo, s36
	s_cbranch_execnz .LBB2_1896
; %bb.1611:                             ;   in Loop: Header=BB2_1345 Depth=4
	s_or_saveexec_b32 s36, s36
	v_mov_b32_e32 v160, s35
	s_xor_b32 exec_lo, exec_lo, s36
	s_cbranch_execnz .LBB2_1899
.LBB2_1612:                             ;   in Loop: Header=BB2_1345 Depth=4
	s_or_b32 exec_lo, exec_lo, s36
	s_and_saveexec_b32 s35, s14
	s_cbranch_execz .LBB2_1614
.LBB2_1613:                             ;   in Loop: Header=BB2_1345 Depth=4
	v_bfe_u32 v165, v163, 2, 5
	v_lshlrev_b32_e32 v166, 24, v163
	s_delay_alu instid0(VALU_DEP_2) | instskip(SKIP_1) | instid1(VALU_DEP_1)
	v_cmp_eq_u32_e32 vcc_lo, 0, v165
	v_and_b32_e32 v160, 3, v163
	v_clz_i32_u32_e32 v161, v160
	s_delay_alu instid0(VALU_DEP_1) | instskip(NEXT) | instid1(VALU_DEP_1)
	v_min_u32_e32 v161, 32, v161
	v_subrev_nc_u32_e32 v164, 29, v161
	v_sub_nc_u32_e32 v161, 30, v161
	s_delay_alu instid0(VALU_DEP_1) | instskip(NEXT) | instid1(VALU_DEP_1)
	v_dual_cndmask_b32 v161, v165, v161 :: v_dual_lshlrev_b32 v164, v164, v163
	v_and_b32_e32 v164, 3, v164
	s_delay_alu instid0(VALU_DEP_2) | instskip(NEXT) | instid1(VALU_DEP_2)
	v_lshl_add_u32 v161, v161, 23, 0x37800000
	v_cndmask_b32_e32 v160, v160, v164, vcc_lo
	v_and_b32_e32 v164, 0x80000000, v166
	s_delay_alu instid0(VALU_DEP_2) | instskip(NEXT) | instid1(VALU_DEP_1)
	v_lshlrev_b32_e32 v160, 21, v160
	v_or3_b32 v160, v164, v161, v160
.LBB2_1614:                             ;   in Loop: Header=BB2_1345 Depth=4
	s_or_b32 exec_lo, exec_lo, s35
	v_and_b32_e32 v164, 0xff, v9
	s_mov_b32 s14, 0
	s_mov_b32 s36, exec_lo
                                        ; implicit-def: $sgpr35
	s_delay_alu instid0(VALU_DEP_1)
	v_cmpx_lt_i16_e64 0x7f, v164
	s_xor_b32 s36, exec_lo, s36
	s_cbranch_execnz .LBB2_1900
; %bb.1615:                             ;   in Loop: Header=BB2_1345 Depth=4
	s_or_saveexec_b32 s36, s36
	v_mov_b32_e32 v161, s35
	s_xor_b32 exec_lo, exec_lo, s36
	s_cbranch_execnz .LBB2_1903
.LBB2_1616:                             ;   in Loop: Header=BB2_1345 Depth=4
	s_or_b32 exec_lo, exec_lo, s36
	s_and_saveexec_b32 s35, s14
	s_cbranch_execz .LBB2_1618
.LBB2_1617:                             ;   in Loop: Header=BB2_1345 Depth=4
	v_bfe_u32 v166, v9, 2, 5
	v_lshlrev_b32_e32 v167, 24, v9
	s_delay_alu instid0(VALU_DEP_2) | instskip(SKIP_1) | instid1(VALU_DEP_1)
	v_cmp_eq_u32_e32 vcc_lo, 0, v166
	v_and_b32_e32 v161, 3, v9
	v_clz_i32_u32_e32 v164, v161
	s_delay_alu instid0(VALU_DEP_1) | instskip(NEXT) | instid1(VALU_DEP_1)
	v_min_u32_e32 v164, 32, v164
	v_subrev_nc_u32_e32 v165, 29, v164
	v_sub_nc_u32_e32 v164, 30, v164
	s_delay_alu instid0(VALU_DEP_1) | instskip(NEXT) | instid1(VALU_DEP_1)
	v_dual_cndmask_b32 v164, v166, v164 :: v_dual_lshlrev_b32 v165, v165, v9
	v_and_b32_e32 v165, 3, v165
	s_delay_alu instid0(VALU_DEP_2) | instskip(NEXT) | instid1(VALU_DEP_2)
	v_lshl_add_u32 v164, v164, 23, 0x37800000
	v_cndmask_b32_e32 v161, v161, v165, vcc_lo
	v_and_b32_e32 v165, 0x80000000, v167
	s_delay_alu instid0(VALU_DEP_2) | instskip(NEXT) | instid1(VALU_DEP_1)
	v_lshlrev_b32_e32 v161, 21, v161
	v_or3_b32 v161, v165, v164, v161
.LBB2_1618:                             ;   in Loop: Header=BB2_1345 Depth=4
	s_or_b32 exec_lo, exec_lo, s35
	s_delay_alu instid0(VALU_DEP_1) | instskip(NEXT) | instid1(VALU_DEP_1)
	v_add_f32_e32 v161, v160, v161
	v_and_b32_e32 v160, 0x7f800000, v161
	s_delay_alu instid0(VALU_DEP_1)
	v_cmp_ne_u32_e32 vcc_lo, 0x7f800000, v160
	v_mov_b32_e32 v160, 0x80
	s_and_saveexec_b32 s35, vcc_lo
	s_cbranch_execz .LBB2_1626
; %bb.1619:                             ;   in Loop: Header=BB2_1345 Depth=4
	v_mov_b32_e32 v160, 0
	s_mov_b32 s36, exec_lo
	v_cmpx_ne_u32_e32 0, v161
	s_cbranch_execz .LBB2_1625
; %bb.1620:                             ;   in Loop: Header=BB2_1345 Depth=4
	v_bfe_u32 v160, v161, 23, 8
	v_and_b32_e32 v164, 0x7fffff, v161
	s_delay_alu instid0(VALU_DEP_2) | instskip(SKIP_1) | instid1(VALU_DEP_3)
	v_sub_nc_u32_e32 v165, 0x70, v160
	v_cmp_gt_u32_e32 vcc_lo, 0x71, v160
	v_or_b32_e32 v166, 0x800000, v164
	s_delay_alu instid0(VALU_DEP_3) | instskip(SKIP_2) | instid1(VALU_DEP_4)
	v_cndmask_b32_e32 v165, 0, v165, vcc_lo
	v_cmp_eq_u32_e32 vcc_lo, 0, v160
	v_add_nc_u32_e32 v160, 0xffffff91, v160
	v_cndmask_b32_e32 v164, v166, v164, vcc_lo
	s_delay_alu instid0(VALU_DEP_4) | instskip(NEXT) | instid1(VALU_DEP_3)
	v_cndmask_b32_e64 v165, v165, 0x6f, vcc_lo
	v_cndmask_b32_e64 v160, v160, 0xffffff92, vcc_lo
	s_delay_alu instid0(VALU_DEP_2) | instskip(SKIP_2) | instid1(VALU_DEP_4)
	v_lshrrev_b32_e32 v167, v165, v164
	v_lshl_add_u32 v166, 0x200000, v165, -1
	v_lshlrev_b32_e64 v177, v165, 0x100000
	v_add_nc_u32_e32 v165, v165, v160
	s_delay_alu instid0(VALU_DEP_4) | instskip(NEXT) | instid1(VALU_DEP_4)
	v_bfe_u32 v176, v167, 21, 1
	v_and_b32_e32 v164, v166, v164
	s_delay_alu instid0(VALU_DEP_2) | instskip(NEXT) | instid1(VALU_DEP_2)
	v_add_nc_u32_e32 v166, -1, v176
	v_cmp_eq_u32_e64 s14, v164, v177
	s_delay_alu instid0(VALU_DEP_1) | instskip(SKIP_2) | instid1(VALU_DEP_2)
	v_cndmask_b32_e64 v164, 0, v166, s14
	v_lshrrev_b32_e32 v166, 23, v167
	s_mov_b32 s14, exec_lo
	v_add_nc_u32_e32 v164, v164, v167
	s_delay_alu instid0(VALU_DEP_2) | instskip(NEXT) | instid1(VALU_DEP_2)
	v_xor_b32_e32 v166, 1, v166
	v_and_b32_e32 v160, 0x1fffff, v164
	s_delay_alu instid0(VALU_DEP_1) | instskip(NEXT) | instid1(VALU_DEP_3)
	v_add_nc_u32_e32 v164, v160, v167
                                        ; implicit-def: $vgpr160
	v_cmpx_ne_u32_e64 v165, v166
	s_xor_b32 s14, exec_lo, s14
; %bb.1621:                             ;   in Loop: Header=BB2_1345 Depth=4
	s_delay_alu instid0(VALU_DEP_2) | instskip(SKIP_2) | instid1(VALU_DEP_2)
	v_cmp_lt_u32_e32 vcc_lo, 0xffffff, v164
	v_sub_nc_u32_e32 v160, v165, v166
	v_cndmask_b32_e64 v165, 0, 1, vcc_lo
	v_add_co_ci_u32_e32 v160, vcc_lo, 0, v160, vcc_lo
	s_delay_alu instid0(VALU_DEP_2)
	v_lshrrev_b32_e32 v164, v165, v164
; %bb.1622:                             ;   in Loop: Header=BB2_1345 Depth=4
	s_and_not1_saveexec_b32 s14, s14
; %bb.1623:                             ;   in Loop: Header=BB2_1345 Depth=4
	s_delay_alu instid0(VALU_DEP_1)
	v_bfe_u32 v160, v164, 23, 1
; %bb.1624:                             ;   in Loop: Header=BB2_1345 Depth=4
	s_or_b32 exec_lo, exec_lo, s14
	v_lshrrev_b32_e32 v164, 21, v164
	s_delay_alu instid0(VALU_DEP_2) | instskip(SKIP_2) | instid1(VALU_DEP_2)
	v_cmp_gt_i32_e32 vcc_lo, 32, v160
	v_lshrrev_b32_e32 v161, 24, v161
	v_min_i32_e32 v165, 31, v160
	v_dual_cndmask_b32 v164, 3, v164 :: v_dual_and_b32 v161, 0x80, v161
	s_delay_alu instid0(VALU_DEP_2) | instskip(NEXT) | instid1(VALU_DEP_2)
	v_lshlrev_b32_e32 v165, 2, v165
	v_and_b32_e32 v166, 3, v164
	v_or_b32_e32 v160, v160, v164
	s_delay_alu instid0(VALU_DEP_2) | instskip(NEXT) | instid1(VALU_DEP_2)
	v_or3_b32 v161, v165, v161, v166
	v_cmp_ne_u32_e32 vcc_lo, 0, v160
	s_delay_alu instid0(VALU_DEP_2)
	v_cndmask_b32_e32 v160, 0, v161, vcc_lo
.LBB2_1625:                             ;   in Loop: Header=BB2_1345 Depth=4
	s_or_b32 exec_lo, exec_lo, s36
.LBB2_1626:                             ;   in Loop: Header=BB2_1345 Depth=4
	s_delay_alu instid0(SALU_CYCLE_1) | instskip(SKIP_3) | instid1(VALU_DEP_1)
	s_or_b32 exec_lo, exec_lo, s35
	v_lshrrev_b16 v164, 8, v163
	s_mov_b32 s14, 0
	s_mov_b32 s36, exec_lo
                                        ; implicit-def: $sgpr35
	v_cmpx_lt_i16_e64 0x7f, v164
	s_xor_b32 s36, exec_lo, s36
	s_cbranch_execnz .LBB2_1904
; %bb.1627:                             ;   in Loop: Header=BB2_1345 Depth=4
	s_or_saveexec_b32 s36, s36
	v_mov_b32_e32 v161, s35
	s_xor_b32 exec_lo, exec_lo, s36
	s_cbranch_execnz .LBB2_1907
.LBB2_1628:                             ;   in Loop: Header=BB2_1345 Depth=4
	s_or_b32 exec_lo, exec_lo, s36
	s_and_saveexec_b32 s35, s14
	s_cbranch_execz .LBB2_1630
.LBB2_1629:                             ;   in Loop: Header=BB2_1345 Depth=4
	v_and_b32_e32 v161, 0xffff, v164
	s_delay_alu instid0(VALU_DEP_1) | instskip(NEXT) | instid1(VALU_DEP_1)
	v_and_b32_e32 v165, 3, v161
	v_clz_i32_u32_e32 v166, v165
	s_delay_alu instid0(VALU_DEP_1) | instskip(NEXT) | instid1(VALU_DEP_1)
	v_min_u32_e32 v166, 32, v166
	v_subrev_nc_u32_e32 v167, 29, v166
	v_sub_nc_u32_e32 v166, 30, v166
	s_delay_alu instid0(VALU_DEP_2) | instskip(SKIP_1) | instid1(VALU_DEP_2)
	v_lshlrev_b32_e32 v167, v167, v161
	v_bfe_u32 v161, v161, 2, 5
	v_and_b32_e32 v167, 3, v167
	s_delay_alu instid0(VALU_DEP_2) | instskip(SKIP_1) | instid1(VALU_DEP_1)
	v_cmp_eq_u32_e32 vcc_lo, 0, v161
	v_dual_cndmask_b32 v161, v161, v166 :: v_dual_lshlrev_b32 v164, 24, v164
	v_dual_cndmask_b32 v165, v165, v167 :: v_dual_and_b32 v164, 0x80000000, v164
	s_delay_alu instid0(VALU_DEP_2) | instskip(NEXT) | instid1(VALU_DEP_2)
	v_lshl_add_u32 v161, v161, 23, 0x37800000
	v_lshlrev_b32_e32 v165, 21, v165
	s_delay_alu instid0(VALU_DEP_1)
	v_or3_b32 v161, v164, v161, v165
.LBB2_1630:                             ;   in Loop: Header=BB2_1345 Depth=4
	s_or_b32 exec_lo, exec_lo, s35
	v_lshrrev_b16 v164, 8, v9
	s_mov_b32 s14, 0
	s_mov_b32 s36, exec_lo
                                        ; implicit-def: $sgpr35
	s_delay_alu instid0(VALU_DEP_1)
	v_cmpx_lt_i16_e64 0x7f, v164
	s_xor_b32 s36, exec_lo, s36
	s_cbranch_execnz .LBB2_1908
; %bb.1631:                             ;   in Loop: Header=BB2_1345 Depth=4
	s_or_saveexec_b32 s36, s36
	v_mov_b32_e32 v165, s35
	s_xor_b32 exec_lo, exec_lo, s36
	s_cbranch_execnz .LBB2_1911
.LBB2_1632:                             ;   in Loop: Header=BB2_1345 Depth=4
	s_or_b32 exec_lo, exec_lo, s36
	s_and_saveexec_b32 s35, s14
	s_cbranch_execz .LBB2_1634
.LBB2_1633:                             ;   in Loop: Header=BB2_1345 Depth=4
	v_and_b32_e32 v165, 0xffff, v164
	v_lshlrev_b32_e32 v164, 24, v164
	s_delay_alu instid0(VALU_DEP_2) | instskip(NEXT) | instid1(VALU_DEP_2)
	v_and_b32_e32 v166, 3, v165
	v_and_b32_e32 v164, 0x80000000, v164
	s_delay_alu instid0(VALU_DEP_2) | instskip(NEXT) | instid1(VALU_DEP_1)
	v_clz_i32_u32_e32 v167, v166
	v_min_u32_e32 v167, 32, v167
	s_delay_alu instid0(VALU_DEP_1) | instskip(SKIP_1) | instid1(VALU_DEP_2)
	v_subrev_nc_u32_e32 v176, 29, v167
	v_sub_nc_u32_e32 v167, 30, v167
	v_lshlrev_b32_e32 v176, v176, v165
	v_bfe_u32 v165, v165, 2, 5
	s_delay_alu instid0(VALU_DEP_2) | instskip(NEXT) | instid1(VALU_DEP_2)
	v_and_b32_e32 v176, 3, v176
	v_cmp_eq_u32_e32 vcc_lo, 0, v165
	s_delay_alu instid0(VALU_DEP_2) | instskip(NEXT) | instid1(VALU_DEP_1)
	v_dual_cndmask_b32 v165, v165, v167 :: v_dual_cndmask_b32 v166, v166, v176
	v_lshl_add_u32 v165, v165, 23, 0x37800000
	s_delay_alu instid0(VALU_DEP_2) | instskip(NEXT) | instid1(VALU_DEP_1)
	v_lshlrev_b32_e32 v166, 21, v166
	v_or3_b32 v165, v164, v165, v166
.LBB2_1634:                             ;   in Loop: Header=BB2_1345 Depth=4
	s_or_b32 exec_lo, exec_lo, s35
	s_delay_alu instid0(VALU_DEP_1) | instskip(NEXT) | instid1(VALU_DEP_1)
	v_add_f32_e32 v164, v161, v165
	v_and_b32_e32 v161, 0x7f800000, v164
	s_delay_alu instid0(VALU_DEP_1)
	v_cmp_ne_u32_e32 vcc_lo, 0x7f800000, v161
	v_mov_b32_e32 v161, 0x8000
	s_and_saveexec_b32 s35, vcc_lo
	s_cbranch_execz .LBB2_1642
; %bb.1635:                             ;   in Loop: Header=BB2_1345 Depth=4
	v_mov_b32_e32 v161, 0
	s_mov_b32 s36, exec_lo
	v_cmpx_ne_u32_e32 0, v164
	s_cbranch_execz .LBB2_1641
; %bb.1636:                             ;   in Loop: Header=BB2_1345 Depth=4
	v_bfe_u32 v161, v164, 23, 8
	s_delay_alu instid0(VALU_DEP_1) | instskip(SKIP_1) | instid1(VALU_DEP_2)
	v_sub_nc_u32_e32 v166, 0x70, v161
	v_cmp_gt_u32_e32 vcc_lo, 0x71, v161
	v_dual_cndmask_b32 v166, 0, v166 :: v_dual_and_b32 v165, 0x7fffff, v164
	s_delay_alu instid0(VALU_DEP_1) | instskip(SKIP_2) | instid1(VALU_DEP_4)
	v_or_b32_e32 v167, 0x800000, v165
	v_cmp_eq_u32_e32 vcc_lo, 0, v161
	v_add_nc_u32_e32 v161, 0xffffff91, v161
	v_cndmask_b32_e64 v166, v166, 0x6f, vcc_lo
	s_delay_alu instid0(VALU_DEP_4) | instskip(NEXT) | instid1(VALU_DEP_3)
	v_cndmask_b32_e32 v165, v167, v165, vcc_lo
	v_cndmask_b32_e64 v161, v161, 0xffffff92, vcc_lo
	s_delay_alu instid0(VALU_DEP_3) | instskip(NEXT) | instid1(VALU_DEP_3)
	v_lshl_add_u32 v167, 0x200000, v166, -1
	v_lshrrev_b32_e32 v176, v166, v165
	v_lshlrev_b32_e64 v178, v166, 0x100000
	s_delay_alu instid0(VALU_DEP_4) | instskip(NEXT) | instid1(VALU_DEP_4)
	v_add_nc_u32_e32 v166, v166, v161
	v_and_b32_e32 v165, v167, v165
	s_delay_alu instid0(VALU_DEP_4) | instskip(NEXT) | instid1(VALU_DEP_2)
	v_bfe_u32 v177, v176, 21, 1
	v_cmp_eq_u32_e64 s14, v165, v178
	s_delay_alu instid0(VALU_DEP_2) | instskip(NEXT) | instid1(VALU_DEP_1)
	v_add_nc_u32_e32 v167, -1, v177
	v_cndmask_b32_e64 v165, 0, v167, s14
	v_lshrrev_b32_e32 v167, 23, v176
	s_mov_b32 s14, exec_lo
	s_delay_alu instid0(VALU_DEP_2) | instskip(NEXT) | instid1(VALU_DEP_2)
	v_add_nc_u32_e32 v165, v165, v176
	v_xor_b32_e32 v167, 1, v167
	s_delay_alu instid0(VALU_DEP_2) | instskip(NEXT) | instid1(VALU_DEP_1)
	v_and_b32_e32 v161, 0x1fffff, v165
	v_add_nc_u32_e32 v165, v161, v176
                                        ; implicit-def: $vgpr161
	s_delay_alu instid0(VALU_DEP_3)
	v_cmpx_ne_u32_e64 v166, v167
	s_xor_b32 s14, exec_lo, s14
; %bb.1637:                             ;   in Loop: Header=BB2_1345 Depth=4
	s_delay_alu instid0(VALU_DEP_2) | instskip(SKIP_2) | instid1(VALU_DEP_2)
	v_cmp_lt_u32_e32 vcc_lo, 0xffffff, v165
	v_sub_nc_u32_e32 v161, v166, v167
	v_cndmask_b32_e64 v166, 0, 1, vcc_lo
	v_add_co_ci_u32_e32 v161, vcc_lo, 0, v161, vcc_lo
	s_delay_alu instid0(VALU_DEP_2)
	v_lshrrev_b32_e32 v165, v166, v165
; %bb.1638:                             ;   in Loop: Header=BB2_1345 Depth=4
	s_and_not1_saveexec_b32 s14, s14
; %bb.1639:                             ;   in Loop: Header=BB2_1345 Depth=4
	s_delay_alu instid0(VALU_DEP_1)
	v_bfe_u32 v161, v165, 23, 1
; %bb.1640:                             ;   in Loop: Header=BB2_1345 Depth=4
	s_or_b32 exec_lo, exec_lo, s14
	v_lshrrev_b32_e32 v165, 21, v165
	s_delay_alu instid0(VALU_DEP_2) | instskip(SKIP_2) | instid1(VALU_DEP_2)
	v_cmp_gt_i32_e32 vcc_lo, 32, v161
	v_min_i32_e32 v166, 31, v161
	v_lshrrev_b32_e32 v164, 24, v164
	v_dual_cndmask_b32 v165, 3, v165 :: v_dual_lshlrev_b32 v166, 2, v166
	s_delay_alu instid0(VALU_DEP_2) | instskip(NEXT) | instid1(VALU_DEP_2)
	v_and_b32_e32 v164, 0x80, v164
	v_or_b32_e32 v161, v161, v165
	v_and_b32_e32 v167, 3, v165
	s_delay_alu instid0(VALU_DEP_2) | instskip(SKIP_1) | instid1(VALU_DEP_1)
	v_cmp_ne_u32_e32 vcc_lo, 0, v161
	v_and_b32_e32 v166, 0xfc, v166
	v_or3_b32 v164, v164, v166, v167
	s_delay_alu instid0(VALU_DEP_1) | instskip(NEXT) | instid1(VALU_DEP_1)
	v_lshlrev_b32_e32 v164, 8, v164
	v_cndmask_b32_e32 v161, 0, v164, vcc_lo
.LBB2_1641:                             ;   in Loop: Header=BB2_1345 Depth=4
	s_or_b32 exec_lo, exec_lo, s36
.LBB2_1642:                             ;   in Loop: Header=BB2_1345 Depth=4
	s_delay_alu instid0(SALU_CYCLE_1) | instskip(SKIP_3) | instid1(VALU_DEP_1)
	s_or_b32 exec_lo, exec_lo, s35
	v_or_b32_e32 v162, v162, v151
	s_mov_b32 s14, 0
	s_mov_b32 s36, exec_lo
                                        ; implicit-def: $sgpr35
	v_and_b32_e32 v164, 0xff, v162
	s_delay_alu instid0(VALU_DEP_1)
	v_cmpx_lt_i16_e64 0x7f, v164
	s_xor_b32 s36, exec_lo, s36
	s_cbranch_execnz .LBB2_1912
; %bb.1643:                             ;   in Loop: Header=BB2_1345 Depth=4
	s_or_saveexec_b32 s36, s36
	v_mov_b32_e32 v151, s35
	s_xor_b32 exec_lo, exec_lo, s36
	s_cbranch_execnz .LBB2_1915
.LBB2_1644:                             ;   in Loop: Header=BB2_1345 Depth=4
	s_or_b32 exec_lo, exec_lo, s36
	v_lshl_or_b32 v162, v162, 16, v163
	s_and_saveexec_b32 s35, s14
	s_cbranch_execz .LBB2_1646
.LBB2_1645:                             ;   in Loop: Header=BB2_1345 Depth=4
	s_delay_alu instid0(VALU_DEP_1) | instskip(SKIP_1) | instid1(VALU_DEP_2)
	v_bfe_u32 v151, v162, 16, 2
	v_lshrrev_b32_e32 v164, 16, v162
	v_clz_i32_u32_e32 v163, v151
	s_delay_alu instid0(VALU_DEP_1) | instskip(NEXT) | instid1(VALU_DEP_1)
	v_min_u32_e32 v163, 32, v163
	v_subrev_nc_u32_e32 v165, 29, v163
	v_sub_nc_u32_e32 v163, 30, v163
	s_delay_alu instid0(VALU_DEP_2) | instskip(SKIP_1) | instid1(VALU_DEP_1)
	v_lshlrev_b32_e32 v164, v165, v164
	v_bfe_u32 v165, v162, 18, 5
	v_cmp_eq_u32_e32 vcc_lo, 0, v165
	s_delay_alu instid0(VALU_DEP_3) | instskip(NEXT) | instid1(VALU_DEP_1)
	v_dual_cndmask_b32 v163, v165, v163 :: v_dual_and_b32 v164, 3, v164
	v_dual_cndmask_b32 v151, v151, v164 :: v_dual_lshlrev_b32 v166, 8, v162
	s_delay_alu instid0(VALU_DEP_2) | instskip(NEXT) | instid1(VALU_DEP_2)
	v_lshl_add_u32 v163, v163, 23, 0x37800000
	v_and_b32_e32 v164, 0x80000000, v166
	s_delay_alu instid0(VALU_DEP_3) | instskip(NEXT) | instid1(VALU_DEP_1)
	v_lshlrev_b32_e32 v151, 21, v151
	v_or3_b32 v151, v164, v163, v151
.LBB2_1646:                             ;   in Loop: Header=BB2_1345 Depth=4
	s_or_b32 exec_lo, exec_lo, s35
	v_lshrrev_b32_e32 v163, 16, v9
	s_mov_b32 s14, 0
	s_mov_b32 s36, exec_lo
                                        ; implicit-def: $sgpr35
	s_delay_alu instid0(VALU_DEP_1) | instskip(NEXT) | instid1(VALU_DEP_1)
	v_and_b32_e32 v165, 0xff, v163
	v_cmpx_lt_i16_e64 0x7f, v165
	s_xor_b32 s36, exec_lo, s36
	s_cbranch_execnz .LBB2_1916
; %bb.1647:                             ;   in Loop: Header=BB2_1345 Depth=4
	s_or_saveexec_b32 s36, s36
	v_mov_b32_e32 v164, s35
	s_xor_b32 exec_lo, exec_lo, s36
	s_cbranch_execnz .LBB2_1919
.LBB2_1648:                             ;   in Loop: Header=BB2_1345 Depth=4
	s_or_b32 exec_lo, exec_lo, s36
	s_and_saveexec_b32 s35, s14
	s_cbranch_execz .LBB2_1650
.LBB2_1649:                             ;   in Loop: Header=BB2_1345 Depth=4
	v_bfe_u32 v164, v9, 16, 2
	v_lshlrev_b32_e32 v167, 8, v9
	s_delay_alu instid0(VALU_DEP_2) | instskip(NEXT) | instid1(VALU_DEP_1)
	v_clz_i32_u32_e32 v165, v164
	v_min_u32_e32 v165, 32, v165
	s_delay_alu instid0(VALU_DEP_1) | instskip(SKIP_1) | instid1(VALU_DEP_2)
	v_subrev_nc_u32_e32 v166, 29, v165
	v_sub_nc_u32_e32 v165, 30, v165
	v_lshlrev_b32_e32 v163, v166, v163
	v_bfe_u32 v166, v9, 18, 5
	s_delay_alu instid0(VALU_DEP_2) | instskip(NEXT) | instid1(VALU_DEP_2)
	v_and_b32_e32 v163, 3, v163
	v_cmp_eq_u32_e32 vcc_lo, 0, v166
	v_cndmask_b32_e32 v165, v166, v165, vcc_lo
	s_delay_alu instid0(VALU_DEP_3) | instskip(SKIP_1) | instid1(VALU_DEP_3)
	v_cndmask_b32_e32 v163, v164, v163, vcc_lo
	v_and_b32_e32 v164, 0x80000000, v167
	v_lshl_add_u32 v165, v165, 23, 0x37800000
	s_delay_alu instid0(VALU_DEP_3) | instskip(NEXT) | instid1(VALU_DEP_1)
	v_lshlrev_b32_e32 v163, 21, v163
	v_or3_b32 v164, v164, v165, v163
.LBB2_1650:                             ;   in Loop: Header=BB2_1345 Depth=4
	s_or_b32 exec_lo, exec_lo, s35
	s_delay_alu instid0(VALU_DEP_1) | instskip(NEXT) | instid1(VALU_DEP_1)
	v_add_f32_e32 v163, v151, v164
	v_and_b32_e32 v151, 0x7f800000, v163
	s_delay_alu instid0(VALU_DEP_1)
	v_cmp_ne_u32_e32 vcc_lo, 0x7f800000, v151
	v_mov_b32_e32 v151, 0x80
	s_and_saveexec_b32 s35, vcc_lo
	s_cbranch_execz .LBB2_1658
; %bb.1651:                             ;   in Loop: Header=BB2_1345 Depth=4
	v_mov_b32_e32 v151, 0
	s_mov_b32 s36, exec_lo
	v_cmpx_ne_u32_e32 0, v163
	s_cbranch_execz .LBB2_1657
; %bb.1652:                             ;   in Loop: Header=BB2_1345 Depth=4
	v_bfe_u32 v151, v163, 23, 8
	s_delay_alu instid0(VALU_DEP_1) | instskip(SKIP_1) | instid1(VALU_DEP_2)
	v_sub_nc_u32_e32 v165, 0x70, v151
	v_cmp_gt_u32_e32 vcc_lo, 0x71, v151
	v_dual_cndmask_b32 v165, 0, v165 :: v_dual_and_b32 v164, 0x7fffff, v163
	s_delay_alu instid0(VALU_DEP_1) | instskip(SKIP_2) | instid1(VALU_DEP_4)
	v_or_b32_e32 v166, 0x800000, v164
	v_cmp_eq_u32_e32 vcc_lo, 0, v151
	v_add_nc_u32_e32 v151, 0xffffff91, v151
	v_cndmask_b32_e64 v165, v165, 0x6f, vcc_lo
	s_delay_alu instid0(VALU_DEP_4) | instskip(NEXT) | instid1(VALU_DEP_3)
	v_cndmask_b32_e32 v164, v166, v164, vcc_lo
	v_cndmask_b32_e64 v151, v151, 0xffffff92, vcc_lo
	s_delay_alu instid0(VALU_DEP_3) | instskip(NEXT) | instid1(VALU_DEP_3)
	v_lshl_add_u32 v166, 0x200000, v165, -1
	v_lshrrev_b32_e32 v167, v165, v164
	v_lshlrev_b32_e64 v177, v165, 0x100000
	s_delay_alu instid0(VALU_DEP_4) | instskip(NEXT) | instid1(VALU_DEP_4)
	v_add_nc_u32_e32 v165, v165, v151
	v_and_b32_e32 v164, v166, v164
	s_delay_alu instid0(VALU_DEP_4) | instskip(NEXT) | instid1(VALU_DEP_2)
	v_bfe_u32 v176, v167, 21, 1
	v_cmp_eq_u32_e64 s14, v164, v177
	s_delay_alu instid0(VALU_DEP_2) | instskip(NEXT) | instid1(VALU_DEP_1)
	v_add_nc_u32_e32 v166, -1, v176
	v_cndmask_b32_e64 v164, 0, v166, s14
	v_lshrrev_b32_e32 v166, 23, v167
	s_mov_b32 s14, exec_lo
	s_delay_alu instid0(VALU_DEP_2) | instskip(NEXT) | instid1(VALU_DEP_2)
	v_add_nc_u32_e32 v164, v164, v167
	v_xor_b32_e32 v166, 1, v166
	s_delay_alu instid0(VALU_DEP_2) | instskip(NEXT) | instid1(VALU_DEP_1)
	v_and_b32_e32 v151, 0x1fffff, v164
	v_add_nc_u32_e32 v164, v151, v167
                                        ; implicit-def: $vgpr151
	s_delay_alu instid0(VALU_DEP_3)
	v_cmpx_ne_u32_e64 v165, v166
	s_xor_b32 s14, exec_lo, s14
; %bb.1653:                             ;   in Loop: Header=BB2_1345 Depth=4
	s_delay_alu instid0(VALU_DEP_2) | instskip(SKIP_2) | instid1(VALU_DEP_2)
	v_cmp_lt_u32_e32 vcc_lo, 0xffffff, v164
	v_sub_nc_u32_e32 v151, v165, v166
	v_cndmask_b32_e64 v165, 0, 1, vcc_lo
	v_add_co_ci_u32_e32 v151, vcc_lo, 0, v151, vcc_lo
	s_delay_alu instid0(VALU_DEP_2)
	v_lshrrev_b32_e32 v164, v165, v164
; %bb.1654:                             ;   in Loop: Header=BB2_1345 Depth=4
	s_and_not1_saveexec_b32 s14, s14
; %bb.1655:                             ;   in Loop: Header=BB2_1345 Depth=4
	s_delay_alu instid0(VALU_DEP_1)
	v_bfe_u32 v151, v164, 23, 1
; %bb.1656:                             ;   in Loop: Header=BB2_1345 Depth=4
	s_or_b32 exec_lo, exec_lo, s14
	v_lshrrev_b32_e32 v164, 21, v164
	s_delay_alu instid0(VALU_DEP_2) | instskip(SKIP_2) | instid1(VALU_DEP_2)
	v_cmp_gt_i32_e32 vcc_lo, 32, v151
	v_min_i32_e32 v165, 31, v151
	v_lshrrev_b32_e32 v163, 24, v163
	v_dual_cndmask_b32 v164, 3, v164 :: v_dual_lshlrev_b32 v165, 2, v165
	s_delay_alu instid0(VALU_DEP_2) | instskip(NEXT) | instid1(VALU_DEP_2)
	v_and_b32_e32 v163, 0x80, v163
	v_or_b32_e32 v151, v151, v164
	s_delay_alu instid0(VALU_DEP_3) | instskip(NEXT) | instid1(VALU_DEP_2)
	v_and_b32_e32 v165, 0xfc, v165
	v_cmp_ne_u32_e32 vcc_lo, 0, v151
	v_and_b32_e32 v166, 3, v164
	s_delay_alu instid0(VALU_DEP_1) | instskip(NEXT) | instid1(VALU_DEP_1)
	v_or3_b32 v163, v165, v163, v166
	v_cndmask_b32_e32 v151, 0, v163, vcc_lo
.LBB2_1657:                             ;   in Loop: Header=BB2_1345 Depth=4
	s_or_b32 exec_lo, exec_lo, s36
.LBB2_1658:                             ;   in Loop: Header=BB2_1345 Depth=4
	s_delay_alu instid0(SALU_CYCLE_1) | instskip(SKIP_3) | instid1(VALU_DEP_1)
	s_or_b32 exec_lo, exec_lo, s35
	v_lshrrev_b32_e32 v164, 24, v162
	s_mov_b32 s14, 0
	s_mov_b32 s36, exec_lo
                                        ; implicit-def: $sgpr35
	v_cmpx_lt_i16_e64 0x7f, v164
	s_xor_b32 s36, exec_lo, s36
	s_cbranch_execnz .LBB2_1920
; %bb.1659:                             ;   in Loop: Header=BB2_1345 Depth=4
	s_or_saveexec_b32 s36, s36
	v_mov_b32_e32 v163, s35
	s_xor_b32 exec_lo, exec_lo, s36
	s_cbranch_execnz .LBB2_1923
.LBB2_1660:                             ;   in Loop: Header=BB2_1345 Depth=4
	s_or_b32 exec_lo, exec_lo, s36
	s_and_saveexec_b32 s35, s14
	s_cbranch_execz .LBB2_1662
.LBB2_1661:                             ;   in Loop: Header=BB2_1345 Depth=4
	v_bfe_u32 v163, v162, 24, 2
	s_delay_alu instid0(VALU_DEP_1) | instskip(NEXT) | instid1(VALU_DEP_1)
	v_clz_i32_u32_e32 v165, v163
	v_min_u32_e32 v165, 32, v165
	s_delay_alu instid0(VALU_DEP_1) | instskip(SKIP_1) | instid1(VALU_DEP_2)
	v_subrev_nc_u32_e32 v166, 29, v165
	v_sub_nc_u32_e32 v165, 30, v165
	v_lshlrev_b32_e32 v164, v166, v164
	v_bfe_u32 v166, v162, 26, 5
	v_and_b32_e32 v162, 0x80000000, v162
	s_delay_alu instid0(VALU_DEP_2) | instskip(NEXT) | instid1(VALU_DEP_4)
	v_cmp_eq_u32_e32 vcc_lo, 0, v166
	v_dual_cndmask_b32 v165, v166, v165 :: v_dual_and_b32 v164, 3, v164
	s_delay_alu instid0(VALU_DEP_1) | instskip(NEXT) | instid1(VALU_DEP_2)
	v_cndmask_b32_e32 v163, v163, v164, vcc_lo
	v_lshl_add_u32 v164, v165, 23, 0x37800000
	s_delay_alu instid0(VALU_DEP_2) | instskip(NEXT) | instid1(VALU_DEP_1)
	v_lshlrev_b32_e32 v163, 21, v163
	v_or3_b32 v163, v162, v164, v163
.LBB2_1662:                             ;   in Loop: Header=BB2_1345 Depth=4
	s_or_b32 exec_lo, exec_lo, s35
	v_lshrrev_b32_e32 v162, 24, v9
	s_mov_b32 s14, 0
	s_mov_b32 s36, exec_lo
                                        ; implicit-def: $sgpr35
	s_delay_alu instid0(VALU_DEP_1)
	v_cmpx_lt_i16_e64 0x7f, v162
	s_xor_b32 s36, exec_lo, s36
	s_cbranch_execnz .LBB2_1924
; %bb.1663:                             ;   in Loop: Header=BB2_1345 Depth=4
	s_or_saveexec_b32 s36, s36
	v_mov_b32_e32 v164, s35
	s_xor_b32 exec_lo, exec_lo, s36
	s_cbranch_execnz .LBB2_1927
.LBB2_1664:                             ;   in Loop: Header=BB2_1345 Depth=4
	s_or_b32 exec_lo, exec_lo, s36
	s_and_saveexec_b32 s35, s14
	s_cbranch_execz .LBB2_1666
.LBB2_1665:                             ;   in Loop: Header=BB2_1345 Depth=4
	v_bfe_u32 v164, v9, 24, 2
	s_delay_alu instid0(VALU_DEP_1) | instskip(NEXT) | instid1(VALU_DEP_1)
	v_clz_i32_u32_e32 v165, v164
	v_min_u32_e32 v165, 32, v165
	s_delay_alu instid0(VALU_DEP_1) | instskip(SKIP_1) | instid1(VALU_DEP_2)
	v_subrev_nc_u32_e32 v166, 29, v165
	v_sub_nc_u32_e32 v165, 30, v165
	v_lshlrev_b32_e32 v162, v166, v162
	v_bfe_u32 v166, v9, 26, 5
	v_and_b32_e32 v9, 0x80000000, v9
	s_delay_alu instid0(VALU_DEP_2) | instskip(NEXT) | instid1(VALU_DEP_4)
	v_cmp_eq_u32_e32 vcc_lo, 0, v166
	v_dual_cndmask_b32 v165, v166, v165 :: v_dual_and_b32 v162, 3, v162
	s_delay_alu instid0(VALU_DEP_1) | instskip(NEXT) | instid1(VALU_DEP_2)
	v_cndmask_b32_e32 v162, v164, v162, vcc_lo
	v_lshl_add_u32 v164, v165, 23, 0x37800000
	s_delay_alu instid0(VALU_DEP_2) | instskip(NEXT) | instid1(VALU_DEP_1)
	v_lshlrev_b32_e32 v162, 21, v162
	v_or3_b32 v164, v9, v164, v162
.LBB2_1666:                             ;   in Loop: Header=BB2_1345 Depth=4
	s_or_b32 exec_lo, exec_lo, s35
	s_delay_alu instid0(VALU_DEP_1) | instskip(NEXT) | instid1(VALU_DEP_1)
	v_add_f32_e32 v162, v163, v164
	v_and_b32_e32 v9, 0x7f800000, v162
	s_delay_alu instid0(VALU_DEP_1)
	v_cmp_ne_u32_e32 vcc_lo, 0x7f800000, v9
	v_mov_b32_e32 v9, 0x8000
	s_and_saveexec_b32 s35, vcc_lo
	s_cbranch_execz .LBB2_1674
; %bb.1667:                             ;   in Loop: Header=BB2_1345 Depth=4
	v_mov_b32_e32 v9, 0
	s_mov_b32 s36, exec_lo
	v_cmpx_ne_u32_e32 0, v162
	s_cbranch_execz .LBB2_1673
; %bb.1668:                             ;   in Loop: Header=BB2_1345 Depth=4
	v_bfe_u32 v9, v162, 23, 8
	s_delay_alu instid0(VALU_DEP_1) | instskip(SKIP_1) | instid1(VALU_DEP_2)
	v_sub_nc_u32_e32 v164, 0x70, v9
	v_cmp_gt_u32_e32 vcc_lo, 0x71, v9
	v_dual_cndmask_b32 v164, 0, v164 :: v_dual_and_b32 v163, 0x7fffff, v162
	s_delay_alu instid0(VALU_DEP_1) | instskip(SKIP_2) | instid1(VALU_DEP_4)
	v_or_b32_e32 v165, 0x800000, v163
	v_cmp_eq_u32_e32 vcc_lo, 0, v9
	v_add_nc_u32_e32 v9, 0xffffff91, v9
	v_cndmask_b32_e64 v164, v164, 0x6f, vcc_lo
	s_delay_alu instid0(VALU_DEP_2) | instskip(SKIP_1) | instid1(VALU_DEP_3)
	v_cndmask_b32_e64 v9, v9, 0xffffff92, vcc_lo
	v_cndmask_b32_e32 v163, v165, v163, vcc_lo
	v_lshl_add_u32 v165, 0x200000, v164, -1
	v_lshlrev_b32_e64 v176, v164, 0x100000
	s_delay_alu instid0(VALU_DEP_3) | instskip(SKIP_1) | instid1(VALU_DEP_4)
	v_lshrrev_b32_e32 v166, v164, v163
	v_add_nc_u32_e32 v164, v164, v9
	v_and_b32_e32 v163, v165, v163
	s_delay_alu instid0(VALU_DEP_3) | instskip(NEXT) | instid1(VALU_DEP_2)
	v_bfe_u32 v167, v166, 21, 1
	v_cmp_eq_u32_e64 s14, v163, v176
	s_delay_alu instid0(VALU_DEP_2) | instskip(NEXT) | instid1(VALU_DEP_1)
	v_add_nc_u32_e32 v165, -1, v167
	v_cndmask_b32_e64 v163, 0, v165, s14
	v_lshrrev_b32_e32 v165, 23, v166
	s_mov_b32 s14, exec_lo
	s_delay_alu instid0(VALU_DEP_2) | instskip(NEXT) | instid1(VALU_DEP_2)
	v_add_nc_u32_e32 v163, v163, v166
	v_xor_b32_e32 v165, 1, v165
	s_delay_alu instid0(VALU_DEP_2) | instskip(NEXT) | instid1(VALU_DEP_1)
	v_and_b32_e32 v9, 0x1fffff, v163
	v_add_nc_u32_e32 v163, v9, v166
                                        ; implicit-def: $vgpr9
	s_delay_alu instid0(VALU_DEP_3)
	v_cmpx_ne_u32_e64 v164, v165
	s_xor_b32 s14, exec_lo, s14
; %bb.1669:                             ;   in Loop: Header=BB2_1345 Depth=4
	s_delay_alu instid0(VALU_DEP_2) | instskip(SKIP_2) | instid1(VALU_DEP_2)
	v_cmp_lt_u32_e32 vcc_lo, 0xffffff, v163
	v_sub_nc_u32_e32 v9, v164, v165
	v_cndmask_b32_e64 v164, 0, 1, vcc_lo
	v_add_co_ci_u32_e32 v9, vcc_lo, 0, v9, vcc_lo
	s_delay_alu instid0(VALU_DEP_2)
	v_lshrrev_b32_e32 v163, v164, v163
; %bb.1670:                             ;   in Loop: Header=BB2_1345 Depth=4
	s_and_not1_saveexec_b32 s14, s14
; %bb.1671:                             ;   in Loop: Header=BB2_1345 Depth=4
	s_delay_alu instid0(VALU_DEP_1)
	v_bfe_u32 v9, v163, 23, 1
; %bb.1672:                             ;   in Loop: Header=BB2_1345 Depth=4
	s_or_b32 exec_lo, exec_lo, s14
	v_lshrrev_b32_e32 v163, 21, v163
	s_delay_alu instid0(VALU_DEP_2) | instskip(SKIP_2) | instid1(VALU_DEP_2)
	v_cmp_gt_i32_e32 vcc_lo, 32, v9
	v_min_i32_e32 v164, 31, v9
	v_lshrrev_b32_e32 v162, 24, v162
	v_dual_cndmask_b32 v163, 3, v163 :: v_dual_lshlrev_b32 v164, 2, v164
	s_delay_alu instid0(VALU_DEP_2) | instskip(NEXT) | instid1(VALU_DEP_2)
	v_and_b32_e32 v162, 0x80, v162
	v_or_b32_e32 v9, v9, v163
	v_and_b32_e32 v165, 3, v163
	s_delay_alu instid0(VALU_DEP_2) | instskip(SKIP_1) | instid1(VALU_DEP_1)
	v_cmp_ne_u32_e32 vcc_lo, 0, v9
	v_and_b32_e32 v164, 0xfc, v164
	v_or3_b32 v162, v162, v164, v165
	s_delay_alu instid0(VALU_DEP_1) | instskip(NEXT) | instid1(VALU_DEP_1)
	v_lshlrev_b32_e32 v162, 8, v162
	v_cndmask_b32_e32 v9, 0, v162, vcc_lo
.LBB2_1673:                             ;   in Loop: Header=BB2_1345 Depth=4
	s_or_b32 exec_lo, exec_lo, s36
.LBB2_1674:                             ;   in Loop: Header=BB2_1345 Depth=4
	s_delay_alu instid0(SALU_CYCLE_1) | instskip(SKIP_3) | instid1(VALU_DEP_1)
	s_or_b32 exec_lo, exec_lo, s35
	v_and_b32_e32 v163, 0xff, v149
	s_mov_b32 s14, 0
	s_mov_b32 s36, exec_lo
                                        ; implicit-def: $sgpr35
	v_cmpx_lt_i16_e64 0x7f, v163
	s_xor_b32 s36, exec_lo, s36
	s_cbranch_execnz .LBB2_1928
; %bb.1675:                             ;   in Loop: Header=BB2_1345 Depth=4
	s_or_saveexec_b32 s36, s36
	v_mov_b32_e32 v162, s35
	s_xor_b32 exec_lo, exec_lo, s36
	s_cbranch_execnz .LBB2_1931
.LBB2_1676:                             ;   in Loop: Header=BB2_1345 Depth=4
	s_or_b32 exec_lo, exec_lo, s36
	s_and_saveexec_b32 s35, s14
	s_cbranch_execz .LBB2_1678
.LBB2_1677:                             ;   in Loop: Header=BB2_1345 Depth=4
	v_bfe_u32 v165, v149, 2, 5
	s_delay_alu instid0(VALU_DEP_1) | instskip(SKIP_1) | instid1(VALU_DEP_1)
	v_cmp_eq_u32_e32 vcc_lo, 0, v165
	v_and_b32_e32 v162, 3, v149
	v_clz_i32_u32_e32 v163, v162
	s_delay_alu instid0(VALU_DEP_1) | instskip(NEXT) | instid1(VALU_DEP_1)
	v_min_u32_e32 v163, 32, v163
	v_subrev_nc_u32_e32 v164, 29, v163
	v_sub_nc_u32_e32 v163, 30, v163
	s_delay_alu instid0(VALU_DEP_1) | instskip(NEXT) | instid1(VALU_DEP_1)
	v_dual_cndmask_b32 v163, v165, v163 :: v_dual_lshlrev_b32 v164, v164, v149
	v_and_b32_e32 v164, 3, v164
	v_lshlrev_b32_e32 v149, 24, v149
	s_delay_alu instid0(VALU_DEP_3) | instskip(NEXT) | instid1(VALU_DEP_2)
	v_lshl_add_u32 v163, v163, 23, 0x37800000
	v_dual_cndmask_b32 v162, v162, v164 :: v_dual_and_b32 v149, 0x80000000, v149
	s_delay_alu instid0(VALU_DEP_1) | instskip(NEXT) | instid1(VALU_DEP_1)
	v_lshlrev_b32_e32 v162, 21, v162
	v_or3_b32 v162, v149, v163, v162
.LBB2_1678:                             ;   in Loop: Header=BB2_1345 Depth=4
	s_or_b32 exec_lo, exec_lo, s35
	v_and_b32_e32 v163, 0xff, v10
	s_mov_b32 s14, 0
	s_mov_b32 s36, exec_lo
                                        ; implicit-def: $sgpr35
	s_delay_alu instid0(VALU_DEP_1)
	v_cmpx_lt_i16_e64 0x7f, v163
	s_xor_b32 s36, exec_lo, s36
	s_cbranch_execnz .LBB2_1932
; %bb.1679:                             ;   in Loop: Header=BB2_1345 Depth=4
	s_or_saveexec_b32 s36, s36
	v_mov_b32_e32 v149, s35
	s_xor_b32 exec_lo, exec_lo, s36
	s_cbranch_execnz .LBB2_1935
.LBB2_1680:                             ;   in Loop: Header=BB2_1345 Depth=4
	s_or_b32 exec_lo, exec_lo, s36
	s_and_saveexec_b32 s35, s14
	s_cbranch_execz .LBB2_1682
.LBB2_1681:                             ;   in Loop: Header=BB2_1345 Depth=4
	v_and_b32_e32 v149, 3, v10
	v_bfe_u32 v165, v10, 2, 5
	s_delay_alu instid0(VALU_DEP_2) | instskip(NEXT) | instid1(VALU_DEP_2)
	v_clz_i32_u32_e32 v163, v149
	v_cmp_eq_u32_e32 vcc_lo, 0, v165
	s_delay_alu instid0(VALU_DEP_2) | instskip(NEXT) | instid1(VALU_DEP_1)
	v_min_u32_e32 v163, 32, v163
	v_subrev_nc_u32_e32 v164, 29, v163
	v_sub_nc_u32_e32 v163, 30, v163
	s_delay_alu instid0(VALU_DEP_1) | instskip(NEXT) | instid1(VALU_DEP_1)
	v_dual_cndmask_b32 v163, v165, v163 :: v_dual_lshlrev_b32 v164, v164, v10
	v_and_b32_e32 v164, 3, v164
	v_lshlrev_b32_e32 v166, 24, v10
	s_delay_alu instid0(VALU_DEP_3) | instskip(NEXT) | instid1(VALU_DEP_2)
	v_lshl_add_u32 v163, v163, 23, 0x37800000
	v_dual_cndmask_b32 v149, v149, v164 :: v_dual_and_b32 v164, 0x80000000, v166
	s_delay_alu instid0(VALU_DEP_1) | instskip(NEXT) | instid1(VALU_DEP_1)
	v_lshlrev_b32_e32 v149, 21, v149
	v_or3_b32 v149, v164, v163, v149
.LBB2_1682:                             ;   in Loop: Header=BB2_1345 Depth=4
	s_or_b32 exec_lo, exec_lo, s35
	s_delay_alu instid0(VALU_DEP_1) | instskip(NEXT) | instid1(VALU_DEP_1)
	v_add_f32_e32 v162, v162, v149
	v_and_b32_e32 v149, 0x7f800000, v162
	s_delay_alu instid0(VALU_DEP_1)
	v_cmp_ne_u32_e32 vcc_lo, 0x7f800000, v149
	v_mov_b32_e32 v149, 0x80
	s_and_saveexec_b32 s35, vcc_lo
	s_cbranch_execz .LBB2_1690
; %bb.1683:                             ;   in Loop: Header=BB2_1345 Depth=4
	v_mov_b32_e32 v149, 0
	s_mov_b32 s36, exec_lo
	v_cmpx_ne_u32_e32 0, v162
	s_cbranch_execz .LBB2_1689
; %bb.1684:                             ;   in Loop: Header=BB2_1345 Depth=4
	v_bfe_u32 v149, v162, 23, 8
	s_delay_alu instid0(VALU_DEP_1) | instskip(SKIP_1) | instid1(VALU_DEP_2)
	v_sub_nc_u32_e32 v164, 0x70, v149
	v_cmp_gt_u32_e32 vcc_lo, 0x71, v149
	v_dual_cndmask_b32 v164, 0, v164 :: v_dual_and_b32 v163, 0x7fffff, v162
	s_delay_alu instid0(VALU_DEP_1) | instskip(SKIP_2) | instid1(VALU_DEP_4)
	v_or_b32_e32 v165, 0x800000, v163
	v_cmp_eq_u32_e32 vcc_lo, 0, v149
	v_add_nc_u32_e32 v149, 0xffffff91, v149
	v_cndmask_b32_e64 v164, v164, 0x6f, vcc_lo
	s_delay_alu instid0(VALU_DEP_2) | instskip(SKIP_1) | instid1(VALU_DEP_3)
	v_cndmask_b32_e64 v149, v149, 0xffffff92, vcc_lo
	v_cndmask_b32_e32 v163, v165, v163, vcc_lo
	v_lshl_add_u32 v165, 0x200000, v164, -1
	v_lshlrev_b32_e64 v176, v164, 0x100000
	s_delay_alu instid0(VALU_DEP_3) | instskip(SKIP_1) | instid1(VALU_DEP_4)
	v_lshrrev_b32_e32 v166, v164, v163
	v_add_nc_u32_e32 v164, v164, v149
	v_and_b32_e32 v163, v165, v163
	s_delay_alu instid0(VALU_DEP_3) | instskip(NEXT) | instid1(VALU_DEP_2)
	v_bfe_u32 v167, v166, 21, 1
	v_cmp_eq_u32_e64 s14, v163, v176
	s_delay_alu instid0(VALU_DEP_2) | instskip(NEXT) | instid1(VALU_DEP_1)
	v_add_nc_u32_e32 v165, -1, v167
	v_cndmask_b32_e64 v163, 0, v165, s14
	v_lshrrev_b32_e32 v165, 23, v166
	s_mov_b32 s14, exec_lo
	s_delay_alu instid0(VALU_DEP_2) | instskip(NEXT) | instid1(VALU_DEP_2)
	v_add_nc_u32_e32 v163, v163, v166
	v_xor_b32_e32 v165, 1, v165
	s_delay_alu instid0(VALU_DEP_2) | instskip(NEXT) | instid1(VALU_DEP_1)
	v_and_b32_e32 v149, 0x1fffff, v163
	v_add_nc_u32_e32 v163, v149, v166
                                        ; implicit-def: $vgpr149
	s_delay_alu instid0(VALU_DEP_3)
	v_cmpx_ne_u32_e64 v164, v165
	s_xor_b32 s14, exec_lo, s14
; %bb.1685:                             ;   in Loop: Header=BB2_1345 Depth=4
	s_delay_alu instid0(VALU_DEP_2) | instskip(SKIP_2) | instid1(VALU_DEP_2)
	v_cmp_lt_u32_e32 vcc_lo, 0xffffff, v163
	v_sub_nc_u32_e32 v149, v164, v165
	v_cndmask_b32_e64 v164, 0, 1, vcc_lo
	v_add_co_ci_u32_e32 v149, vcc_lo, 0, v149, vcc_lo
	s_delay_alu instid0(VALU_DEP_2)
	v_lshrrev_b32_e32 v163, v164, v163
; %bb.1686:                             ;   in Loop: Header=BB2_1345 Depth=4
	s_and_not1_saveexec_b32 s14, s14
; %bb.1687:                             ;   in Loop: Header=BB2_1345 Depth=4
	s_delay_alu instid0(VALU_DEP_1)
	v_bfe_u32 v149, v163, 23, 1
; %bb.1688:                             ;   in Loop: Header=BB2_1345 Depth=4
	s_or_b32 exec_lo, exec_lo, s14
	v_lshrrev_b32_e32 v163, 21, v163
	s_delay_alu instid0(VALU_DEP_2) | instskip(SKIP_2) | instid1(VALU_DEP_2)
	v_cmp_gt_i32_e32 vcc_lo, 32, v149
	v_lshrrev_b32_e32 v162, 24, v162
	v_min_i32_e32 v164, 31, v149
	v_dual_cndmask_b32 v163, 3, v163 :: v_dual_and_b32 v162, 0x80, v162
	s_delay_alu instid0(VALU_DEP_1) | instskip(SKIP_1) | instid1(VALU_DEP_2)
	v_or_b32_e32 v149, v149, v163
	v_and_b32_e32 v165, 3, v163
	v_cmp_ne_u32_e32 vcc_lo, 0, v149
	v_lshlrev_b32_e32 v164, 2, v164
	s_delay_alu instid0(VALU_DEP_1) | instskip(NEXT) | instid1(VALU_DEP_1)
	v_or3_b32 v162, v164, v162, v165
	v_cndmask_b32_e32 v149, 0, v162, vcc_lo
.LBB2_1689:                             ;   in Loop: Header=BB2_1345 Depth=4
	s_or_b32 exec_lo, exec_lo, s36
.LBB2_1690:                             ;   in Loop: Header=BB2_1345 Depth=4
	s_delay_alu instid0(SALU_CYCLE_1) | instskip(SKIP_3) | instid1(VALU_DEP_1)
	s_or_b32 exec_lo, exec_lo, s35
	v_and_b32_e32 v163, 0xff, v147
	s_mov_b32 s14, 0
	s_mov_b32 s36, exec_lo
                                        ; implicit-def: $sgpr35
	v_cmpx_lt_i16_e64 0x7f, v163
	s_xor_b32 s36, exec_lo, s36
	s_cbranch_execnz .LBB2_1936
; %bb.1691:                             ;   in Loop: Header=BB2_1345 Depth=4
	s_or_saveexec_b32 s36, s36
	v_mov_b32_e32 v162, s35
	s_xor_b32 exec_lo, exec_lo, s36
	s_cbranch_execnz .LBB2_1939
.LBB2_1692:                             ;   in Loop: Header=BB2_1345 Depth=4
	s_or_b32 exec_lo, exec_lo, s36
	s_and_saveexec_b32 s35, s14
	s_cbranch_execz .LBB2_1694
.LBB2_1693:                             ;   in Loop: Header=BB2_1345 Depth=4
	v_and_b32_e32 v162, 3, v147
	v_bfe_u32 v165, v147, 2, 5
	s_delay_alu instid0(VALU_DEP_2) | instskip(NEXT) | instid1(VALU_DEP_2)
	v_clz_i32_u32_e32 v163, v162
	v_cmp_eq_u32_e32 vcc_lo, 0, v165
	s_delay_alu instid0(VALU_DEP_2) | instskip(NEXT) | instid1(VALU_DEP_1)
	v_min_u32_e32 v163, 32, v163
	v_subrev_nc_u32_e32 v164, 29, v163
	v_sub_nc_u32_e32 v163, 30, v163
	s_delay_alu instid0(VALU_DEP_2) | instskip(NEXT) | instid1(VALU_DEP_1)
	v_lshlrev_b32_e32 v164, v164, v147
	v_dual_cndmask_b32 v163, v165, v163 :: v_dual_and_b32 v164, 3, v164
	v_lshlrev_b32_e32 v147, 24, v147
	s_delay_alu instid0(VALU_DEP_2) | instskip(NEXT) | instid1(VALU_DEP_2)
	v_lshl_add_u32 v163, v163, 23, 0x37800000
	v_dual_cndmask_b32 v162, v162, v164 :: v_dual_and_b32 v147, 0x80000000, v147
	s_delay_alu instid0(VALU_DEP_1) | instskip(NEXT) | instid1(VALU_DEP_1)
	v_lshlrev_b32_e32 v162, 21, v162
	v_or3_b32 v162, v147, v163, v162
.LBB2_1694:                             ;   in Loop: Header=BB2_1345 Depth=4
	s_or_b32 exec_lo, exec_lo, s35
	v_lshrrev_b16 v147, 8, v10
	s_mov_b32 s14, 0
	s_mov_b32 s36, exec_lo
                                        ; implicit-def: $sgpr35
	s_delay_alu instid0(VALU_DEP_1)
	v_cmpx_lt_i16_e64 0x7f, v147
	s_xor_b32 s36, exec_lo, s36
	s_cbranch_execnz .LBB2_1940
; %bb.1695:                             ;   in Loop: Header=BB2_1345 Depth=4
	s_or_saveexec_b32 s36, s36
	v_mov_b32_e32 v163, s35
	s_xor_b32 exec_lo, exec_lo, s36
	s_cbranch_execnz .LBB2_1943
.LBB2_1696:                             ;   in Loop: Header=BB2_1345 Depth=4
	s_or_b32 exec_lo, exec_lo, s36
	s_and_saveexec_b32 s35, s14
	s_cbranch_execz .LBB2_1698
.LBB2_1697:                             ;   in Loop: Header=BB2_1345 Depth=4
	v_and_b32_e32 v163, 0xffff, v147
	v_lshlrev_b32_e32 v147, 24, v147
	s_delay_alu instid0(VALU_DEP_2) | instskip(NEXT) | instid1(VALU_DEP_2)
	v_and_b32_e32 v164, 3, v163
	v_and_b32_e32 v147, 0x80000000, v147
	s_delay_alu instid0(VALU_DEP_2) | instskip(NEXT) | instid1(VALU_DEP_1)
	v_clz_i32_u32_e32 v165, v164
	v_min_u32_e32 v165, 32, v165
	s_delay_alu instid0(VALU_DEP_1) | instskip(SKIP_1) | instid1(VALU_DEP_2)
	v_subrev_nc_u32_e32 v166, 29, v165
	v_sub_nc_u32_e32 v165, 30, v165
	v_lshlrev_b32_e32 v166, v166, v163
	v_bfe_u32 v163, v163, 2, 5
	s_delay_alu instid0(VALU_DEP_2) | instskip(NEXT) | instid1(VALU_DEP_2)
	v_and_b32_e32 v166, 3, v166
	v_cmp_eq_u32_e32 vcc_lo, 0, v163
	s_delay_alu instid0(VALU_DEP_2) | instskip(NEXT) | instid1(VALU_DEP_1)
	v_dual_cndmask_b32 v163, v163, v165 :: v_dual_cndmask_b32 v164, v164, v166
	v_lshl_add_u32 v163, v163, 23, 0x37800000
	s_delay_alu instid0(VALU_DEP_2) | instskip(NEXT) | instid1(VALU_DEP_1)
	v_lshlrev_b32_e32 v164, 21, v164
	v_or3_b32 v163, v147, v163, v164
.LBB2_1698:                             ;   in Loop: Header=BB2_1345 Depth=4
	s_or_b32 exec_lo, exec_lo, s35
	s_delay_alu instid0(VALU_DEP_1) | instskip(NEXT) | instid1(VALU_DEP_1)
	v_add_f32_e32 v162, v162, v163
	v_and_b32_e32 v147, 0x7f800000, v162
	s_delay_alu instid0(VALU_DEP_1)
	v_cmp_ne_u32_e32 vcc_lo, 0x7f800000, v147
	v_mov_b32_e32 v147, 0x80
	s_and_saveexec_b32 s35, vcc_lo
	s_cbranch_execz .LBB2_1706
; %bb.1699:                             ;   in Loop: Header=BB2_1345 Depth=4
	v_mov_b32_e32 v147, 0
	s_mov_b32 s36, exec_lo
	v_cmpx_ne_u32_e32 0, v162
	s_cbranch_execz .LBB2_1705
; %bb.1700:                             ;   in Loop: Header=BB2_1345 Depth=4
	v_bfe_u32 v147, v162, 23, 8
	s_delay_alu instid0(VALU_DEP_1) | instskip(SKIP_1) | instid1(VALU_DEP_2)
	v_sub_nc_u32_e32 v164, 0x70, v147
	v_cmp_gt_u32_e32 vcc_lo, 0x71, v147
	v_dual_cndmask_b32 v164, 0, v164 :: v_dual_and_b32 v163, 0x7fffff, v162
	s_delay_alu instid0(VALU_DEP_1) | instskip(SKIP_2) | instid1(VALU_DEP_4)
	v_or_b32_e32 v165, 0x800000, v163
	v_cmp_eq_u32_e32 vcc_lo, 0, v147
	v_add_nc_u32_e32 v147, 0xffffff91, v147
	v_cndmask_b32_e64 v164, v164, 0x6f, vcc_lo
	s_delay_alu instid0(VALU_DEP_4) | instskip(NEXT) | instid1(VALU_DEP_3)
	v_cndmask_b32_e32 v163, v165, v163, vcc_lo
	v_cndmask_b32_e64 v147, v147, 0xffffff92, vcc_lo
	s_delay_alu instid0(VALU_DEP_3) | instskip(NEXT) | instid1(VALU_DEP_3)
	v_lshl_add_u32 v165, 0x200000, v164, -1
	v_lshrrev_b32_e32 v166, v164, v163
	v_lshlrev_b32_e64 v176, v164, 0x100000
	s_delay_alu instid0(VALU_DEP_4) | instskip(NEXT) | instid1(VALU_DEP_4)
	v_add_nc_u32_e32 v164, v164, v147
	v_and_b32_e32 v163, v165, v163
	s_delay_alu instid0(VALU_DEP_4) | instskip(NEXT) | instid1(VALU_DEP_2)
	v_bfe_u32 v167, v166, 21, 1
	v_cmp_eq_u32_e64 s14, v163, v176
	s_delay_alu instid0(VALU_DEP_2) | instskip(NEXT) | instid1(VALU_DEP_1)
	v_add_nc_u32_e32 v165, -1, v167
	v_cndmask_b32_e64 v163, 0, v165, s14
	v_lshrrev_b32_e32 v165, 23, v166
	s_mov_b32 s14, exec_lo
	s_delay_alu instid0(VALU_DEP_2) | instskip(NEXT) | instid1(VALU_DEP_2)
	v_add_nc_u32_e32 v163, v163, v166
	v_xor_b32_e32 v165, 1, v165
	s_delay_alu instid0(VALU_DEP_2) | instskip(NEXT) | instid1(VALU_DEP_1)
	v_and_b32_e32 v147, 0x1fffff, v163
	v_add_nc_u32_e32 v163, v147, v166
                                        ; implicit-def: $vgpr147
	s_delay_alu instid0(VALU_DEP_3)
	v_cmpx_ne_u32_e64 v164, v165
	s_xor_b32 s14, exec_lo, s14
; %bb.1701:                             ;   in Loop: Header=BB2_1345 Depth=4
	s_delay_alu instid0(VALU_DEP_2) | instskip(SKIP_2) | instid1(VALU_DEP_2)
	v_cmp_lt_u32_e32 vcc_lo, 0xffffff, v163
	v_sub_nc_u32_e32 v147, v164, v165
	v_cndmask_b32_e64 v164, 0, 1, vcc_lo
	v_add_co_ci_u32_e32 v147, vcc_lo, 0, v147, vcc_lo
	s_delay_alu instid0(VALU_DEP_2)
	v_lshrrev_b32_e32 v163, v164, v163
; %bb.1702:                             ;   in Loop: Header=BB2_1345 Depth=4
	s_and_not1_saveexec_b32 s14, s14
; %bb.1703:                             ;   in Loop: Header=BB2_1345 Depth=4
	s_delay_alu instid0(VALU_DEP_1)
	v_bfe_u32 v147, v163, 23, 1
; %bb.1704:                             ;   in Loop: Header=BB2_1345 Depth=4
	s_or_b32 exec_lo, exec_lo, s14
	v_lshrrev_b32_e32 v163, 21, v163
	s_delay_alu instid0(VALU_DEP_2) | instskip(SKIP_2) | instid1(VALU_DEP_2)
	v_cmp_gt_i32_e32 vcc_lo, 32, v147
	v_lshrrev_b32_e32 v162, 24, v162
	v_min_i32_e32 v164, 31, v147
	v_dual_cndmask_b32 v163, 3, v163 :: v_dual_and_b32 v162, 0x80, v162
	s_delay_alu instid0(VALU_DEP_1) | instskip(SKIP_1) | instid1(VALU_DEP_2)
	v_or_b32_e32 v147, v147, v163
	v_and_b32_e32 v165, 3, v163
	v_cmp_ne_u32_e32 vcc_lo, 0, v147
	v_lshlrev_b32_e32 v164, 2, v164
	s_delay_alu instid0(VALU_DEP_1) | instskip(NEXT) | instid1(VALU_DEP_1)
	v_or3_b32 v162, v164, v162, v165
	v_cndmask_b32_e32 v147, 0, v162, vcc_lo
.LBB2_1705:                             ;   in Loop: Header=BB2_1345 Depth=4
	s_or_b32 exec_lo, exec_lo, s36
.LBB2_1706:                             ;   in Loop: Header=BB2_1345 Depth=4
	s_delay_alu instid0(SALU_CYCLE_1) | instskip(SKIP_3) | instid1(VALU_DEP_1)
	s_or_b32 exec_lo, exec_lo, s35
	v_and_b32_e32 v163, 0xff, v146
	s_mov_b32 s14, 0
	s_mov_b32 s36, exec_lo
                                        ; implicit-def: $sgpr35
	v_cmpx_lt_i16_e64 0x7f, v163
	s_xor_b32 s36, exec_lo, s36
	s_cbranch_execnz .LBB2_1944
; %bb.1707:                             ;   in Loop: Header=BB2_1345 Depth=4
	s_or_saveexec_b32 s36, s36
	v_mov_b32_e32 v162, s35
	s_xor_b32 exec_lo, exec_lo, s36
	s_cbranch_execnz .LBB2_1947
.LBB2_1708:                             ;   in Loop: Header=BB2_1345 Depth=4
	s_or_b32 exec_lo, exec_lo, s36
	s_and_saveexec_b32 s35, s14
	s_cbranch_execz .LBB2_1710
.LBB2_1709:                             ;   in Loop: Header=BB2_1345 Depth=4
	v_bfe_u32 v165, v146, 2, 5
	s_delay_alu instid0(VALU_DEP_1) | instskip(SKIP_1) | instid1(VALU_DEP_1)
	v_cmp_eq_u32_e32 vcc_lo, 0, v165
	v_and_b32_e32 v162, 3, v146
	v_clz_i32_u32_e32 v163, v162
	s_delay_alu instid0(VALU_DEP_1) | instskip(NEXT) | instid1(VALU_DEP_1)
	v_min_u32_e32 v163, 32, v163
	v_subrev_nc_u32_e32 v164, 29, v163
	v_sub_nc_u32_e32 v163, 30, v163
	s_delay_alu instid0(VALU_DEP_1) | instskip(SKIP_1) | instid1(VALU_DEP_2)
	v_dual_cndmask_b32 v163, v165, v163 :: v_dual_lshlrev_b32 v164, v164, v146
	v_lshlrev_b32_e32 v146, 24, v146
	v_and_b32_e32 v164, 3, v164
	s_delay_alu instid0(VALU_DEP_3) | instskip(NEXT) | instid1(VALU_DEP_3)
	v_lshl_add_u32 v163, v163, 23, 0x37800000
	v_and_b32_e32 v146, 0x80000000, v146
	s_delay_alu instid0(VALU_DEP_3) | instskip(NEXT) | instid1(VALU_DEP_1)
	v_cndmask_b32_e32 v162, v162, v164, vcc_lo
	v_lshlrev_b32_e32 v162, 21, v162
	s_delay_alu instid0(VALU_DEP_1)
	v_or3_b32 v162, v146, v163, v162
.LBB2_1710:                             ;   in Loop: Header=BB2_1345 Depth=4
	s_or_b32 exec_lo, exec_lo, s35
	v_lshrrev_b32_e32 v146, 16, v10
	s_mov_b32 s14, 0
	s_mov_b32 s36, exec_lo
                                        ; implicit-def: $sgpr35
	s_delay_alu instid0(VALU_DEP_1) | instskip(NEXT) | instid1(VALU_DEP_1)
	v_and_b32_e32 v164, 0xff, v146
	v_cmpx_lt_i16_e64 0x7f, v164
	s_xor_b32 s36, exec_lo, s36
	s_cbranch_execnz .LBB2_1948
; %bb.1711:                             ;   in Loop: Header=BB2_1345 Depth=4
	s_or_saveexec_b32 s36, s36
	v_mov_b32_e32 v163, s35
	s_xor_b32 exec_lo, exec_lo, s36
	s_cbranch_execnz .LBB2_1951
.LBB2_1712:                             ;   in Loop: Header=BB2_1345 Depth=4
	s_or_b32 exec_lo, exec_lo, s36
	s_and_saveexec_b32 s35, s14
	s_cbranch_execz .LBB2_1714
.LBB2_1713:                             ;   in Loop: Header=BB2_1345 Depth=4
	v_bfe_u32 v163, v10, 16, 2
	v_lshlrev_b32_e32 v166, 8, v10
	s_delay_alu instid0(VALU_DEP_2) | instskip(NEXT) | instid1(VALU_DEP_1)
	v_clz_i32_u32_e32 v164, v163
	v_min_u32_e32 v164, 32, v164
	s_delay_alu instid0(VALU_DEP_1) | instskip(SKIP_1) | instid1(VALU_DEP_2)
	v_subrev_nc_u32_e32 v165, 29, v164
	v_sub_nc_u32_e32 v164, 30, v164
	v_lshlrev_b32_e32 v146, v165, v146
	v_bfe_u32 v165, v10, 18, 5
	s_delay_alu instid0(VALU_DEP_2) | instskip(NEXT) | instid1(VALU_DEP_2)
	v_and_b32_e32 v146, 3, v146
	v_cmp_eq_u32_e32 vcc_lo, 0, v165
	v_cndmask_b32_e32 v164, v165, v164, vcc_lo
	s_delay_alu instid0(VALU_DEP_3) | instskip(SKIP_1) | instid1(VALU_DEP_3)
	v_cndmask_b32_e32 v146, v163, v146, vcc_lo
	v_and_b32_e32 v163, 0x80000000, v166
	v_lshl_add_u32 v164, v164, 23, 0x37800000
	s_delay_alu instid0(VALU_DEP_3) | instskip(NEXT) | instid1(VALU_DEP_1)
	v_lshlrev_b32_e32 v146, 21, v146
	v_or3_b32 v163, v163, v164, v146
.LBB2_1714:                             ;   in Loop: Header=BB2_1345 Depth=4
	s_or_b32 exec_lo, exec_lo, s35
	s_delay_alu instid0(VALU_DEP_1) | instskip(NEXT) | instid1(VALU_DEP_1)
	v_add_f32_e32 v162, v162, v163
	v_and_b32_e32 v146, 0x7f800000, v162
	s_delay_alu instid0(VALU_DEP_1)
	v_cmp_ne_u32_e32 vcc_lo, 0x7f800000, v146
	v_mov_b32_e32 v146, 0x80
	s_and_saveexec_b32 s35, vcc_lo
	s_cbranch_execz .LBB2_1722
; %bb.1715:                             ;   in Loop: Header=BB2_1345 Depth=4
	v_mov_b32_e32 v146, 0
	s_mov_b32 s36, exec_lo
	v_cmpx_ne_u32_e32 0, v162
	s_cbranch_execz .LBB2_1721
; %bb.1716:                             ;   in Loop: Header=BB2_1345 Depth=4
	v_bfe_u32 v146, v162, 23, 8
	s_delay_alu instid0(VALU_DEP_1) | instskip(SKIP_1) | instid1(VALU_DEP_2)
	v_sub_nc_u32_e32 v164, 0x70, v146
	v_cmp_gt_u32_e32 vcc_lo, 0x71, v146
	v_dual_cndmask_b32 v164, 0, v164 :: v_dual_and_b32 v163, 0x7fffff, v162
	s_delay_alu instid0(VALU_DEP_1) | instskip(SKIP_2) | instid1(VALU_DEP_4)
	v_or_b32_e32 v165, 0x800000, v163
	v_cmp_eq_u32_e32 vcc_lo, 0, v146
	v_add_nc_u32_e32 v146, 0xffffff91, v146
	v_cndmask_b32_e64 v164, v164, 0x6f, vcc_lo
	s_delay_alu instid0(VALU_DEP_4) | instskip(NEXT) | instid1(VALU_DEP_3)
	v_cndmask_b32_e32 v163, v165, v163, vcc_lo
	v_cndmask_b32_e64 v146, v146, 0xffffff92, vcc_lo
	s_delay_alu instid0(VALU_DEP_3) | instskip(NEXT) | instid1(VALU_DEP_3)
	v_lshl_add_u32 v165, 0x200000, v164, -1
	v_lshrrev_b32_e32 v166, v164, v163
	v_lshlrev_b32_e64 v176, v164, 0x100000
	s_delay_alu instid0(VALU_DEP_4) | instskip(NEXT) | instid1(VALU_DEP_4)
	v_add_nc_u32_e32 v164, v164, v146
	v_and_b32_e32 v163, v165, v163
	s_delay_alu instid0(VALU_DEP_4) | instskip(NEXT) | instid1(VALU_DEP_2)
	v_bfe_u32 v167, v166, 21, 1
	v_cmp_eq_u32_e64 s14, v163, v176
	s_delay_alu instid0(VALU_DEP_2) | instskip(NEXT) | instid1(VALU_DEP_1)
	v_add_nc_u32_e32 v165, -1, v167
	v_cndmask_b32_e64 v163, 0, v165, s14
	v_lshrrev_b32_e32 v165, 23, v166
	s_mov_b32 s14, exec_lo
	s_delay_alu instid0(VALU_DEP_2) | instskip(NEXT) | instid1(VALU_DEP_2)
	v_add_nc_u32_e32 v163, v163, v166
	v_xor_b32_e32 v165, 1, v165
	s_delay_alu instid0(VALU_DEP_2) | instskip(NEXT) | instid1(VALU_DEP_1)
	v_and_b32_e32 v146, 0x1fffff, v163
	v_add_nc_u32_e32 v163, v146, v166
                                        ; implicit-def: $vgpr146
	s_delay_alu instid0(VALU_DEP_3)
	v_cmpx_ne_u32_e64 v164, v165
	s_xor_b32 s14, exec_lo, s14
; %bb.1717:                             ;   in Loop: Header=BB2_1345 Depth=4
	s_delay_alu instid0(VALU_DEP_2) | instskip(SKIP_2) | instid1(VALU_DEP_2)
	v_cmp_lt_u32_e32 vcc_lo, 0xffffff, v163
	v_sub_nc_u32_e32 v146, v164, v165
	v_cndmask_b32_e64 v164, 0, 1, vcc_lo
	v_add_co_ci_u32_e32 v146, vcc_lo, 0, v146, vcc_lo
	s_delay_alu instid0(VALU_DEP_2)
	v_lshrrev_b32_e32 v163, v164, v163
; %bb.1718:                             ;   in Loop: Header=BB2_1345 Depth=4
	s_and_not1_saveexec_b32 s14, s14
; %bb.1719:                             ;   in Loop: Header=BB2_1345 Depth=4
	s_delay_alu instid0(VALU_DEP_1)
	v_bfe_u32 v146, v163, 23, 1
; %bb.1720:                             ;   in Loop: Header=BB2_1345 Depth=4
	s_or_b32 exec_lo, exec_lo, s14
	v_lshrrev_b32_e32 v163, 21, v163
	s_delay_alu instid0(VALU_DEP_2) | instskip(SKIP_2) | instid1(VALU_DEP_2)
	v_cmp_gt_i32_e32 vcc_lo, 32, v146
	v_lshrrev_b32_e32 v162, 24, v162
	v_min_i32_e32 v164, 31, v146
	v_dual_cndmask_b32 v163, 3, v163 :: v_dual_and_b32 v162, 0x80, v162
	s_delay_alu instid0(VALU_DEP_2) | instskip(NEXT) | instid1(VALU_DEP_2)
	v_lshlrev_b32_e32 v164, 2, v164
	v_or_b32_e32 v146, v146, v163
	s_delay_alu instid0(VALU_DEP_1) | instskip(SKIP_1) | instid1(VALU_DEP_1)
	v_cmp_ne_u32_e32 vcc_lo, 0, v146
	v_and_b32_e32 v165, 3, v163
	v_or3_b32 v162, v164, v162, v165
	s_delay_alu instid0(VALU_DEP_1)
	v_cndmask_b32_e32 v146, 0, v162, vcc_lo
.LBB2_1721:                             ;   in Loop: Header=BB2_1345 Depth=4
	s_or_b32 exec_lo, exec_lo, s36
.LBB2_1722:                             ;   in Loop: Header=BB2_1345 Depth=4
	s_delay_alu instid0(SALU_CYCLE_1) | instskip(SKIP_3) | instid1(VALU_DEP_1)
	s_or_b32 exec_lo, exec_lo, s35
	v_and_b32_e32 v163, 0xff, v135
	s_mov_b32 s14, 0
	s_mov_b32 s36, exec_lo
                                        ; implicit-def: $sgpr35
	v_cmpx_lt_i16_e64 0x7f, v163
	s_xor_b32 s36, exec_lo, s36
	s_cbranch_execnz .LBB2_1952
; %bb.1723:                             ;   in Loop: Header=BB2_1345 Depth=4
	s_or_saveexec_b32 s36, s36
	v_mov_b32_e32 v162, s35
	s_xor_b32 exec_lo, exec_lo, s36
	s_cbranch_execnz .LBB2_1955
.LBB2_1724:                             ;   in Loop: Header=BB2_1345 Depth=4
	s_or_b32 exec_lo, exec_lo, s36
	s_and_saveexec_b32 s35, s14
	s_cbranch_execz .LBB2_1726
.LBB2_1725:                             ;   in Loop: Header=BB2_1345 Depth=4
	v_lshlrev_b32_e32 v135, 8, v135
	s_delay_alu instid0(VALU_DEP_1) | instskip(SKIP_1) | instid1(VALU_DEP_2)
	v_and_b32_e32 v162, 0xff00, v135
	v_bfe_u32 v135, v135, 10, 5
	v_bfe_u32 v164, v162, 8, 2
	s_delay_alu instid0(VALU_DEP_2) | instskip(NEXT) | instid1(VALU_DEP_2)
	v_cmp_eq_u32_e32 vcc_lo, 0, v135
	v_clz_i32_u32_e32 v165, v164
	s_delay_alu instid0(VALU_DEP_1) | instskip(NEXT) | instid1(VALU_DEP_1)
	v_min_u32_e32 v165, 32, v165
	v_subrev_nc_u32_e32 v166, 29, v165
	v_sub_nc_u32_e32 v165, 30, v165
	s_delay_alu instid0(VALU_DEP_2) | instskip(NEXT) | instid1(VALU_DEP_2)
	v_lshlrev_b32_e32 v163, v166, v163
	v_cndmask_b32_e32 v135, v135, v165, vcc_lo
	s_delay_alu instid0(VALU_DEP_2) | instskip(SKIP_1) | instid1(VALU_DEP_3)
	v_and_b32_e32 v163, 3, v163
	v_lshlrev_b32_e32 v162, 16, v162
	v_lshl_add_u32 v135, v135, 23, 0x37800000
	s_delay_alu instid0(VALU_DEP_2) | instskip(NEXT) | instid1(VALU_DEP_1)
	v_dual_cndmask_b32 v163, v164, v163 :: v_dual_and_b32 v162, 0x80000000, v162
	v_lshlrev_b32_e32 v163, 21, v163
	s_delay_alu instid0(VALU_DEP_1)
	v_or3_b32 v162, v162, v135, v163
.LBB2_1726:                             ;   in Loop: Header=BB2_1345 Depth=4
	s_or_b32 exec_lo, exec_lo, s35
	v_lshrrev_b32_e32 v135, 24, v10
	s_mov_b32 s14, 0
	s_mov_b32 s36, exec_lo
                                        ; implicit-def: $sgpr35
	s_delay_alu instid0(VALU_DEP_1)
	v_cmpx_lt_i16_e64 0x7f, v135
	s_xor_b32 s36, exec_lo, s36
	s_cbranch_execnz .LBB2_1956
; %bb.1727:                             ;   in Loop: Header=BB2_1345 Depth=4
	s_or_saveexec_b32 s36, s36
	v_mov_b32_e32 v163, s35
	s_xor_b32 exec_lo, exec_lo, s36
	s_cbranch_execnz .LBB2_1959
.LBB2_1728:                             ;   in Loop: Header=BB2_1345 Depth=4
	s_or_b32 exec_lo, exec_lo, s36
	s_and_saveexec_b32 s35, s14
	s_cbranch_execz .LBB2_1730
.LBB2_1729:                             ;   in Loop: Header=BB2_1345 Depth=4
	v_bfe_u32 v163, v10, 24, 2
	s_delay_alu instid0(VALU_DEP_1) | instskip(NEXT) | instid1(VALU_DEP_1)
	v_clz_i32_u32_e32 v164, v163
	v_min_u32_e32 v164, 32, v164
	s_delay_alu instid0(VALU_DEP_1) | instskip(SKIP_1) | instid1(VALU_DEP_2)
	v_subrev_nc_u32_e32 v165, 29, v164
	v_sub_nc_u32_e32 v164, 30, v164
	v_lshlrev_b32_e32 v135, v165, v135
	v_bfe_u32 v165, v10, 26, 5
	v_and_b32_e32 v10, 0x80000000, v10
	s_delay_alu instid0(VALU_DEP_2) | instskip(NEXT) | instid1(VALU_DEP_4)
	v_cmp_eq_u32_e32 vcc_lo, 0, v165
	v_dual_cndmask_b32 v164, v165, v164 :: v_dual_and_b32 v135, 3, v135
	s_delay_alu instid0(VALU_DEP_1) | instskip(NEXT) | instid1(VALU_DEP_2)
	v_cndmask_b32_e32 v135, v163, v135, vcc_lo
	v_lshl_add_u32 v163, v164, 23, 0x37800000
	s_delay_alu instid0(VALU_DEP_2) | instskip(NEXT) | instid1(VALU_DEP_1)
	v_lshlrev_b32_e32 v135, 21, v135
	v_or3_b32 v163, v10, v163, v135
.LBB2_1730:                             ;   in Loop: Header=BB2_1345 Depth=4
	s_or_b32 exec_lo, exec_lo, s35
	s_delay_alu instid0(VALU_DEP_1) | instskip(NEXT) | instid1(VALU_DEP_1)
	v_add_f32_e32 v135, v162, v163
	v_and_b32_e32 v10, 0x7f800000, v135
	s_delay_alu instid0(VALU_DEP_1)
	v_cmp_ne_u32_e32 vcc_lo, 0x7f800000, v10
	v_mov_b32_e32 v10, 0x80
	s_and_saveexec_b32 s35, vcc_lo
	s_cbranch_execz .LBB2_1738
; %bb.1731:                             ;   in Loop: Header=BB2_1345 Depth=4
	v_mov_b32_e32 v10, 0
	s_mov_b32 s36, exec_lo
	v_cmpx_ne_u32_e32 0, v135
	s_cbranch_execz .LBB2_1737
; %bb.1732:                             ;   in Loop: Header=BB2_1345 Depth=4
	v_bfe_u32 v10, v135, 23, 8
	v_and_b32_e32 v162, 0x7fffff, v135
	s_delay_alu instid0(VALU_DEP_2) | instskip(SKIP_1) | instid1(VALU_DEP_3)
	v_sub_nc_u32_e32 v163, 0x70, v10
	v_cmp_gt_u32_e32 vcc_lo, 0x71, v10
	v_or_b32_e32 v164, 0x800000, v162
	s_delay_alu instid0(VALU_DEP_3) | instskip(SKIP_2) | instid1(VALU_DEP_4)
	v_cndmask_b32_e32 v163, 0, v163, vcc_lo
	v_cmp_eq_u32_e32 vcc_lo, 0, v10
	v_add_nc_u32_e32 v10, 0xffffff91, v10
	v_cndmask_b32_e32 v162, v164, v162, vcc_lo
	s_delay_alu instid0(VALU_DEP_4) | instskip(NEXT) | instid1(VALU_DEP_3)
	v_cndmask_b32_e64 v163, v163, 0x6f, vcc_lo
	v_cndmask_b32_e64 v10, v10, 0xffffff92, vcc_lo
	s_delay_alu instid0(VALU_DEP_2) | instskip(SKIP_2) | instid1(VALU_DEP_4)
	v_lshrrev_b32_e32 v165, v163, v162
	v_lshl_add_u32 v164, 0x200000, v163, -1
	v_lshlrev_b32_e64 v167, v163, 0x100000
	v_add_nc_u32_e32 v163, v163, v10
	s_delay_alu instid0(VALU_DEP_4) | instskip(NEXT) | instid1(VALU_DEP_4)
	v_bfe_u32 v166, v165, 21, 1
	v_and_b32_e32 v162, v164, v162
	s_delay_alu instid0(VALU_DEP_2) | instskip(NEXT) | instid1(VALU_DEP_2)
	v_add_nc_u32_e32 v164, -1, v166
	v_cmp_eq_u32_e64 s14, v162, v167
	s_delay_alu instid0(VALU_DEP_1) | instskip(SKIP_2) | instid1(VALU_DEP_2)
	v_cndmask_b32_e64 v162, 0, v164, s14
	v_lshrrev_b32_e32 v164, 23, v165
	s_mov_b32 s14, exec_lo
	v_add_nc_u32_e32 v162, v162, v165
	s_delay_alu instid0(VALU_DEP_2) | instskip(NEXT) | instid1(VALU_DEP_2)
	v_xor_b32_e32 v164, 1, v164
	v_and_b32_e32 v10, 0x1fffff, v162
	s_delay_alu instid0(VALU_DEP_1) | instskip(NEXT) | instid1(VALU_DEP_3)
	v_add_nc_u32_e32 v162, v10, v165
                                        ; implicit-def: $vgpr10
	v_cmpx_ne_u32_e64 v163, v164
	s_xor_b32 s14, exec_lo, s14
; %bb.1733:                             ;   in Loop: Header=BB2_1345 Depth=4
	s_delay_alu instid0(VALU_DEP_2) | instskip(SKIP_2) | instid1(VALU_DEP_2)
	v_cmp_lt_u32_e32 vcc_lo, 0xffffff, v162
	v_sub_nc_u32_e32 v10, v163, v164
	v_cndmask_b32_e64 v163, 0, 1, vcc_lo
	v_add_co_ci_u32_e32 v10, vcc_lo, 0, v10, vcc_lo
	s_delay_alu instid0(VALU_DEP_2)
	v_lshrrev_b32_e32 v162, v163, v162
; %bb.1734:                             ;   in Loop: Header=BB2_1345 Depth=4
	s_and_not1_saveexec_b32 s14, s14
; %bb.1735:                             ;   in Loop: Header=BB2_1345 Depth=4
	s_delay_alu instid0(VALU_DEP_1)
	v_bfe_u32 v10, v162, 23, 1
; %bb.1736:                             ;   in Loop: Header=BB2_1345 Depth=4
	s_or_b32 exec_lo, exec_lo, s14
	v_lshrrev_b32_e32 v162, 21, v162
	s_delay_alu instid0(VALU_DEP_2) | instskip(SKIP_2) | instid1(VALU_DEP_2)
	v_cmp_gt_i32_e32 vcc_lo, 32, v10
	v_lshrrev_b32_e32 v135, 24, v135
	v_min_i32_e32 v163, 31, v10
	v_dual_cndmask_b32 v162, 3, v162 :: v_dual_and_b32 v135, 0x80, v135
	s_delay_alu instid0(VALU_DEP_2) | instskip(NEXT) | instid1(VALU_DEP_2)
	v_lshlrev_b32_e32 v163, 2, v163
	v_and_b32_e32 v164, 3, v162
	v_or_b32_e32 v10, v10, v162
	s_delay_alu instid0(VALU_DEP_2) | instskip(NEXT) | instid1(VALU_DEP_2)
	v_or3_b32 v135, v163, v135, v164
	v_cmp_ne_u32_e32 vcc_lo, 0, v10
	s_delay_alu instid0(VALU_DEP_2)
	v_cndmask_b32_e32 v10, 0, v135, vcc_lo
.LBB2_1737:                             ;   in Loop: Header=BB2_1345 Depth=4
	s_or_b32 exec_lo, exec_lo, s36
.LBB2_1738:                             ;   in Loop: Header=BB2_1345 Depth=4
	s_delay_alu instid0(SALU_CYCLE_1) | instskip(SKIP_3) | instid1(VALU_DEP_1)
	s_or_b32 exec_lo, exec_lo, s35
	v_or_b32_e32 v135, v148, v134
	s_mov_b32 s14, 0
	s_mov_b32 s36, exec_lo
                                        ; implicit-def: $sgpr35
	v_and_b32_e32 v148, 0xff, v135
	s_delay_alu instid0(VALU_DEP_1)
	v_cmpx_lt_i16_e64 0x7f, v148
	s_xor_b32 s36, exec_lo, s36
	s_cbranch_execnz .LBB2_1960
; %bb.1739:                             ;   in Loop: Header=BB2_1345 Depth=4
	s_or_saveexec_b32 s36, s36
	v_mov_b32_e32 v134, s35
	s_xor_b32 exec_lo, exec_lo, s36
	s_cbranch_execnz .LBB2_1963
.LBB2_1740:                             ;   in Loop: Header=BB2_1345 Depth=4
	s_or_b32 exec_lo, exec_lo, s36
	s_and_saveexec_b32 s35, s14
	s_cbranch_execz .LBB2_1742
.LBB2_1741:                             ;   in Loop: Header=BB2_1345 Depth=4
	v_and_b32_e32 v134, 3, v135
	v_bfe_u32 v163, v135, 2, 5
	v_lshlrev_b32_e32 v164, 24, v135
	s_delay_alu instid0(VALU_DEP_3) | instskip(NEXT) | instid1(VALU_DEP_3)
	v_clz_i32_u32_e32 v148, v134
	v_cmp_eq_u32_e32 vcc_lo, 0, v163
	s_delay_alu instid0(VALU_DEP_2) | instskip(NEXT) | instid1(VALU_DEP_1)
	v_min_u32_e32 v148, 32, v148
	v_subrev_nc_u32_e32 v162, 29, v148
	v_sub_nc_u32_e32 v148, 30, v148
	s_delay_alu instid0(VALU_DEP_2) | instskip(NEXT) | instid1(VALU_DEP_2)
	v_lshlrev_b32_e32 v162, v162, v135
	v_cndmask_b32_e32 v148, v163, v148, vcc_lo
	s_delay_alu instid0(VALU_DEP_2) | instskip(NEXT) | instid1(VALU_DEP_2)
	v_and_b32_e32 v162, 3, v162
	v_lshl_add_u32 v148, v148, 23, 0x37800000
	s_delay_alu instid0(VALU_DEP_2) | instskip(SKIP_1) | instid1(VALU_DEP_2)
	v_cndmask_b32_e32 v134, v134, v162, vcc_lo
	v_and_b32_e32 v162, 0x80000000, v164
	v_lshlrev_b32_e32 v134, 21, v134
	s_delay_alu instid0(VALU_DEP_1)
	v_or3_b32 v134, v162, v148, v134
.LBB2_1742:                             ;   in Loop: Header=BB2_1345 Depth=4
	s_or_b32 exec_lo, exec_lo, s35
	v_and_b32_e32 v162, 0xff, v11
	s_mov_b32 s14, 0
	s_mov_b32 s36, exec_lo
                                        ; implicit-def: $sgpr35
	s_delay_alu instid0(VALU_DEP_1)
	v_cmpx_lt_i16_e64 0x7f, v162
	s_xor_b32 s36, exec_lo, s36
	s_cbranch_execnz .LBB2_1964
; %bb.1743:                             ;   in Loop: Header=BB2_1345 Depth=4
	s_or_saveexec_b32 s36, s36
	v_mov_b32_e32 v148, s35
	s_xor_b32 exec_lo, exec_lo, s36
	s_cbranch_execnz .LBB2_1967
.LBB2_1744:                             ;   in Loop: Header=BB2_1345 Depth=4
	s_or_b32 exec_lo, exec_lo, s36
	s_and_saveexec_b32 s35, s14
	s_cbranch_execz .LBB2_1746
.LBB2_1745:                             ;   in Loop: Header=BB2_1345 Depth=4
	v_and_b32_e32 v148, 3, v11
	v_bfe_u32 v164, v11, 2, 5
	v_lshlrev_b32_e32 v165, 24, v11
	s_delay_alu instid0(VALU_DEP_3) | instskip(NEXT) | instid1(VALU_DEP_3)
	v_clz_i32_u32_e32 v162, v148
	v_cmp_eq_u32_e32 vcc_lo, 0, v164
	s_delay_alu instid0(VALU_DEP_2) | instskip(NEXT) | instid1(VALU_DEP_1)
	v_min_u32_e32 v162, 32, v162
	v_subrev_nc_u32_e32 v163, 29, v162
	v_sub_nc_u32_e32 v162, 30, v162
	s_delay_alu instid0(VALU_DEP_1) | instskip(NEXT) | instid1(VALU_DEP_1)
	v_dual_cndmask_b32 v162, v164, v162 :: v_dual_lshlrev_b32 v163, v163, v11
	v_and_b32_e32 v163, 3, v163
	s_delay_alu instid0(VALU_DEP_2) | instskip(NEXT) | instid1(VALU_DEP_2)
	v_lshl_add_u32 v162, v162, 23, 0x37800000
	v_dual_cndmask_b32 v148, v148, v163 :: v_dual_and_b32 v163, 0x80000000, v165
	s_delay_alu instid0(VALU_DEP_1) | instskip(NEXT) | instid1(VALU_DEP_1)
	v_lshlrev_b32_e32 v148, 21, v148
	v_or3_b32 v148, v163, v162, v148
.LBB2_1746:                             ;   in Loop: Header=BB2_1345 Depth=4
	s_or_b32 exec_lo, exec_lo, s35
	s_delay_alu instid0(VALU_DEP_1) | instskip(NEXT) | instid1(VALU_DEP_1)
	v_add_f32_e32 v148, v134, v148
	v_and_b32_e32 v134, 0x7f800000, v148
	s_delay_alu instid0(VALU_DEP_1)
	v_cmp_ne_u32_e32 vcc_lo, 0x7f800000, v134
	v_mov_b32_e32 v134, 0x80
	s_and_saveexec_b32 s35, vcc_lo
	s_cbranch_execz .LBB2_1754
; %bb.1747:                             ;   in Loop: Header=BB2_1345 Depth=4
	v_mov_b32_e32 v134, 0
	s_mov_b32 s36, exec_lo
	v_cmpx_ne_u32_e32 0, v148
	s_cbranch_execz .LBB2_1753
; %bb.1748:                             ;   in Loop: Header=BB2_1345 Depth=4
	v_bfe_u32 v134, v148, 23, 8
	s_delay_alu instid0(VALU_DEP_1) | instskip(SKIP_1) | instid1(VALU_DEP_2)
	v_sub_nc_u32_e32 v163, 0x70, v134
	v_cmp_gt_u32_e32 vcc_lo, 0x71, v134
	v_dual_cndmask_b32 v163, 0, v163 :: v_dual_and_b32 v162, 0x7fffff, v148
	s_delay_alu instid0(VALU_DEP_1) | instskip(SKIP_2) | instid1(VALU_DEP_4)
	v_or_b32_e32 v164, 0x800000, v162
	v_cmp_eq_u32_e32 vcc_lo, 0, v134
	v_add_nc_u32_e32 v134, 0xffffff91, v134
	v_cndmask_b32_e64 v163, v163, 0x6f, vcc_lo
	s_delay_alu instid0(VALU_DEP_4) | instskip(NEXT) | instid1(VALU_DEP_3)
	v_cndmask_b32_e32 v162, v164, v162, vcc_lo
	v_cndmask_b32_e64 v134, v134, 0xffffff92, vcc_lo
	s_delay_alu instid0(VALU_DEP_3) | instskip(NEXT) | instid1(VALU_DEP_3)
	v_lshl_add_u32 v164, 0x200000, v163, -1
	v_lshrrev_b32_e32 v165, v163, v162
	v_lshlrev_b32_e64 v167, v163, 0x100000
	s_delay_alu instid0(VALU_DEP_4) | instskip(NEXT) | instid1(VALU_DEP_4)
	v_add_nc_u32_e32 v163, v163, v134
	v_and_b32_e32 v162, v164, v162
	s_delay_alu instid0(VALU_DEP_4) | instskip(NEXT) | instid1(VALU_DEP_2)
	v_bfe_u32 v166, v165, 21, 1
	v_cmp_eq_u32_e64 s14, v162, v167
	s_delay_alu instid0(VALU_DEP_2) | instskip(NEXT) | instid1(VALU_DEP_1)
	v_add_nc_u32_e32 v164, -1, v166
	v_cndmask_b32_e64 v162, 0, v164, s14
	v_lshrrev_b32_e32 v164, 23, v165
	s_mov_b32 s14, exec_lo
	s_delay_alu instid0(VALU_DEP_2) | instskip(NEXT) | instid1(VALU_DEP_2)
	v_add_nc_u32_e32 v162, v162, v165
	v_xor_b32_e32 v164, 1, v164
	s_delay_alu instid0(VALU_DEP_2) | instskip(NEXT) | instid1(VALU_DEP_1)
	v_and_b32_e32 v134, 0x1fffff, v162
	v_add_nc_u32_e32 v162, v134, v165
                                        ; implicit-def: $vgpr134
	s_delay_alu instid0(VALU_DEP_3)
	v_cmpx_ne_u32_e64 v163, v164
	s_xor_b32 s14, exec_lo, s14
; %bb.1749:                             ;   in Loop: Header=BB2_1345 Depth=4
	s_delay_alu instid0(VALU_DEP_2) | instskip(SKIP_2) | instid1(VALU_DEP_2)
	v_cmp_lt_u32_e32 vcc_lo, 0xffffff, v162
	v_sub_nc_u32_e32 v134, v163, v164
	v_cndmask_b32_e64 v163, 0, 1, vcc_lo
	v_add_co_ci_u32_e32 v134, vcc_lo, 0, v134, vcc_lo
	s_delay_alu instid0(VALU_DEP_2)
	v_lshrrev_b32_e32 v162, v163, v162
; %bb.1750:                             ;   in Loop: Header=BB2_1345 Depth=4
	s_and_not1_saveexec_b32 s14, s14
; %bb.1751:                             ;   in Loop: Header=BB2_1345 Depth=4
	s_delay_alu instid0(VALU_DEP_1)
	v_bfe_u32 v134, v162, 23, 1
; %bb.1752:                             ;   in Loop: Header=BB2_1345 Depth=4
	s_or_b32 exec_lo, exec_lo, s14
	v_lshrrev_b32_e32 v162, 21, v162
	s_delay_alu instid0(VALU_DEP_2) | instskip(SKIP_2) | instid1(VALU_DEP_4)
	v_cmp_gt_i32_e32 vcc_lo, 32, v134
	v_lshrrev_b32_e32 v148, 24, v148
	v_min_i32_e32 v163, 31, v134
	v_cndmask_b32_e32 v162, 3, v162, vcc_lo
	s_delay_alu instid0(VALU_DEP_3) | instskip(NEXT) | instid1(VALU_DEP_3)
	v_and_b32_e32 v148, 0x80, v148
	v_lshlrev_b32_e32 v163, 2, v163
	s_delay_alu instid0(VALU_DEP_3) | instskip(SKIP_1) | instid1(VALU_DEP_2)
	v_and_b32_e32 v164, 3, v162
	v_or_b32_e32 v134, v134, v162
	v_or3_b32 v148, v163, v148, v164
	s_delay_alu instid0(VALU_DEP_2) | instskip(NEXT) | instid1(VALU_DEP_2)
	v_cmp_ne_u32_e32 vcc_lo, 0, v134
	v_cndmask_b32_e32 v134, 0, v148, vcc_lo
.LBB2_1753:                             ;   in Loop: Header=BB2_1345 Depth=4
	s_or_b32 exec_lo, exec_lo, s36
.LBB2_1754:                             ;   in Loop: Header=BB2_1345 Depth=4
	s_delay_alu instid0(SALU_CYCLE_1) | instskip(SKIP_3) | instid1(VALU_DEP_1)
	s_or_b32 exec_lo, exec_lo, s35
	v_lshrrev_b16 v162, 8, v135
	s_mov_b32 s14, 0
	s_mov_b32 s36, exec_lo
                                        ; implicit-def: $sgpr35
	v_cmpx_lt_i16_e64 0x7f, v162
	s_xor_b32 s36, exec_lo, s36
	s_cbranch_execnz .LBB2_1968
; %bb.1755:                             ;   in Loop: Header=BB2_1345 Depth=4
	s_or_saveexec_b32 s36, s36
	v_mov_b32_e32 v148, s35
	s_xor_b32 exec_lo, exec_lo, s36
	s_cbranch_execnz .LBB2_1971
.LBB2_1756:                             ;   in Loop: Header=BB2_1345 Depth=4
	s_or_b32 exec_lo, exec_lo, s36
	s_and_saveexec_b32 s35, s14
	s_cbranch_execz .LBB2_1758
.LBB2_1757:                             ;   in Loop: Header=BB2_1345 Depth=4
	v_and_b32_e32 v148, 0xffff, v162
	v_lshlrev_b32_e32 v162, 24, v162
	s_delay_alu instid0(VALU_DEP_2) | instskip(NEXT) | instid1(VALU_DEP_2)
	v_and_b32_e32 v163, 3, v148
	v_and_b32_e32 v162, 0x80000000, v162
	s_delay_alu instid0(VALU_DEP_2) | instskip(NEXT) | instid1(VALU_DEP_1)
	v_clz_i32_u32_e32 v164, v163
	v_min_u32_e32 v164, 32, v164
	s_delay_alu instid0(VALU_DEP_1) | instskip(SKIP_1) | instid1(VALU_DEP_2)
	v_subrev_nc_u32_e32 v165, 29, v164
	v_sub_nc_u32_e32 v164, 30, v164
	v_lshlrev_b32_e32 v165, v165, v148
	v_bfe_u32 v148, v148, 2, 5
	s_delay_alu instid0(VALU_DEP_1) | instskip(NEXT) | instid1(VALU_DEP_3)
	v_cmp_eq_u32_e32 vcc_lo, 0, v148
	v_dual_cndmask_b32 v148, v148, v164 :: v_dual_and_b32 v165, 3, v165
	s_delay_alu instid0(VALU_DEP_1) | instskip(NEXT) | instid1(VALU_DEP_2)
	v_cndmask_b32_e32 v163, v163, v165, vcc_lo
	v_lshl_add_u32 v148, v148, 23, 0x37800000
	s_delay_alu instid0(VALU_DEP_2) | instskip(NEXT) | instid1(VALU_DEP_1)
	v_lshlrev_b32_e32 v163, 21, v163
	v_or3_b32 v148, v162, v148, v163
.LBB2_1758:                             ;   in Loop: Header=BB2_1345 Depth=4
	s_or_b32 exec_lo, exec_lo, s35
	v_lshrrev_b16 v162, 8, v11
	s_mov_b32 s14, 0
	s_mov_b32 s36, exec_lo
                                        ; implicit-def: $sgpr35
	s_delay_alu instid0(VALU_DEP_1)
	v_cmpx_lt_i16_e64 0x7f, v162
	s_xor_b32 s36, exec_lo, s36
	s_cbranch_execnz .LBB2_1972
; %bb.1759:                             ;   in Loop: Header=BB2_1345 Depth=4
	s_or_saveexec_b32 s36, s36
	v_mov_b32_e32 v163, s35
	s_xor_b32 exec_lo, exec_lo, s36
	s_cbranch_execnz .LBB2_1975
.LBB2_1760:                             ;   in Loop: Header=BB2_1345 Depth=4
	s_or_b32 exec_lo, exec_lo, s36
	s_and_saveexec_b32 s35, s14
	s_cbranch_execz .LBB2_1762
.LBB2_1761:                             ;   in Loop: Header=BB2_1345 Depth=4
	v_and_b32_e32 v163, 0xffff, v162
	v_lshlrev_b32_e32 v162, 24, v162
	s_delay_alu instid0(VALU_DEP_2) | instskip(NEXT) | instid1(VALU_DEP_2)
	v_and_b32_e32 v164, 3, v163
	v_and_b32_e32 v162, 0x80000000, v162
	s_delay_alu instid0(VALU_DEP_2) | instskip(NEXT) | instid1(VALU_DEP_1)
	v_clz_i32_u32_e32 v165, v164
	v_min_u32_e32 v165, 32, v165
	s_delay_alu instid0(VALU_DEP_1) | instskip(SKIP_1) | instid1(VALU_DEP_2)
	v_subrev_nc_u32_e32 v166, 29, v165
	v_sub_nc_u32_e32 v165, 30, v165
	v_lshlrev_b32_e32 v166, v166, v163
	v_bfe_u32 v163, v163, 2, 5
	s_delay_alu instid0(VALU_DEP_2) | instskip(NEXT) | instid1(VALU_DEP_2)
	v_and_b32_e32 v166, 3, v166
	v_cmp_eq_u32_e32 vcc_lo, 0, v163
	s_delay_alu instid0(VALU_DEP_2) | instskip(NEXT) | instid1(VALU_DEP_1)
	v_dual_cndmask_b32 v163, v163, v165 :: v_dual_cndmask_b32 v164, v164, v166
	v_lshl_add_u32 v163, v163, 23, 0x37800000
	s_delay_alu instid0(VALU_DEP_2) | instskip(NEXT) | instid1(VALU_DEP_1)
	v_lshlrev_b32_e32 v164, 21, v164
	v_or3_b32 v163, v162, v163, v164
.LBB2_1762:                             ;   in Loop: Header=BB2_1345 Depth=4
	s_or_b32 exec_lo, exec_lo, s35
	s_delay_alu instid0(VALU_DEP_1) | instskip(NEXT) | instid1(VALU_DEP_1)
	v_add_f32_e32 v162, v148, v163
	v_and_b32_e32 v148, 0x7f800000, v162
	s_delay_alu instid0(VALU_DEP_1)
	v_cmp_ne_u32_e32 vcc_lo, 0x7f800000, v148
	v_mov_b32_e32 v148, 0x8000
	s_and_saveexec_b32 s35, vcc_lo
	s_cbranch_execz .LBB2_1770
; %bb.1763:                             ;   in Loop: Header=BB2_1345 Depth=4
	v_mov_b32_e32 v148, 0
	s_mov_b32 s36, exec_lo
	v_cmpx_ne_u32_e32 0, v162
	s_cbranch_execz .LBB2_1769
; %bb.1764:                             ;   in Loop: Header=BB2_1345 Depth=4
	v_bfe_u32 v148, v162, 23, 8
	s_delay_alu instid0(VALU_DEP_1) | instskip(SKIP_1) | instid1(VALU_DEP_2)
	v_sub_nc_u32_e32 v164, 0x70, v148
	v_cmp_gt_u32_e32 vcc_lo, 0x71, v148
	v_dual_cndmask_b32 v164, 0, v164 :: v_dual_and_b32 v163, 0x7fffff, v162
	s_delay_alu instid0(VALU_DEP_1) | instskip(SKIP_2) | instid1(VALU_DEP_4)
	v_or_b32_e32 v165, 0x800000, v163
	v_cmp_eq_u32_e32 vcc_lo, 0, v148
	v_add_nc_u32_e32 v148, 0xffffff91, v148
	v_cndmask_b32_e64 v164, v164, 0x6f, vcc_lo
	s_delay_alu instid0(VALU_DEP_4) | instskip(NEXT) | instid1(VALU_DEP_3)
	v_cndmask_b32_e32 v163, v165, v163, vcc_lo
	v_cndmask_b32_e64 v148, v148, 0xffffff92, vcc_lo
	s_delay_alu instid0(VALU_DEP_3) | instskip(NEXT) | instid1(VALU_DEP_3)
	v_lshl_add_u32 v165, 0x200000, v164, -1
	v_lshrrev_b32_e32 v166, v164, v163
	v_lshlrev_b32_e64 v176, v164, 0x100000
	s_delay_alu instid0(VALU_DEP_4) | instskip(NEXT) | instid1(VALU_DEP_4)
	v_add_nc_u32_e32 v164, v164, v148
	v_and_b32_e32 v163, v165, v163
	s_delay_alu instid0(VALU_DEP_4) | instskip(NEXT) | instid1(VALU_DEP_2)
	v_bfe_u32 v167, v166, 21, 1
	v_cmp_eq_u32_e64 s14, v163, v176
	s_delay_alu instid0(VALU_DEP_2) | instskip(NEXT) | instid1(VALU_DEP_1)
	v_add_nc_u32_e32 v165, -1, v167
	v_cndmask_b32_e64 v163, 0, v165, s14
	v_lshrrev_b32_e32 v165, 23, v166
	s_mov_b32 s14, exec_lo
	s_delay_alu instid0(VALU_DEP_2) | instskip(NEXT) | instid1(VALU_DEP_2)
	v_add_nc_u32_e32 v163, v163, v166
	v_xor_b32_e32 v165, 1, v165
	s_delay_alu instid0(VALU_DEP_2) | instskip(NEXT) | instid1(VALU_DEP_1)
	v_and_b32_e32 v148, 0x1fffff, v163
	v_add_nc_u32_e32 v163, v148, v166
                                        ; implicit-def: $vgpr148
	s_delay_alu instid0(VALU_DEP_3)
	v_cmpx_ne_u32_e64 v164, v165
	s_xor_b32 s14, exec_lo, s14
; %bb.1765:                             ;   in Loop: Header=BB2_1345 Depth=4
	s_delay_alu instid0(VALU_DEP_2) | instskip(SKIP_2) | instid1(VALU_DEP_2)
	v_cmp_lt_u32_e32 vcc_lo, 0xffffff, v163
	v_sub_nc_u32_e32 v148, v164, v165
	v_cndmask_b32_e64 v164, 0, 1, vcc_lo
	v_add_co_ci_u32_e32 v148, vcc_lo, 0, v148, vcc_lo
	s_delay_alu instid0(VALU_DEP_2)
	v_lshrrev_b32_e32 v163, v164, v163
; %bb.1766:                             ;   in Loop: Header=BB2_1345 Depth=4
	s_and_not1_saveexec_b32 s14, s14
; %bb.1767:                             ;   in Loop: Header=BB2_1345 Depth=4
	s_delay_alu instid0(VALU_DEP_1)
	v_bfe_u32 v148, v163, 23, 1
; %bb.1768:                             ;   in Loop: Header=BB2_1345 Depth=4
	s_or_b32 exec_lo, exec_lo, s14
	v_lshrrev_b32_e32 v163, 21, v163
	s_delay_alu instid0(VALU_DEP_2) | instskip(SKIP_2) | instid1(VALU_DEP_2)
	v_cmp_gt_i32_e32 vcc_lo, 32, v148
	v_min_i32_e32 v164, 31, v148
	v_lshrrev_b32_e32 v162, 24, v162
	v_dual_cndmask_b32 v163, 3, v163 :: v_dual_lshlrev_b32 v164, 2, v164
	s_delay_alu instid0(VALU_DEP_2) | instskip(NEXT) | instid1(VALU_DEP_2)
	v_and_b32_e32 v162, 0x80, v162
	v_or_b32_e32 v148, v148, v163
	s_delay_alu instid0(VALU_DEP_3) | instskip(NEXT) | instid1(VALU_DEP_2)
	v_and_b32_e32 v164, 0xfc, v164
	v_cmp_ne_u32_e32 vcc_lo, 0, v148
	v_and_b32_e32 v165, 3, v163
	s_delay_alu instid0(VALU_DEP_1) | instskip(NEXT) | instid1(VALU_DEP_1)
	v_or3_b32 v162, v162, v164, v165
	v_lshlrev_b32_e32 v162, 8, v162
	s_delay_alu instid0(VALU_DEP_1)
	v_cndmask_b32_e32 v148, 0, v162, vcc_lo
.LBB2_1769:                             ;   in Loop: Header=BB2_1345 Depth=4
	s_or_b32 exec_lo, exec_lo, s36
.LBB2_1770:                             ;   in Loop: Header=BB2_1345 Depth=4
	s_delay_alu instid0(SALU_CYCLE_1) | instskip(SKIP_3) | instid1(VALU_DEP_1)
	s_or_b32 exec_lo, exec_lo, s35
	v_or_b32_e32 v145, v145, v133
	s_mov_b32 s14, 0
	s_mov_b32 s36, exec_lo
                                        ; implicit-def: $sgpr35
	v_and_b32_e32 v162, 0xff, v145
	s_delay_alu instid0(VALU_DEP_1)
	v_cmpx_lt_i16_e64 0x7f, v162
	s_xor_b32 s36, exec_lo, s36
	s_cbranch_execnz .LBB2_1976
; %bb.1771:                             ;   in Loop: Header=BB2_1345 Depth=4
	s_or_saveexec_b32 s36, s36
	v_mov_b32_e32 v133, s35
	s_xor_b32 exec_lo, exec_lo, s36
	s_cbranch_execnz .LBB2_1979
.LBB2_1772:                             ;   in Loop: Header=BB2_1345 Depth=4
	s_or_b32 exec_lo, exec_lo, s36
	v_lshl_or_b32 v135, v145, 16, v135
	s_and_saveexec_b32 s35, s14
	s_cbranch_execz .LBB2_1774
.LBB2_1773:                             ;   in Loop: Header=BB2_1345 Depth=4
	s_delay_alu instid0(VALU_DEP_1) | instskip(SKIP_1) | instid1(VALU_DEP_2)
	v_bfe_u32 v133, v135, 16, 2
	v_lshrrev_b32_e32 v162, 16, v135
	v_clz_i32_u32_e32 v145, v133
	s_delay_alu instid0(VALU_DEP_1) | instskip(NEXT) | instid1(VALU_DEP_1)
	v_min_u32_e32 v145, 32, v145
	v_subrev_nc_u32_e32 v163, 29, v145
	v_sub_nc_u32_e32 v145, 30, v145
	s_delay_alu instid0(VALU_DEP_2) | instskip(SKIP_1) | instid1(VALU_DEP_1)
	v_lshlrev_b32_e32 v162, v163, v162
	v_bfe_u32 v163, v135, 18, 5
	v_cmp_eq_u32_e32 vcc_lo, 0, v163
	s_delay_alu instid0(VALU_DEP_3) | instskip(NEXT) | instid1(VALU_DEP_1)
	v_dual_cndmask_b32 v145, v163, v145 :: v_dual_and_b32 v162, 3, v162
	v_dual_cndmask_b32 v133, v133, v162 :: v_dual_lshlrev_b32 v164, 8, v135
	s_delay_alu instid0(VALU_DEP_2) | instskip(NEXT) | instid1(VALU_DEP_2)
	v_lshl_add_u32 v145, v145, 23, 0x37800000
	v_and_b32_e32 v162, 0x80000000, v164
	s_delay_alu instid0(VALU_DEP_3) | instskip(NEXT) | instid1(VALU_DEP_1)
	v_lshlrev_b32_e32 v133, 21, v133
	v_or3_b32 v133, v162, v145, v133
.LBB2_1774:                             ;   in Loop: Header=BB2_1345 Depth=4
	s_or_b32 exec_lo, exec_lo, s35
	v_lshrrev_b32_e32 v145, 16, v11
	s_mov_b32 s14, 0
	s_mov_b32 s36, exec_lo
                                        ; implicit-def: $sgpr35
	s_delay_alu instid0(VALU_DEP_1) | instskip(NEXT) | instid1(VALU_DEP_1)
	v_and_b32_e32 v163, 0xff, v145
	v_cmpx_lt_i16_e64 0x7f, v163
	s_xor_b32 s36, exec_lo, s36
	s_cbranch_execnz .LBB2_1980
; %bb.1775:                             ;   in Loop: Header=BB2_1345 Depth=4
	s_or_saveexec_b32 s36, s36
	v_mov_b32_e32 v162, s35
	s_xor_b32 exec_lo, exec_lo, s36
	s_cbranch_execnz .LBB2_1983
.LBB2_1776:                             ;   in Loop: Header=BB2_1345 Depth=4
	s_or_b32 exec_lo, exec_lo, s36
	s_and_saveexec_b32 s35, s14
	s_cbranch_execz .LBB2_1778
.LBB2_1777:                             ;   in Loop: Header=BB2_1345 Depth=4
	v_bfe_u32 v162, v11, 16, 2
	v_lshlrev_b32_e32 v165, 8, v11
	s_delay_alu instid0(VALU_DEP_2) | instskip(NEXT) | instid1(VALU_DEP_1)
	v_clz_i32_u32_e32 v163, v162
	v_min_u32_e32 v163, 32, v163
	s_delay_alu instid0(VALU_DEP_1) | instskip(SKIP_1) | instid1(VALU_DEP_2)
	v_subrev_nc_u32_e32 v164, 29, v163
	v_sub_nc_u32_e32 v163, 30, v163
	v_lshlrev_b32_e32 v145, v164, v145
	v_bfe_u32 v164, v11, 18, 5
	s_delay_alu instid0(VALU_DEP_2) | instskip(NEXT) | instid1(VALU_DEP_2)
	v_and_b32_e32 v145, 3, v145
	v_cmp_eq_u32_e32 vcc_lo, 0, v164
	v_cndmask_b32_e32 v163, v164, v163, vcc_lo
	s_delay_alu instid0(VALU_DEP_3) | instskip(SKIP_1) | instid1(VALU_DEP_3)
	v_cndmask_b32_e32 v145, v162, v145, vcc_lo
	v_and_b32_e32 v162, 0x80000000, v165
	v_lshl_add_u32 v163, v163, 23, 0x37800000
	s_delay_alu instid0(VALU_DEP_3) | instskip(NEXT) | instid1(VALU_DEP_1)
	v_lshlrev_b32_e32 v145, 21, v145
	v_or3_b32 v162, v162, v163, v145
.LBB2_1778:                             ;   in Loop: Header=BB2_1345 Depth=4
	s_or_b32 exec_lo, exec_lo, s35
	s_delay_alu instid0(VALU_DEP_1) | instskip(NEXT) | instid1(VALU_DEP_1)
	v_add_f32_e32 v145, v133, v162
	v_and_b32_e32 v133, 0x7f800000, v145
	s_delay_alu instid0(VALU_DEP_1)
	v_cmp_ne_u32_e32 vcc_lo, 0x7f800000, v133
	v_mov_b32_e32 v133, 0x80
	s_and_saveexec_b32 s35, vcc_lo
	s_cbranch_execz .LBB2_1786
; %bb.1779:                             ;   in Loop: Header=BB2_1345 Depth=4
	v_mov_b32_e32 v133, 0
	s_mov_b32 s36, exec_lo
	v_cmpx_ne_u32_e32 0, v145
	s_cbranch_execz .LBB2_1785
; %bb.1780:                             ;   in Loop: Header=BB2_1345 Depth=4
	v_bfe_u32 v133, v145, 23, 8
	s_delay_alu instid0(VALU_DEP_1) | instskip(SKIP_1) | instid1(VALU_DEP_2)
	v_sub_nc_u32_e32 v163, 0x70, v133
	v_cmp_gt_u32_e32 vcc_lo, 0x71, v133
	v_dual_cndmask_b32 v163, 0, v163 :: v_dual_and_b32 v162, 0x7fffff, v145
	s_delay_alu instid0(VALU_DEP_1) | instskip(SKIP_2) | instid1(VALU_DEP_4)
	v_or_b32_e32 v164, 0x800000, v162
	v_cmp_eq_u32_e32 vcc_lo, 0, v133
	v_add_nc_u32_e32 v133, 0xffffff91, v133
	v_cndmask_b32_e64 v163, v163, 0x6f, vcc_lo
	s_delay_alu instid0(VALU_DEP_4) | instskip(NEXT) | instid1(VALU_DEP_3)
	v_cndmask_b32_e32 v162, v164, v162, vcc_lo
	v_cndmask_b32_e64 v133, v133, 0xffffff92, vcc_lo
	s_delay_alu instid0(VALU_DEP_3) | instskip(NEXT) | instid1(VALU_DEP_3)
	v_lshl_add_u32 v164, 0x200000, v163, -1
	v_lshrrev_b32_e32 v165, v163, v162
	v_lshlrev_b32_e64 v167, v163, 0x100000
	s_delay_alu instid0(VALU_DEP_4) | instskip(NEXT) | instid1(VALU_DEP_4)
	v_add_nc_u32_e32 v163, v163, v133
	v_and_b32_e32 v162, v164, v162
	s_delay_alu instid0(VALU_DEP_4) | instskip(NEXT) | instid1(VALU_DEP_2)
	v_bfe_u32 v166, v165, 21, 1
	v_cmp_eq_u32_e64 s14, v162, v167
	s_delay_alu instid0(VALU_DEP_2) | instskip(NEXT) | instid1(VALU_DEP_1)
	v_add_nc_u32_e32 v164, -1, v166
	v_cndmask_b32_e64 v162, 0, v164, s14
	v_lshrrev_b32_e32 v164, 23, v165
	s_mov_b32 s14, exec_lo
	s_delay_alu instid0(VALU_DEP_2) | instskip(NEXT) | instid1(VALU_DEP_2)
	v_add_nc_u32_e32 v162, v162, v165
	v_xor_b32_e32 v164, 1, v164
	s_delay_alu instid0(VALU_DEP_2) | instskip(NEXT) | instid1(VALU_DEP_1)
	v_and_b32_e32 v133, 0x1fffff, v162
	v_add_nc_u32_e32 v162, v133, v165
                                        ; implicit-def: $vgpr133
	s_delay_alu instid0(VALU_DEP_3)
	v_cmpx_ne_u32_e64 v163, v164
	s_xor_b32 s14, exec_lo, s14
; %bb.1781:                             ;   in Loop: Header=BB2_1345 Depth=4
	s_delay_alu instid0(VALU_DEP_2) | instskip(SKIP_2) | instid1(VALU_DEP_2)
	v_cmp_lt_u32_e32 vcc_lo, 0xffffff, v162
	v_sub_nc_u32_e32 v133, v163, v164
	v_cndmask_b32_e64 v163, 0, 1, vcc_lo
	v_add_co_ci_u32_e32 v133, vcc_lo, 0, v133, vcc_lo
	s_delay_alu instid0(VALU_DEP_2)
	v_lshrrev_b32_e32 v162, v163, v162
; %bb.1782:                             ;   in Loop: Header=BB2_1345 Depth=4
	s_and_not1_saveexec_b32 s14, s14
; %bb.1783:                             ;   in Loop: Header=BB2_1345 Depth=4
	s_delay_alu instid0(VALU_DEP_1)
	v_bfe_u32 v133, v162, 23, 1
; %bb.1784:                             ;   in Loop: Header=BB2_1345 Depth=4
	s_or_b32 exec_lo, exec_lo, s14
	v_lshrrev_b32_e32 v162, 21, v162
	s_delay_alu instid0(VALU_DEP_2) | instskip(SKIP_2) | instid1(VALU_DEP_2)
	v_cmp_gt_i32_e32 vcc_lo, 32, v133
	v_min_i32_e32 v163, 31, v133
	v_lshrrev_b32_e32 v145, 24, v145
	v_dual_cndmask_b32 v162, 3, v162 :: v_dual_lshlrev_b32 v163, 2, v163
	s_delay_alu instid0(VALU_DEP_2) | instskip(NEXT) | instid1(VALU_DEP_2)
	v_and_b32_e32 v145, 0x80, v145
	v_or_b32_e32 v133, v133, v162
	s_delay_alu instid0(VALU_DEP_3) | instskip(NEXT) | instid1(VALU_DEP_2)
	v_and_b32_e32 v163, 0xfc, v163
	v_cmp_ne_u32_e32 vcc_lo, 0, v133
	v_and_b32_e32 v164, 3, v162
	s_delay_alu instid0(VALU_DEP_1) | instskip(NEXT) | instid1(VALU_DEP_1)
	v_or3_b32 v145, v163, v145, v164
	v_cndmask_b32_e32 v133, 0, v145, vcc_lo
.LBB2_1785:                             ;   in Loop: Header=BB2_1345 Depth=4
	s_or_b32 exec_lo, exec_lo, s36
.LBB2_1786:                             ;   in Loop: Header=BB2_1345 Depth=4
	s_delay_alu instid0(SALU_CYCLE_1) | instskip(SKIP_3) | instid1(VALU_DEP_1)
	s_or_b32 exec_lo, exec_lo, s35
	v_lshrrev_b32_e32 v162, 24, v135
	s_mov_b32 s14, 0
	s_mov_b32 s36, exec_lo
                                        ; implicit-def: $sgpr35
	v_cmpx_lt_i16_e64 0x7f, v162
	s_xor_b32 s36, exec_lo, s36
	s_cbranch_execnz .LBB2_1984
; %bb.1787:                             ;   in Loop: Header=BB2_1345 Depth=4
	s_or_saveexec_b32 s36, s36
	v_mov_b32_e32 v145, s35
	s_xor_b32 exec_lo, exec_lo, s36
	s_cbranch_execnz .LBB2_1987
.LBB2_1788:                             ;   in Loop: Header=BB2_1345 Depth=4
	s_or_b32 exec_lo, exec_lo, s36
	s_and_saveexec_b32 s35, s14
	s_cbranch_execz .LBB2_1790
.LBB2_1789:                             ;   in Loop: Header=BB2_1345 Depth=4
	v_bfe_u32 v145, v135, 24, 2
	s_delay_alu instid0(VALU_DEP_1) | instskip(NEXT) | instid1(VALU_DEP_1)
	v_clz_i32_u32_e32 v163, v145
	v_min_u32_e32 v163, 32, v163
	s_delay_alu instid0(VALU_DEP_1) | instskip(SKIP_1) | instid1(VALU_DEP_2)
	v_subrev_nc_u32_e32 v164, 29, v163
	v_sub_nc_u32_e32 v163, 30, v163
	v_lshlrev_b32_e32 v162, v164, v162
	v_bfe_u32 v164, v135, 26, 5
	v_and_b32_e32 v135, 0x80000000, v135
	s_delay_alu instid0(VALU_DEP_2) | instskip(NEXT) | instid1(VALU_DEP_4)
	v_cmp_eq_u32_e32 vcc_lo, 0, v164
	v_dual_cndmask_b32 v163, v164, v163 :: v_dual_and_b32 v162, 3, v162
	s_delay_alu instid0(VALU_DEP_1) | instskip(NEXT) | instid1(VALU_DEP_2)
	v_cndmask_b32_e32 v145, v145, v162, vcc_lo
	v_lshl_add_u32 v162, v163, 23, 0x37800000
	s_delay_alu instid0(VALU_DEP_2) | instskip(NEXT) | instid1(VALU_DEP_1)
	v_lshlrev_b32_e32 v145, 21, v145
	v_or3_b32 v145, v135, v162, v145
.LBB2_1790:                             ;   in Loop: Header=BB2_1345 Depth=4
	s_or_b32 exec_lo, exec_lo, s35
	v_lshrrev_b32_e32 v135, 24, v11
	s_mov_b32 s14, 0
	s_mov_b32 s36, exec_lo
                                        ; implicit-def: $sgpr35
	s_delay_alu instid0(VALU_DEP_1)
	v_cmpx_lt_i16_e64 0x7f, v135
	s_xor_b32 s36, exec_lo, s36
	s_cbranch_execnz .LBB2_1988
; %bb.1791:                             ;   in Loop: Header=BB2_1345 Depth=4
	s_or_saveexec_b32 s36, s36
	v_mov_b32_e32 v162, s35
	s_xor_b32 exec_lo, exec_lo, s36
	s_cbranch_execnz .LBB2_1991
.LBB2_1792:                             ;   in Loop: Header=BB2_1345 Depth=4
	s_or_b32 exec_lo, exec_lo, s36
	s_and_saveexec_b32 s35, s14
	s_cbranch_execz .LBB2_1794
.LBB2_1793:                             ;   in Loop: Header=BB2_1345 Depth=4
	v_bfe_u32 v162, v11, 24, 2
	s_delay_alu instid0(VALU_DEP_1) | instskip(NEXT) | instid1(VALU_DEP_1)
	v_clz_i32_u32_e32 v163, v162
	v_min_u32_e32 v163, 32, v163
	s_delay_alu instid0(VALU_DEP_1) | instskip(SKIP_1) | instid1(VALU_DEP_2)
	v_subrev_nc_u32_e32 v164, 29, v163
	v_sub_nc_u32_e32 v163, 30, v163
	v_lshlrev_b32_e32 v135, v164, v135
	v_bfe_u32 v164, v11, 26, 5
	v_and_b32_e32 v11, 0x80000000, v11
	s_delay_alu instid0(VALU_DEP_3) | instskip(NEXT) | instid1(VALU_DEP_3)
	v_and_b32_e32 v135, 3, v135
	v_cmp_eq_u32_e32 vcc_lo, 0, v164
	v_cndmask_b32_e32 v163, v164, v163, vcc_lo
	s_delay_alu instid0(VALU_DEP_3) | instskip(NEXT) | instid1(VALU_DEP_2)
	v_cndmask_b32_e32 v135, v162, v135, vcc_lo
	v_lshl_add_u32 v162, v163, 23, 0x37800000
	s_delay_alu instid0(VALU_DEP_2) | instskip(NEXT) | instid1(VALU_DEP_1)
	v_lshlrev_b32_e32 v135, 21, v135
	v_or3_b32 v162, v11, v162, v135
.LBB2_1794:                             ;   in Loop: Header=BB2_1345 Depth=4
	s_or_b32 exec_lo, exec_lo, s35
	s_delay_alu instid0(VALU_DEP_1) | instskip(NEXT) | instid1(VALU_DEP_1)
	v_add_f32_e32 v11, v145, v162
	v_and_b32_e32 v135, 0x7f800000, v11
	s_delay_alu instid0(VALU_DEP_1)
	v_cmp_ne_u32_e32 vcc_lo, 0x7f800000, v135
	v_mov_b32_e32 v135, 0x8000
	s_and_saveexec_b32 s35, vcc_lo
	s_cbranch_execz .LBB2_1344
; %bb.1795:                             ;   in Loop: Header=BB2_1345 Depth=4
	v_mov_b32_e32 v135, 0
	s_mov_b32 s36, exec_lo
	v_cmpx_ne_u32_e32 0, v11
	s_cbranch_execz .LBB2_1343
; %bb.1796:                             ;   in Loop: Header=BB2_1345 Depth=4
	v_bfe_u32 v135, v11, 23, 8
	s_delay_alu instid0(VALU_DEP_1) | instskip(SKIP_1) | instid1(VALU_DEP_2)
	v_sub_nc_u32_e32 v162, 0x70, v135
	v_cmp_gt_u32_e32 vcc_lo, 0x71, v135
	v_dual_cndmask_b32 v162, 0, v162 :: v_dual_and_b32 v145, 0x7fffff, v11
	s_delay_alu instid0(VALU_DEP_1) | instskip(SKIP_2) | instid1(VALU_DEP_4)
	v_or_b32_e32 v163, 0x800000, v145
	v_cmp_eq_u32_e32 vcc_lo, 0, v135
	v_add_nc_u32_e32 v135, 0xffffff91, v135
	v_cndmask_b32_e64 v162, v162, 0x6f, vcc_lo
	s_delay_alu instid0(VALU_DEP_2) | instskip(SKIP_1) | instid1(VALU_DEP_3)
	v_cndmask_b32_e64 v135, v135, 0xffffff92, vcc_lo
	v_cndmask_b32_e32 v145, v163, v145, vcc_lo
	v_lshl_add_u32 v163, 0x200000, v162, -1
	v_lshlrev_b32_e64 v166, v162, 0x100000
	s_delay_alu instid0(VALU_DEP_3) | instskip(SKIP_1) | instid1(VALU_DEP_4)
	v_lshrrev_b32_e32 v164, v162, v145
	v_add_nc_u32_e32 v162, v162, v135
	v_and_b32_e32 v145, v163, v145
	s_delay_alu instid0(VALU_DEP_3) | instskip(NEXT) | instid1(VALU_DEP_2)
	v_bfe_u32 v165, v164, 21, 1
	v_cmp_eq_u32_e64 s14, v145, v166
	s_delay_alu instid0(VALU_DEP_2) | instskip(NEXT) | instid1(VALU_DEP_1)
	v_add_nc_u32_e32 v163, -1, v165
	v_cndmask_b32_e64 v145, 0, v163, s14
	v_lshrrev_b32_e32 v163, 23, v164
	s_mov_b32 s14, exec_lo
	s_delay_alu instid0(VALU_DEP_2) | instskip(NEXT) | instid1(VALU_DEP_2)
	v_add_nc_u32_e32 v145, v145, v164
	v_xor_b32_e32 v163, 1, v163
	s_delay_alu instid0(VALU_DEP_2) | instskip(NEXT) | instid1(VALU_DEP_1)
	v_and_b32_e32 v135, 0x1fffff, v145
	v_add_nc_u32_e32 v145, v135, v164
                                        ; implicit-def: $vgpr135
	s_delay_alu instid0(VALU_DEP_3)
	v_cmpx_ne_u32_e64 v162, v163
	s_xor_b32 s14, exec_lo, s14
; %bb.1797:                             ;   in Loop: Header=BB2_1345 Depth=4
	s_delay_alu instid0(VALU_DEP_2) | instskip(SKIP_2) | instid1(VALU_DEP_2)
	v_cmp_lt_u32_e32 vcc_lo, 0xffffff, v145
	v_sub_nc_u32_e32 v135, v162, v163
	v_cndmask_b32_e64 v162, 0, 1, vcc_lo
	v_add_co_ci_u32_e32 v135, vcc_lo, 0, v135, vcc_lo
	s_delay_alu instid0(VALU_DEP_2)
	v_lshrrev_b32_e32 v145, v162, v145
; %bb.1798:                             ;   in Loop: Header=BB2_1345 Depth=4
	s_and_not1_saveexec_b32 s14, s14
	s_cbranch_execz .LBB2_1342
; %bb.1799:                             ;   in Loop: Header=BB2_1345 Depth=4
	s_delay_alu instid0(VALU_DEP_1)
	v_bfe_u32 v135, v145, 23, 1
	s_branch .LBB2_1342
.LBB2_1800:                             ;   in Loop: Header=BB2_1345 Depth=4
	s_mov_b32 s14, -1
	s_mov_b32 s38, exec_lo
                                        ; implicit-def: $sgpr36
	v_cmpx_eq_u16_e64 0x80, v133
; %bb.1801:                             ;   in Loop: Header=BB2_1345 Depth=4
	s_mov_b32 s36, 0x7f800001
	s_xor_b32 s14, exec_lo, -1
; %bb.1802:                             ;   in Loop: Header=BB2_1345 Depth=4
	s_or_b32 exec_lo, exec_lo, s38
	s_delay_alu instid0(SALU_CYCLE_1)
	s_and_b32 s14, s14, exec_lo
                                        ; implicit-def: $vgpr133
	s_or_saveexec_b32 s37, s37
	v_mov_b32_e32 v132, s36
	s_xor_b32 exec_lo, exec_lo, s37
	s_cbranch_execz .LBB2_1356
.LBB2_1803:                             ;   in Loop: Header=BB2_1345 Depth=4
	v_cmp_ne_u16_e64 vcc_lo, 0, v133
	v_mov_b32_e32 v132, 0
	s_and_not1_b32 s14, s14, exec_lo
	s_delay_alu instid0(VALU_DEP_2) | instskip(NEXT) | instid1(SALU_CYCLE_1)
	s_and_b32 vcc_lo, vcc_lo, exec_lo
	s_or_b32 s14, s14, vcc_lo
	s_or_b32 exec_lo, exec_lo, s37
	s_and_saveexec_b32 s36, s14
	s_cbranch_execnz .LBB2_1357
	s_branch .LBB2_1358
.LBB2_1804:                             ;   in Loop: Header=BB2_1345 Depth=4
	s_mov_b32 s14, -1
	s_mov_b32 s38, exec_lo
                                        ; implicit-def: $sgpr36
	v_cmpx_eq_u16_e64 0x80, v133
; %bb.1805:                             ;   in Loop: Header=BB2_1345 Depth=4
	s_mov_b32 s36, 0x7f800001
	s_xor_b32 s14, exec_lo, -1
; %bb.1806:                             ;   in Loop: Header=BB2_1345 Depth=4
	s_or_b32 exec_lo, exec_lo, s38
	s_delay_alu instid0(SALU_CYCLE_1)
	s_and_b32 s14, s14, exec_lo
	s_or_saveexec_b32 s37, s37
	v_mov_b32_e32 v134, s36
	s_xor_b32 exec_lo, exec_lo, s37
	s_cbranch_execz .LBB2_1368
.LBB2_1807:                             ;   in Loop: Header=BB2_1345 Depth=4
	v_cmp_ne_u16_e64 vcc_lo, 0, v133
	v_mov_b32_e32 v134, 0
	s_and_not1_b32 s14, s14, exec_lo
	s_delay_alu instid0(VALU_DEP_2) | instskip(NEXT) | instid1(SALU_CYCLE_1)
	s_and_b32 vcc_lo, vcc_lo, exec_lo
	s_or_b32 s14, s14, vcc_lo
	s_or_b32 exec_lo, exec_lo, s37
	s_and_saveexec_b32 s36, s14
	s_cbranch_execnz .LBB2_1369
	s_branch .LBB2_1370
.LBB2_1808:                             ;   in Loop: Header=BB2_1345 Depth=4
	s_mov_b32 s14, -1
	s_mov_b32 s38, exec_lo
                                        ; implicit-def: $sgpr36
	v_cmpx_eq_u16_e64 0x80, v135
; %bb.1809:                             ;   in Loop: Header=BB2_1345 Depth=4
	s_mov_b32 s36, 0x7f800001
	s_xor_b32 s14, exec_lo, -1
; %bb.1810:                             ;   in Loop: Header=BB2_1345 Depth=4
	s_or_b32 exec_lo, exec_lo, s38
	s_delay_alu instid0(SALU_CYCLE_1)
	s_and_b32 s14, s14, exec_lo
                                        ; implicit-def: $vgpr135
	s_or_saveexec_b32 s37, s37
	v_mov_b32_e32 v134, s36
	s_xor_b32 exec_lo, exec_lo, s37
	s_cbranch_execz .LBB2_1380
.LBB2_1811:                             ;   in Loop: Header=BB2_1345 Depth=4
	v_cmp_ne_u16_e64 vcc_lo, 0, v135
	v_mov_b32_e32 v134, 0
	s_and_not1_b32 s14, s14, exec_lo
	s_delay_alu instid0(VALU_DEP_2) | instskip(NEXT) | instid1(SALU_CYCLE_1)
	s_and_b32 vcc_lo, vcc_lo, exec_lo
	s_or_b32 s14, s14, vcc_lo
	s_or_b32 exec_lo, exec_lo, s37
	s_and_saveexec_b32 s36, s14
	s_cbranch_execnz .LBB2_1381
	s_branch .LBB2_1382
.LBB2_1812:                             ;   in Loop: Header=BB2_1345 Depth=4
	s_mov_b32 s14, -1
	s_mov_b32 s38, exec_lo
                                        ; implicit-def: $sgpr36
	v_cmpx_eq_u16_e64 0x80, v133
; %bb.1813:                             ;   in Loop: Header=BB2_1345 Depth=4
	s_mov_b32 s36, 0x7f800001
	s_xor_b32 s14, exec_lo, -1
; %bb.1814:                             ;   in Loop: Header=BB2_1345 Depth=4
	s_or_b32 exec_lo, exec_lo, s38
	s_delay_alu instid0(SALU_CYCLE_1)
	s_and_b32 s14, s14, exec_lo
	s_or_saveexec_b32 s37, s37
	v_mov_b32_e32 v134, s36
	s_xor_b32 exec_lo, exec_lo, s37
	s_cbranch_execz .LBB2_1392
.LBB2_1815:                             ;   in Loop: Header=BB2_1345 Depth=4
	v_cmp_ne_u16_e64 vcc_lo, 0, v133
	v_mov_b32_e32 v134, 0
	s_and_not1_b32 s14, s14, exec_lo
	s_delay_alu instid0(VALU_DEP_2) | instskip(NEXT) | instid1(SALU_CYCLE_1)
	s_and_b32 vcc_lo, vcc_lo, exec_lo
	s_or_b32 s14, s14, vcc_lo
	s_or_b32 exec_lo, exec_lo, s37
	s_and_saveexec_b32 s36, s14
	s_cbranch_execnz .LBB2_1393
	s_branch .LBB2_1394
.LBB2_1816:                             ;   in Loop: Header=BB2_1345 Depth=4
	s_mov_b32 s14, -1
	s_mov_b32 s38, exec_lo
                                        ; implicit-def: $sgpr36
	v_cmpx_eq_u16_e64 0x80, v133
; %bb.1817:                             ;   in Loop: Header=BB2_1345 Depth=4
	s_mov_b32 s36, 0x7f800001
	s_xor_b32 s14, exec_lo, -1
; %bb.1818:                             ;   in Loop: Header=BB2_1345 Depth=4
	s_or_b32 exec_lo, exec_lo, s38
	s_delay_alu instid0(SALU_CYCLE_1)
	s_and_b32 s14, s14, exec_lo
                                        ; implicit-def: $vgpr133
	s_or_saveexec_b32 s37, s37
	v_mov_b32_e32 v8, s36
	s_xor_b32 exec_lo, exec_lo, s37
	s_cbranch_execz .LBB2_1404
.LBB2_1819:                             ;   in Loop: Header=BB2_1345 Depth=4
	v_cmp_ne_u16_e64 vcc_lo, 0, v133
	v_mov_b32_e32 v8, 0
	s_and_not1_b32 s14, s14, exec_lo
	s_delay_alu instid0(VALU_DEP_2) | instskip(NEXT) | instid1(SALU_CYCLE_1)
	s_and_b32 vcc_lo, vcc_lo, exec_lo
	s_or_b32 s14, s14, vcc_lo
	s_or_b32 exec_lo, exec_lo, s37
	s_and_saveexec_b32 s36, s14
	s_cbranch_execnz .LBB2_1405
	s_branch .LBB2_1406
.LBB2_1820:                             ;   in Loop: Header=BB2_1345 Depth=4
	s_mov_b32 s14, -1
	s_mov_b32 s38, exec_lo
                                        ; implicit-def: $sgpr36
	v_cmpx_eq_u16_e32 0x80, v8
; %bb.1821:                             ;   in Loop: Header=BB2_1345 Depth=4
	s_mov_b32 s36, 0x7f800001
	s_xor_b32 s14, exec_lo, -1
; %bb.1822:                             ;   in Loop: Header=BB2_1345 Depth=4
	s_or_b32 exec_lo, exec_lo, s38
	s_delay_alu instid0(SALU_CYCLE_1)
	s_and_b32 s14, s14, exec_lo
	s_or_saveexec_b32 s37, s37
	v_mov_b32_e32 v133, s36
	s_xor_b32 exec_lo, exec_lo, s37
	s_cbranch_execz .LBB2_1416
.LBB2_1823:                             ;   in Loop: Header=BB2_1345 Depth=4
	v_cmp_ne_u16_e32 vcc_lo, 0, v8
	v_mov_b32_e32 v133, 0
	s_and_not1_b32 s14, s14, exec_lo
	s_and_b32 vcc_lo, vcc_lo, exec_lo
	s_delay_alu instid0(SALU_CYCLE_1)
	s_or_b32 s14, s14, vcc_lo
	s_or_b32 exec_lo, exec_lo, s37
	s_and_saveexec_b32 s36, s14
	s_cbranch_execnz .LBB2_1417
	s_branch .LBB2_1418
.LBB2_1824:                             ;   in Loop: Header=BB2_1345 Depth=4
	s_mov_b32 s14, -1
	s_mov_b32 s38, exec_lo
                                        ; implicit-def: $sgpr36
	v_cmpx_eq_u16_e64 0x80, v134
; %bb.1825:                             ;   in Loop: Header=BB2_1345 Depth=4
	s_mov_b32 s36, 0x7f800001
	s_xor_b32 s14, exec_lo, -1
; %bb.1826:                             ;   in Loop: Header=BB2_1345 Depth=4
	s_or_b32 exec_lo, exec_lo, s38
	s_delay_alu instid0(SALU_CYCLE_1)
	s_and_b32 s14, s14, exec_lo
                                        ; implicit-def: $vgpr134
	s_or_saveexec_b32 s37, s37
	v_mov_b32_e32 v133, s36
	s_xor_b32 exec_lo, exec_lo, s37
	s_cbranch_execz .LBB2_1428
.LBB2_1827:                             ;   in Loop: Header=BB2_1345 Depth=4
	v_cmp_ne_u16_e64 vcc_lo, 0, v134
	v_mov_b32_e32 v133, 0
	s_and_not1_b32 s14, s14, exec_lo
	s_delay_alu instid0(VALU_DEP_2) | instskip(NEXT) | instid1(SALU_CYCLE_1)
	s_and_b32 vcc_lo, vcc_lo, exec_lo
	s_or_b32 s14, s14, vcc_lo
	s_or_b32 exec_lo, exec_lo, s37
	s_and_saveexec_b32 s36, s14
	s_cbranch_execnz .LBB2_1429
	s_branch .LBB2_1430
.LBB2_1828:                             ;   in Loop: Header=BB2_1345 Depth=4
	s_mov_b32 s14, -1
	s_mov_b32 s38, exec_lo
                                        ; implicit-def: $sgpr36
	v_cmpx_eq_u16_e32 0x80, v8
; %bb.1829:                             ;   in Loop: Header=BB2_1345 Depth=4
	s_mov_b32 s36, 0x7f800001
	s_xor_b32 s14, exec_lo, -1
; %bb.1830:                             ;   in Loop: Header=BB2_1345 Depth=4
	s_or_b32 exec_lo, exec_lo, s38
	s_delay_alu instid0(SALU_CYCLE_1)
	s_and_b32 s14, s14, exec_lo
	s_or_saveexec_b32 s37, s37
	v_mov_b32_e32 v133, s36
	s_xor_b32 exec_lo, exec_lo, s37
	s_cbranch_execz .LBB2_1440
.LBB2_1831:                             ;   in Loop: Header=BB2_1345 Depth=4
	v_cmp_ne_u16_e32 vcc_lo, 0, v8
	v_mov_b32_e32 v133, 0
	s_and_not1_b32 s14, s14, exec_lo
	s_and_b32 vcc_lo, vcc_lo, exec_lo
	s_delay_alu instid0(SALU_CYCLE_1)
	s_or_b32 s14, s14, vcc_lo
	s_or_b32 exec_lo, exec_lo, s37
	s_and_saveexec_b32 s36, s14
	s_cbranch_execnz .LBB2_1441
	s_branch .LBB2_1442
.LBB2_1832:                             ;   in Loop: Header=BB2_1345 Depth=4
	s_mov_b32 s14, -1
	s_mov_b32 s38, exec_lo
                                        ; implicit-def: $sgpr36
	v_cmpx_eq_u16_e32 0x80, v9
; %bb.1833:                             ;   in Loop: Header=BB2_1345 Depth=4
	s_mov_b32 s36, 0x7f800001
	s_xor_b32 s14, exec_lo, -1
; %bb.1834:                             ;   in Loop: Header=BB2_1345 Depth=4
	s_or_b32 exec_lo, exec_lo, s38
	s_delay_alu instid0(SALU_CYCLE_1)
	s_and_b32 s14, s14, exec_lo
                                        ; implicit-def: $vgpr9
	s_or_saveexec_b32 s37, s37
	v_mov_b32_e32 v8, s36
	s_xor_b32 exec_lo, exec_lo, s37
	s_cbranch_execz .LBB2_1452
.LBB2_1835:                             ;   in Loop: Header=BB2_1345 Depth=4
	v_cmp_ne_u16_e32 vcc_lo, 0, v9
	v_mov_b32_e32 v8, 0
	s_and_not1_b32 s14, s14, exec_lo
	s_and_b32 vcc_lo, vcc_lo, exec_lo
	s_delay_alu instid0(SALU_CYCLE_1)
	s_or_b32 s14, s14, vcc_lo
	s_or_b32 exec_lo, exec_lo, s37
	s_and_saveexec_b32 s36, s14
	s_cbranch_execnz .LBB2_1453
	s_branch .LBB2_1454
.LBB2_1836:                             ;   in Loop: Header=BB2_1345 Depth=4
	s_mov_b32 s14, -1
	s_mov_b32 s38, exec_lo
                                        ; implicit-def: $sgpr36
	v_cmpx_eq_u16_e32 0x80, v8
; %bb.1837:                             ;   in Loop: Header=BB2_1345 Depth=4
	s_mov_b32 s36, 0x7f800001
	s_xor_b32 s14, exec_lo, -1
; %bb.1838:                             ;   in Loop: Header=BB2_1345 Depth=4
	s_or_b32 exec_lo, exec_lo, s38
	s_delay_alu instid0(SALU_CYCLE_1)
	s_and_b32 s14, s14, exec_lo
	s_or_saveexec_b32 s37, s37
	v_mov_b32_e32 v9, s36
	s_xor_b32 exec_lo, exec_lo, s37
	s_cbranch_execz .LBB2_1464
.LBB2_1839:                             ;   in Loop: Header=BB2_1345 Depth=4
	v_cmp_ne_u16_e32 vcc_lo, 0, v8
	v_mov_b32_e32 v9, 0
	s_and_not1_b32 s14, s14, exec_lo
	s_and_b32 vcc_lo, vcc_lo, exec_lo
	s_delay_alu instid0(SALU_CYCLE_1)
	s_or_b32 s14, s14, vcc_lo
	s_or_b32 exec_lo, exec_lo, s37
	s_and_saveexec_b32 s36, s14
	s_cbranch_execnz .LBB2_1465
	s_branch .LBB2_1466
.LBB2_1840:                             ;   in Loop: Header=BB2_1345 Depth=4
	s_mov_b32 s14, -1
	s_mov_b32 s38, exec_lo
                                        ; implicit-def: $sgpr36
	v_cmpx_eq_u16_e64 0x80, v133
; %bb.1841:                             ;   in Loop: Header=BB2_1345 Depth=4
	s_mov_b32 s36, 0x7f800001
	s_xor_b32 s14, exec_lo, -1
; %bb.1842:                             ;   in Loop: Header=BB2_1345 Depth=4
	s_or_b32 exec_lo, exec_lo, s38
	s_delay_alu instid0(SALU_CYCLE_1)
	s_and_b32 s14, s14, exec_lo
                                        ; implicit-def: $vgpr133
	s_or_saveexec_b32 s37, s37
	v_mov_b32_e32 v9, s36
	s_xor_b32 exec_lo, exec_lo, s37
	s_cbranch_execz .LBB2_1476
.LBB2_1843:                             ;   in Loop: Header=BB2_1345 Depth=4
	v_cmp_ne_u16_e64 vcc_lo, 0, v133
	v_mov_b32_e32 v9, 0
	s_and_not1_b32 s14, s14, exec_lo
	s_delay_alu instid0(VALU_DEP_2) | instskip(NEXT) | instid1(SALU_CYCLE_1)
	s_and_b32 vcc_lo, vcc_lo, exec_lo
	s_or_b32 s14, s14, vcc_lo
	s_or_b32 exec_lo, exec_lo, s37
	s_and_saveexec_b32 s36, s14
	s_cbranch_execnz .LBB2_1477
	s_branch .LBB2_1478
.LBB2_1844:                             ;   in Loop: Header=BB2_1345 Depth=4
	s_mov_b32 s14, -1
	s_mov_b32 s38, exec_lo
                                        ; implicit-def: $sgpr36
	v_cmpx_eq_u16_e32 0x80, v8
; %bb.1845:                             ;   in Loop: Header=BB2_1345 Depth=4
	s_mov_b32 s36, 0x7f800001
	s_xor_b32 s14, exec_lo, -1
; %bb.1846:                             ;   in Loop: Header=BB2_1345 Depth=4
	s_or_b32 exec_lo, exec_lo, s38
	s_delay_alu instid0(SALU_CYCLE_1)
	s_and_b32 s14, s14, exec_lo
	s_or_saveexec_b32 s37, s37
	v_mov_b32_e32 v9, s36
	s_xor_b32 exec_lo, exec_lo, s37
	s_cbranch_execz .LBB2_1488
.LBB2_1847:                             ;   in Loop: Header=BB2_1345 Depth=4
	v_cmp_ne_u16_e32 vcc_lo, 0, v8
	v_mov_b32_e32 v9, 0
	s_and_not1_b32 s14, s14, exec_lo
	s_and_b32 vcc_lo, vcc_lo, exec_lo
	s_delay_alu instid0(SALU_CYCLE_1)
	s_or_b32 s14, s14, vcc_lo
	s_or_b32 exec_lo, exec_lo, s37
	s_and_saveexec_b32 s36, s14
	s_cbranch_execnz .LBB2_1489
	s_branch .LBB2_1490
.LBB2_1848:                             ;   in Loop: Header=BB2_1345 Depth=4
	s_mov_b32 s14, -1
	s_mov_b32 s38, exec_lo
                                        ; implicit-def: $sgpr36
	v_cmpx_eq_u16_e32 0x80, v9
; %bb.1849:                             ;   in Loop: Header=BB2_1345 Depth=4
	s_mov_b32 s36, 0x7f800001
	s_xor_b32 s14, exec_lo, -1
; %bb.1850:                             ;   in Loop: Header=BB2_1345 Depth=4
	s_or_b32 exec_lo, exec_lo, s38
	s_delay_alu instid0(SALU_CYCLE_1)
	s_and_b32 s14, s14, exec_lo
                                        ; implicit-def: $vgpr9
	s_or_saveexec_b32 s37, s37
	v_mov_b32_e32 v8, s36
	s_xor_b32 exec_lo, exec_lo, s37
	s_cbranch_execz .LBB2_1500
.LBB2_1851:                             ;   in Loop: Header=BB2_1345 Depth=4
	v_cmp_ne_u16_e32 vcc_lo, 0, v9
	v_mov_b32_e32 v8, 0
	s_and_not1_b32 s14, s14, exec_lo
	s_and_b32 vcc_lo, vcc_lo, exec_lo
	s_delay_alu instid0(SALU_CYCLE_1)
	s_or_b32 s14, s14, vcc_lo
	s_or_b32 exec_lo, exec_lo, s37
	s_and_saveexec_b32 s36, s14
	s_cbranch_execnz .LBB2_1501
	s_branch .LBB2_1502
.LBB2_1852:                             ;   in Loop: Header=BB2_1345 Depth=4
	s_mov_b32 s14, -1
	s_mov_b32 s38, exec_lo
                                        ; implicit-def: $sgpr36
	v_cmpx_eq_u16_e32 0x80, v8
; %bb.1853:                             ;   in Loop: Header=BB2_1345 Depth=4
	s_mov_b32 s36, 0x7f800001
	s_xor_b32 s14, exec_lo, -1
; %bb.1854:                             ;   in Loop: Header=BB2_1345 Depth=4
	s_or_b32 exec_lo, exec_lo, s38
	s_delay_alu instid0(SALU_CYCLE_1)
	s_and_b32 s14, s14, exec_lo
	s_or_saveexec_b32 s37, s37
	v_mov_b32_e32 v9, s36
	s_xor_b32 exec_lo, exec_lo, s37
	s_cbranch_execz .LBB2_1512
.LBB2_1855:                             ;   in Loop: Header=BB2_1345 Depth=4
	v_cmp_ne_u16_e32 vcc_lo, 0, v8
	v_mov_b32_e32 v9, 0
	s_and_not1_b32 s14, s14, exec_lo
	s_and_b32 vcc_lo, vcc_lo, exec_lo
	s_delay_alu instid0(SALU_CYCLE_1)
	s_or_b32 s14, s14, vcc_lo
	s_or_b32 exec_lo, exec_lo, s37
	s_and_saveexec_b32 s36, s14
	s_cbranch_execnz .LBB2_1513
	s_branch .LBB2_1514
.LBB2_1856:                             ;   in Loop: Header=BB2_1345 Depth=4
	s_mov_b32 s14, -1
	s_mov_b32 s38, exec_lo
                                        ; implicit-def: $sgpr36
	v_cmpx_eq_u16_e32 0x80, v10
; %bb.1857:                             ;   in Loop: Header=BB2_1345 Depth=4
	s_mov_b32 s36, 0x7f800001
	s_xor_b32 s14, exec_lo, -1
; %bb.1858:                             ;   in Loop: Header=BB2_1345 Depth=4
	s_or_b32 exec_lo, exec_lo, s38
	s_delay_alu instid0(SALU_CYCLE_1)
	s_and_b32 s14, s14, exec_lo
                                        ; implicit-def: $vgpr10
	s_or_saveexec_b32 s37, s37
	v_mov_b32_e32 v9, s36
	s_xor_b32 exec_lo, exec_lo, s37
	s_cbranch_execz .LBB2_1524
.LBB2_1859:                             ;   in Loop: Header=BB2_1345 Depth=4
	v_cmp_ne_u16_e32 vcc_lo, 0, v10
	v_mov_b32_e32 v9, 0
	s_and_not1_b32 s14, s14, exec_lo
	s_and_b32 vcc_lo, vcc_lo, exec_lo
	s_delay_alu instid0(SALU_CYCLE_1)
	s_or_b32 s14, s14, vcc_lo
	s_or_b32 exec_lo, exec_lo, s37
	s_and_saveexec_b32 s36, s14
	s_cbranch_execnz .LBB2_1525
	s_branch .LBB2_1526
.LBB2_1860:                             ;   in Loop: Header=BB2_1345 Depth=4
	s_mov_b32 s14, -1
	s_mov_b32 s38, exec_lo
                                        ; implicit-def: $sgpr36
	v_cmpx_eq_u16_e32 0x80, v8
; %bb.1861:                             ;   in Loop: Header=BB2_1345 Depth=4
	s_mov_b32 s36, 0x7f800001
	s_xor_b32 s14, exec_lo, -1
; %bb.1862:                             ;   in Loop: Header=BB2_1345 Depth=4
	s_or_b32 exec_lo, exec_lo, s38
	s_delay_alu instid0(SALU_CYCLE_1)
	s_and_b32 s14, s14, exec_lo
	s_or_saveexec_b32 s37, s37
	v_mov_b32_e32 v9, s36
	s_xor_b32 exec_lo, exec_lo, s37
	s_cbranch_execz .LBB2_1536
.LBB2_1863:                             ;   in Loop: Header=BB2_1345 Depth=4
	v_cmp_ne_u16_e32 vcc_lo, 0, v8
	v_mov_b32_e32 v9, 0
	s_and_not1_b32 s14, s14, exec_lo
	s_and_b32 vcc_lo, vcc_lo, exec_lo
	s_delay_alu instid0(SALU_CYCLE_1)
	s_or_b32 s14, s14, vcc_lo
	s_or_b32 exec_lo, exec_lo, s37
	s_and_saveexec_b32 s36, s14
	s_cbranch_execnz .LBB2_1537
	s_branch .LBB2_1538
.LBB2_1864:                             ;   in Loop: Header=BB2_1345 Depth=4
	s_mov_b32 s14, -1
	s_mov_b32 s37, exec_lo
                                        ; implicit-def: $sgpr35
	v_cmpx_eq_u16_e64 0x80, v165
; %bb.1865:                             ;   in Loop: Header=BB2_1345 Depth=4
	s_mov_b32 s35, 0x7f800001
	s_xor_b32 s14, exec_lo, -1
; %bb.1866:                             ;   in Loop: Header=BB2_1345 Depth=4
	s_or_b32 exec_lo, exec_lo, s37
	s_delay_alu instid0(SALU_CYCLE_1)
	s_and_b32 s14, s14, exec_lo
                                        ; implicit-def: $vgpr165
	s_or_saveexec_b32 s36, s36
	v_mov_b32_e32 v164, s35
	s_xor_b32 exec_lo, exec_lo, s36
	s_cbranch_execz .LBB2_1548
.LBB2_1867:                             ;   in Loop: Header=BB2_1345 Depth=4
	v_cmp_ne_u16_e64 vcc_lo, 0, v165
	v_mov_b32_e32 v164, 0
	s_and_not1_b32 s14, s14, exec_lo
	s_delay_alu instid0(VALU_DEP_2) | instskip(NEXT) | instid1(SALU_CYCLE_1)
	s_and_b32 vcc_lo, vcc_lo, exec_lo
	s_or_b32 s14, s14, vcc_lo
	s_or_b32 exec_lo, exec_lo, s36
	s_and_saveexec_b32 s35, s14
	s_cbranch_execnz .LBB2_1549
	s_branch .LBB2_1550
.LBB2_1868:                             ;   in Loop: Header=BB2_1345 Depth=4
	s_mov_b32 s14, -1
	s_mov_b32 s37, exec_lo
                                        ; implicit-def: $sgpr35
	v_cmpx_eq_u16_e64 0x80, v165
; %bb.1869:                             ;   in Loop: Header=BB2_1345 Depth=4
	s_mov_b32 s35, 0x7f800001
	s_xor_b32 s14, exec_lo, -1
; %bb.1870:                             ;   in Loop: Header=BB2_1345 Depth=4
	s_or_b32 exec_lo, exec_lo, s37
	s_delay_alu instid0(SALU_CYCLE_1)
	s_and_b32 s14, s14, exec_lo
                                        ; implicit-def: $vgpr165
	s_or_saveexec_b32 s36, s36
	v_mov_b32_e32 v132, s35
	s_xor_b32 exec_lo, exec_lo, s36
	s_cbranch_execz .LBB2_1552
.LBB2_1871:                             ;   in Loop: Header=BB2_1345 Depth=4
	v_cmp_ne_u16_e64 vcc_lo, 0, v165
	v_mov_b32_e32 v132, 0
	s_and_not1_b32 s14, s14, exec_lo
	s_delay_alu instid0(VALU_DEP_2) | instskip(NEXT) | instid1(SALU_CYCLE_1)
	s_and_b32 vcc_lo, vcc_lo, exec_lo
	s_or_b32 s14, s14, vcc_lo
	s_or_b32 exec_lo, exec_lo, s36
	s_and_saveexec_b32 s35, s14
	s_cbranch_execnz .LBB2_1553
	s_branch .LBB2_1554
.LBB2_1872:                             ;   in Loop: Header=BB2_1345 Depth=4
	s_mov_b32 s14, -1
	s_mov_b32 s37, exec_lo
                                        ; implicit-def: $sgpr35
	v_cmpx_eq_u16_e64 0x80, v165
; %bb.1873:                             ;   in Loop: Header=BB2_1345 Depth=4
	s_mov_b32 s35, 0x7f800001
	s_xor_b32 s14, exec_lo, -1
; %bb.1874:                             ;   in Loop: Header=BB2_1345 Depth=4
	s_or_b32 exec_lo, exec_lo, s37
	s_delay_alu instid0(SALU_CYCLE_1)
	s_and_b32 s14, s14, exec_lo
                                        ; implicit-def: $vgpr165
	s_or_saveexec_b32 s36, s36
	v_mov_b32_e32 v164, s35
	s_xor_b32 exec_lo, exec_lo, s36
	s_cbranch_execz .LBB2_1564
.LBB2_1875:                             ;   in Loop: Header=BB2_1345 Depth=4
	v_cmp_ne_u16_e64 vcc_lo, 0, v165
	v_mov_b32_e32 v164, 0
	s_and_not1_b32 s14, s14, exec_lo
	s_delay_alu instid0(VALU_DEP_2) | instskip(NEXT) | instid1(SALU_CYCLE_1)
	s_and_b32 vcc_lo, vcc_lo, exec_lo
	s_or_b32 s14, s14, vcc_lo
	s_or_b32 exec_lo, exec_lo, s36
	s_and_saveexec_b32 s35, s14
	s_cbranch_execnz .LBB2_1565
	s_branch .LBB2_1566
.LBB2_1876:                             ;   in Loop: Header=BB2_1345 Depth=4
	s_mov_b32 s14, -1
	s_mov_b32 s37, exec_lo
                                        ; implicit-def: $sgpr35
	v_cmpx_eq_u16_e64 0x80, v144
; %bb.1877:                             ;   in Loop: Header=BB2_1345 Depth=4
	s_mov_b32 s35, 0x7f800001
	s_xor_b32 s14, exec_lo, -1
; %bb.1878:                             ;   in Loop: Header=BB2_1345 Depth=4
	s_or_b32 exec_lo, exec_lo, s37
	s_delay_alu instid0(SALU_CYCLE_1)
	s_and_b32 s14, s14, exec_lo
	s_or_saveexec_b32 s36, s36
	v_mov_b32_e32 v165, s35
	s_xor_b32 exec_lo, exec_lo, s36
	s_cbranch_execz .LBB2_1568
.LBB2_1879:                             ;   in Loop: Header=BB2_1345 Depth=4
	v_cmp_ne_u16_e64 vcc_lo, 0, v144
	v_mov_b32_e32 v165, 0
	s_and_not1_b32 s14, s14, exec_lo
	s_delay_alu instid0(VALU_DEP_2) | instskip(NEXT) | instid1(SALU_CYCLE_1)
	s_and_b32 vcc_lo, vcc_lo, exec_lo
	s_or_b32 s14, s14, vcc_lo
	s_or_b32 exec_lo, exec_lo, s36
	s_and_saveexec_b32 s35, s14
	s_cbranch_execnz .LBB2_1569
	s_branch .LBB2_1570
.LBB2_1880:                             ;   in Loop: Header=BB2_1345 Depth=4
	s_mov_b32 s14, -1
	s_mov_b32 s37, exec_lo
                                        ; implicit-def: $sgpr35
	v_cmpx_eq_u16_e64 0x80, v165
; %bb.1881:                             ;   in Loop: Header=BB2_1345 Depth=4
	s_mov_b32 s35, 0x7f800001
	s_xor_b32 s14, exec_lo, -1
; %bb.1882:                             ;   in Loop: Header=BB2_1345 Depth=4
	s_or_b32 exec_lo, exec_lo, s37
	s_delay_alu instid0(SALU_CYCLE_1)
	s_and_b32 s14, s14, exec_lo
                                        ; implicit-def: $vgpr165
	s_or_saveexec_b32 s36, s36
	v_mov_b32_e32 v164, s35
	s_xor_b32 exec_lo, exec_lo, s36
	s_cbranch_execz .LBB2_1580
.LBB2_1883:                             ;   in Loop: Header=BB2_1345 Depth=4
	v_cmp_ne_u16_e64 vcc_lo, 0, v165
	v_mov_b32_e32 v164, 0
	s_and_not1_b32 s14, s14, exec_lo
	s_delay_alu instid0(VALU_DEP_2) | instskip(NEXT) | instid1(SALU_CYCLE_1)
	s_and_b32 vcc_lo, vcc_lo, exec_lo
	s_or_b32 s14, s14, vcc_lo
	s_or_b32 exec_lo, exec_lo, s36
	s_and_saveexec_b32 s35, s14
	s_cbranch_execnz .LBB2_1581
	s_branch .LBB2_1582
.LBB2_1884:                             ;   in Loop: Header=BB2_1345 Depth=4
	s_mov_b32 s14, -1
	s_mov_b32 s37, exec_lo
                                        ; implicit-def: $sgpr35
	v_cmpx_eq_u16_e64 0x80, v166
; %bb.1885:                             ;   in Loop: Header=BB2_1345 Depth=4
	s_mov_b32 s35, 0x7f800001
	s_xor_b32 s14, exec_lo, -1
; %bb.1886:                             ;   in Loop: Header=BB2_1345 Depth=4
	s_or_b32 exec_lo, exec_lo, s37
	s_delay_alu instid0(SALU_CYCLE_1)
	s_and_b32 s14, s14, exec_lo
                                        ; implicit-def: $vgpr166
	s_or_saveexec_b32 s36, s36
	v_mov_b32_e32 v165, s35
	s_xor_b32 exec_lo, exec_lo, s36
	s_cbranch_execz .LBB2_1584
.LBB2_1887:                             ;   in Loop: Header=BB2_1345 Depth=4
	v_cmp_ne_u16_e64 vcc_lo, 0, v166
	v_mov_b32_e32 v165, 0
	s_and_not1_b32 s14, s14, exec_lo
	s_delay_alu instid0(VALU_DEP_2) | instskip(NEXT) | instid1(SALU_CYCLE_1)
	s_and_b32 vcc_lo, vcc_lo, exec_lo
	s_or_b32 s14, s14, vcc_lo
	s_or_b32 exec_lo, exec_lo, s36
	s_and_saveexec_b32 s35, s14
	s_cbranch_execnz .LBB2_1585
	s_branch .LBB2_1586
.LBB2_1888:                             ;   in Loop: Header=BB2_1345 Depth=4
	s_mov_b32 s14, -1
	s_mov_b32 s37, exec_lo
                                        ; implicit-def: $sgpr35
	v_cmpx_eq_u16_e64 0x80, v165
; %bb.1889:                             ;   in Loop: Header=BB2_1345 Depth=4
	s_mov_b32 s35, 0x7f800001
	s_xor_b32 s14, exec_lo, -1
; %bb.1890:                             ;   in Loop: Header=BB2_1345 Depth=4
	s_or_b32 exec_lo, exec_lo, s37
	s_delay_alu instid0(SALU_CYCLE_1)
	s_and_b32 s14, s14, exec_lo
	s_or_saveexec_b32 s36, s36
	v_mov_b32_e32 v164, s35
	s_xor_b32 exec_lo, exec_lo, s36
	s_cbranch_execz .LBB2_1596
.LBB2_1891:                             ;   in Loop: Header=BB2_1345 Depth=4
	v_cmp_ne_u16_e64 vcc_lo, 0, v165
	v_mov_b32_e32 v164, 0
	s_and_not1_b32 s14, s14, exec_lo
	s_delay_alu instid0(VALU_DEP_2) | instskip(NEXT) | instid1(SALU_CYCLE_1)
	s_and_b32 vcc_lo, vcc_lo, exec_lo
	s_or_b32 s14, s14, vcc_lo
	s_or_b32 exec_lo, exec_lo, s36
	s_and_saveexec_b32 s35, s14
	s_cbranch_execnz .LBB2_1597
	s_branch .LBB2_1598
.LBB2_1892:                             ;   in Loop: Header=BB2_1345 Depth=4
	s_mov_b32 s14, -1
	s_mov_b32 s37, exec_lo
                                        ; implicit-def: $sgpr35
	v_cmpx_eq_u16_e64 0x80, v161
; %bb.1893:                             ;   in Loop: Header=BB2_1345 Depth=4
	s_mov_b32 s35, 0x7f800001
	s_xor_b32 s14, exec_lo, -1
; %bb.1894:                             ;   in Loop: Header=BB2_1345 Depth=4
	s_or_b32 exec_lo, exec_lo, s37
	s_delay_alu instid0(SALU_CYCLE_1)
	s_and_b32 s14, s14, exec_lo
	s_or_saveexec_b32 s36, s36
	v_mov_b32_e32 v165, s35
	s_xor_b32 exec_lo, exec_lo, s36
	s_cbranch_execz .LBB2_1600
.LBB2_1895:                             ;   in Loop: Header=BB2_1345 Depth=4
	v_cmp_ne_u16_e64 vcc_lo, 0, v161
	v_mov_b32_e32 v165, 0
	s_and_not1_b32 s14, s14, exec_lo
	s_delay_alu instid0(VALU_DEP_2) | instskip(NEXT) | instid1(SALU_CYCLE_1)
	s_and_b32 vcc_lo, vcc_lo, exec_lo
	s_or_b32 s14, s14, vcc_lo
	s_or_b32 exec_lo, exec_lo, s36
	s_and_saveexec_b32 s35, s14
	s_cbranch_execnz .LBB2_1601
	s_branch .LBB2_1602
.LBB2_1896:                             ;   in Loop: Header=BB2_1345 Depth=4
	s_mov_b32 s14, -1
	s_mov_b32 s37, exec_lo
                                        ; implicit-def: $sgpr35
	v_cmpx_eq_u16_e64 0x80, v161
; %bb.1897:                             ;   in Loop: Header=BB2_1345 Depth=4
	s_mov_b32 s35, 0x7f800001
	s_xor_b32 s14, exec_lo, -1
; %bb.1898:                             ;   in Loop: Header=BB2_1345 Depth=4
	s_or_b32 exec_lo, exec_lo, s37
	s_delay_alu instid0(SALU_CYCLE_1)
	s_and_b32 s14, s14, exec_lo
                                        ; implicit-def: $vgpr161
	s_or_saveexec_b32 s36, s36
	v_mov_b32_e32 v160, s35
	s_xor_b32 exec_lo, exec_lo, s36
	s_cbranch_execz .LBB2_1612
.LBB2_1899:                             ;   in Loop: Header=BB2_1345 Depth=4
	v_cmp_ne_u16_e64 vcc_lo, 0, v161
	v_mov_b32_e32 v160, 0
	s_and_not1_b32 s14, s14, exec_lo
	s_delay_alu instid0(VALU_DEP_2) | instskip(NEXT) | instid1(SALU_CYCLE_1)
	s_and_b32 vcc_lo, vcc_lo, exec_lo
	s_or_b32 s14, s14, vcc_lo
	s_or_b32 exec_lo, exec_lo, s36
	s_and_saveexec_b32 s35, s14
	s_cbranch_execnz .LBB2_1613
	s_branch .LBB2_1614
.LBB2_1900:                             ;   in Loop: Header=BB2_1345 Depth=4
	s_mov_b32 s14, -1
	s_mov_b32 s37, exec_lo
                                        ; implicit-def: $sgpr35
	v_cmpx_eq_u16_e64 0x80, v164
; %bb.1901:                             ;   in Loop: Header=BB2_1345 Depth=4
	s_mov_b32 s35, 0x7f800001
	s_xor_b32 s14, exec_lo, -1
; %bb.1902:                             ;   in Loop: Header=BB2_1345 Depth=4
	s_or_b32 exec_lo, exec_lo, s37
	s_delay_alu instid0(SALU_CYCLE_1)
	s_and_b32 s14, s14, exec_lo
                                        ; implicit-def: $vgpr164
	s_or_saveexec_b32 s36, s36
	v_mov_b32_e32 v161, s35
	s_xor_b32 exec_lo, exec_lo, s36
	s_cbranch_execz .LBB2_1616
.LBB2_1903:                             ;   in Loop: Header=BB2_1345 Depth=4
	v_cmp_ne_u16_e64 vcc_lo, 0, v164
	v_mov_b32_e32 v161, 0
	s_and_not1_b32 s14, s14, exec_lo
	s_delay_alu instid0(VALU_DEP_2) | instskip(NEXT) | instid1(SALU_CYCLE_1)
	s_and_b32 vcc_lo, vcc_lo, exec_lo
	s_or_b32 s14, s14, vcc_lo
	s_or_b32 exec_lo, exec_lo, s36
	s_and_saveexec_b32 s35, s14
	s_cbranch_execnz .LBB2_1617
	s_branch .LBB2_1618
.LBB2_1904:                             ;   in Loop: Header=BB2_1345 Depth=4
	s_mov_b32 s14, -1
	s_mov_b32 s37, exec_lo
                                        ; implicit-def: $sgpr35
	v_cmpx_eq_u16_e64 0x80, v164
; %bb.1905:                             ;   in Loop: Header=BB2_1345 Depth=4
	s_mov_b32 s35, 0x7f800001
	s_xor_b32 s14, exec_lo, -1
; %bb.1906:                             ;   in Loop: Header=BB2_1345 Depth=4
	s_or_b32 exec_lo, exec_lo, s37
	s_delay_alu instid0(SALU_CYCLE_1)
	s_and_b32 s14, s14, exec_lo
	s_or_saveexec_b32 s36, s36
	v_mov_b32_e32 v161, s35
	s_xor_b32 exec_lo, exec_lo, s36
	s_cbranch_execz .LBB2_1628
.LBB2_1907:                             ;   in Loop: Header=BB2_1345 Depth=4
	v_cmp_ne_u16_e64 vcc_lo, 0, v164
	v_mov_b32_e32 v161, 0
	s_and_not1_b32 s14, s14, exec_lo
	s_delay_alu instid0(VALU_DEP_2) | instskip(NEXT) | instid1(SALU_CYCLE_1)
	s_and_b32 vcc_lo, vcc_lo, exec_lo
	s_or_b32 s14, s14, vcc_lo
	s_or_b32 exec_lo, exec_lo, s36
	s_and_saveexec_b32 s35, s14
	s_cbranch_execnz .LBB2_1629
	s_branch .LBB2_1630
.LBB2_1908:                             ;   in Loop: Header=BB2_1345 Depth=4
	s_mov_b32 s14, -1
	s_mov_b32 s37, exec_lo
                                        ; implicit-def: $sgpr35
	v_cmpx_eq_u16_e64 0x80, v164
; %bb.1909:                             ;   in Loop: Header=BB2_1345 Depth=4
	s_mov_b32 s35, 0x7f800001
	s_xor_b32 s14, exec_lo, -1
; %bb.1910:                             ;   in Loop: Header=BB2_1345 Depth=4
	s_or_b32 exec_lo, exec_lo, s37
	s_delay_alu instid0(SALU_CYCLE_1)
	s_and_b32 s14, s14, exec_lo
	s_or_saveexec_b32 s36, s36
	v_mov_b32_e32 v165, s35
	s_xor_b32 exec_lo, exec_lo, s36
	s_cbranch_execz .LBB2_1632
.LBB2_1911:                             ;   in Loop: Header=BB2_1345 Depth=4
	v_cmp_ne_u16_e64 vcc_lo, 0, v164
	v_mov_b32_e32 v165, 0
	s_and_not1_b32 s14, s14, exec_lo
	s_delay_alu instid0(VALU_DEP_2) | instskip(NEXT) | instid1(SALU_CYCLE_1)
	s_and_b32 vcc_lo, vcc_lo, exec_lo
	s_or_b32 s14, s14, vcc_lo
	s_or_b32 exec_lo, exec_lo, s36
	s_and_saveexec_b32 s35, s14
	s_cbranch_execnz .LBB2_1633
	s_branch .LBB2_1634
.LBB2_1912:                             ;   in Loop: Header=BB2_1345 Depth=4
	s_mov_b32 s14, -1
	s_mov_b32 s37, exec_lo
                                        ; implicit-def: $sgpr35
	v_cmpx_eq_u16_e64 0x80, v164
; %bb.1913:                             ;   in Loop: Header=BB2_1345 Depth=4
	s_mov_b32 s35, 0x7f800001
	s_xor_b32 s14, exec_lo, -1
; %bb.1914:                             ;   in Loop: Header=BB2_1345 Depth=4
	s_or_b32 exec_lo, exec_lo, s37
	s_delay_alu instid0(SALU_CYCLE_1)
	s_and_b32 s14, s14, exec_lo
                                        ; implicit-def: $vgpr164
	s_or_saveexec_b32 s36, s36
	v_mov_b32_e32 v151, s35
	s_xor_b32 exec_lo, exec_lo, s36
	s_cbranch_execz .LBB2_1644
.LBB2_1915:                             ;   in Loop: Header=BB2_1345 Depth=4
	v_cmp_ne_u16_e64 vcc_lo, 0, v164
	v_mov_b32_e32 v151, 0
	s_and_not1_b32 s14, s14, exec_lo
	s_delay_alu instid0(VALU_DEP_2) | instskip(NEXT) | instid1(SALU_CYCLE_1)
	s_and_b32 vcc_lo, vcc_lo, exec_lo
	s_or_b32 s14, s14, vcc_lo
	s_or_b32 exec_lo, exec_lo, s36
	v_lshl_or_b32 v162, v162, 16, v163
	s_and_saveexec_b32 s35, s14
	s_cbranch_execnz .LBB2_1645
	s_branch .LBB2_1646
.LBB2_1916:                             ;   in Loop: Header=BB2_1345 Depth=4
	s_mov_b32 s14, -1
	s_mov_b32 s37, exec_lo
                                        ; implicit-def: $sgpr35
	v_cmpx_eq_u16_e64 0x80, v165
; %bb.1917:                             ;   in Loop: Header=BB2_1345 Depth=4
	s_mov_b32 s35, 0x7f800001
	s_xor_b32 s14, exec_lo, -1
; %bb.1918:                             ;   in Loop: Header=BB2_1345 Depth=4
	s_or_b32 exec_lo, exec_lo, s37
	s_delay_alu instid0(SALU_CYCLE_1)
	s_and_b32 s14, s14, exec_lo
                                        ; implicit-def: $vgpr165
	s_or_saveexec_b32 s36, s36
	v_mov_b32_e32 v164, s35
	s_xor_b32 exec_lo, exec_lo, s36
	s_cbranch_execz .LBB2_1648
.LBB2_1919:                             ;   in Loop: Header=BB2_1345 Depth=4
	v_cmp_ne_u16_e64 vcc_lo, 0, v165
	v_mov_b32_e32 v164, 0
	s_and_not1_b32 s14, s14, exec_lo
	s_delay_alu instid0(VALU_DEP_2) | instskip(NEXT) | instid1(SALU_CYCLE_1)
	s_and_b32 vcc_lo, vcc_lo, exec_lo
	s_or_b32 s14, s14, vcc_lo
	s_or_b32 exec_lo, exec_lo, s36
	s_and_saveexec_b32 s35, s14
	s_cbranch_execnz .LBB2_1649
	s_branch .LBB2_1650
.LBB2_1920:                             ;   in Loop: Header=BB2_1345 Depth=4
	s_mov_b32 s14, -1
	s_mov_b32 s37, exec_lo
                                        ; implicit-def: $sgpr35
	v_cmpx_eq_u16_e64 0x80, v164
; %bb.1921:                             ;   in Loop: Header=BB2_1345 Depth=4
	s_mov_b32 s35, 0x7f800001
	s_xor_b32 s14, exec_lo, -1
; %bb.1922:                             ;   in Loop: Header=BB2_1345 Depth=4
	s_or_b32 exec_lo, exec_lo, s37
	s_delay_alu instid0(SALU_CYCLE_1)
	s_and_b32 s14, s14, exec_lo
	s_or_saveexec_b32 s36, s36
	v_mov_b32_e32 v163, s35
	s_xor_b32 exec_lo, exec_lo, s36
	s_cbranch_execz .LBB2_1660
.LBB2_1923:                             ;   in Loop: Header=BB2_1345 Depth=4
	v_cmp_ne_u16_e64 vcc_lo, 0, v164
	v_mov_b32_e32 v163, 0
	s_and_not1_b32 s14, s14, exec_lo
	s_delay_alu instid0(VALU_DEP_2) | instskip(NEXT) | instid1(SALU_CYCLE_1)
	s_and_b32 vcc_lo, vcc_lo, exec_lo
	s_or_b32 s14, s14, vcc_lo
	s_or_b32 exec_lo, exec_lo, s36
	s_and_saveexec_b32 s35, s14
	s_cbranch_execnz .LBB2_1661
	s_branch .LBB2_1662
.LBB2_1924:                             ;   in Loop: Header=BB2_1345 Depth=4
	s_mov_b32 s14, -1
	s_mov_b32 s37, exec_lo
                                        ; implicit-def: $sgpr35
	v_cmpx_eq_u16_e64 0x80, v162
; %bb.1925:                             ;   in Loop: Header=BB2_1345 Depth=4
	s_mov_b32 s35, 0x7f800001
	s_xor_b32 s14, exec_lo, -1
; %bb.1926:                             ;   in Loop: Header=BB2_1345 Depth=4
	s_or_b32 exec_lo, exec_lo, s37
	s_delay_alu instid0(SALU_CYCLE_1)
	s_and_b32 s14, s14, exec_lo
	s_or_saveexec_b32 s36, s36
	v_mov_b32_e32 v164, s35
	s_xor_b32 exec_lo, exec_lo, s36
	s_cbranch_execz .LBB2_1664
.LBB2_1927:                             ;   in Loop: Header=BB2_1345 Depth=4
	v_cmp_ne_u16_e64 vcc_lo, 0, v162
	v_mov_b32_e32 v164, 0
	s_and_not1_b32 s14, s14, exec_lo
	s_delay_alu instid0(VALU_DEP_2) | instskip(NEXT) | instid1(SALU_CYCLE_1)
	s_and_b32 vcc_lo, vcc_lo, exec_lo
	s_or_b32 s14, s14, vcc_lo
	s_or_b32 exec_lo, exec_lo, s36
	s_and_saveexec_b32 s35, s14
	s_cbranch_execnz .LBB2_1665
	s_branch .LBB2_1666
.LBB2_1928:                             ;   in Loop: Header=BB2_1345 Depth=4
	s_mov_b32 s14, -1
	s_mov_b32 s37, exec_lo
                                        ; implicit-def: $sgpr35
	v_cmpx_eq_u16_e64 0x80, v163
; %bb.1929:                             ;   in Loop: Header=BB2_1345 Depth=4
	s_mov_b32 s35, 0x7f800001
	s_xor_b32 s14, exec_lo, -1
; %bb.1930:                             ;   in Loop: Header=BB2_1345 Depth=4
	s_or_b32 exec_lo, exec_lo, s37
	s_delay_alu instid0(SALU_CYCLE_1)
	s_and_b32 s14, s14, exec_lo
                                        ; implicit-def: $vgpr163
	s_or_saveexec_b32 s36, s36
	v_mov_b32_e32 v162, s35
	s_xor_b32 exec_lo, exec_lo, s36
	s_cbranch_execz .LBB2_1676
.LBB2_1931:                             ;   in Loop: Header=BB2_1345 Depth=4
	v_cmp_ne_u16_e64 vcc_lo, 0, v163
	v_mov_b32_e32 v162, 0
	s_and_not1_b32 s14, s14, exec_lo
	s_delay_alu instid0(VALU_DEP_2) | instskip(NEXT) | instid1(SALU_CYCLE_1)
	s_and_b32 vcc_lo, vcc_lo, exec_lo
	s_or_b32 s14, s14, vcc_lo
	s_or_b32 exec_lo, exec_lo, s36
	s_and_saveexec_b32 s35, s14
	s_cbranch_execnz .LBB2_1677
	s_branch .LBB2_1678
.LBB2_1932:                             ;   in Loop: Header=BB2_1345 Depth=4
	s_mov_b32 s14, -1
	s_mov_b32 s37, exec_lo
                                        ; implicit-def: $sgpr35
	v_cmpx_eq_u16_e64 0x80, v163
; %bb.1933:                             ;   in Loop: Header=BB2_1345 Depth=4
	s_mov_b32 s35, 0x7f800001
	s_xor_b32 s14, exec_lo, -1
; %bb.1934:                             ;   in Loop: Header=BB2_1345 Depth=4
	s_or_b32 exec_lo, exec_lo, s37
	s_delay_alu instid0(SALU_CYCLE_1)
	s_and_b32 s14, s14, exec_lo
                                        ; implicit-def: $vgpr163
	s_or_saveexec_b32 s36, s36
	v_mov_b32_e32 v149, s35
	s_xor_b32 exec_lo, exec_lo, s36
	s_cbranch_execz .LBB2_1680
.LBB2_1935:                             ;   in Loop: Header=BB2_1345 Depth=4
	v_cmp_ne_u16_e64 vcc_lo, 0, v163
	v_mov_b32_e32 v149, 0
	s_and_not1_b32 s14, s14, exec_lo
	s_delay_alu instid0(VALU_DEP_2) | instskip(NEXT) | instid1(SALU_CYCLE_1)
	s_and_b32 vcc_lo, vcc_lo, exec_lo
	s_or_b32 s14, s14, vcc_lo
	s_or_b32 exec_lo, exec_lo, s36
	s_and_saveexec_b32 s35, s14
	s_cbranch_execnz .LBB2_1681
	s_branch .LBB2_1682
.LBB2_1936:                             ;   in Loop: Header=BB2_1345 Depth=4
	s_mov_b32 s14, -1
	s_mov_b32 s37, exec_lo
                                        ; implicit-def: $sgpr35
	v_cmpx_eq_u16_e64 0x80, v163
; %bb.1937:                             ;   in Loop: Header=BB2_1345 Depth=4
	s_mov_b32 s35, 0x7f800001
	s_xor_b32 s14, exec_lo, -1
; %bb.1938:                             ;   in Loop: Header=BB2_1345 Depth=4
	s_or_b32 exec_lo, exec_lo, s37
	s_delay_alu instid0(SALU_CYCLE_1)
	s_and_b32 s14, s14, exec_lo
                                        ; implicit-def: $vgpr163
	s_or_saveexec_b32 s36, s36
	v_mov_b32_e32 v162, s35
	s_xor_b32 exec_lo, exec_lo, s36
	s_cbranch_execz .LBB2_1692
.LBB2_1939:                             ;   in Loop: Header=BB2_1345 Depth=4
	v_cmp_ne_u16_e64 vcc_lo, 0, v163
	v_mov_b32_e32 v162, 0
	s_and_not1_b32 s14, s14, exec_lo
	s_delay_alu instid0(VALU_DEP_2) | instskip(NEXT) | instid1(SALU_CYCLE_1)
	s_and_b32 vcc_lo, vcc_lo, exec_lo
	s_or_b32 s14, s14, vcc_lo
	s_or_b32 exec_lo, exec_lo, s36
	s_and_saveexec_b32 s35, s14
	s_cbranch_execnz .LBB2_1693
	s_branch .LBB2_1694
.LBB2_1940:                             ;   in Loop: Header=BB2_1345 Depth=4
	s_mov_b32 s14, -1
	s_mov_b32 s37, exec_lo
                                        ; implicit-def: $sgpr35
	v_cmpx_eq_u16_e64 0x80, v147
; %bb.1941:                             ;   in Loop: Header=BB2_1345 Depth=4
	s_mov_b32 s35, 0x7f800001
	s_xor_b32 s14, exec_lo, -1
; %bb.1942:                             ;   in Loop: Header=BB2_1345 Depth=4
	s_or_b32 exec_lo, exec_lo, s37
	s_delay_alu instid0(SALU_CYCLE_1)
	s_and_b32 s14, s14, exec_lo
	s_or_saveexec_b32 s36, s36
	v_mov_b32_e32 v163, s35
	s_xor_b32 exec_lo, exec_lo, s36
	s_cbranch_execz .LBB2_1696
.LBB2_1943:                             ;   in Loop: Header=BB2_1345 Depth=4
	v_cmp_ne_u16_e64 vcc_lo, 0, v147
	v_mov_b32_e32 v163, 0
	s_and_not1_b32 s14, s14, exec_lo
	s_delay_alu instid0(VALU_DEP_2) | instskip(NEXT) | instid1(SALU_CYCLE_1)
	s_and_b32 vcc_lo, vcc_lo, exec_lo
	s_or_b32 s14, s14, vcc_lo
	s_or_b32 exec_lo, exec_lo, s36
	s_and_saveexec_b32 s35, s14
	s_cbranch_execnz .LBB2_1697
	s_branch .LBB2_1698
.LBB2_1944:                             ;   in Loop: Header=BB2_1345 Depth=4
	s_mov_b32 s14, -1
	s_mov_b32 s37, exec_lo
                                        ; implicit-def: $sgpr35
	v_cmpx_eq_u16_e64 0x80, v163
; %bb.1945:                             ;   in Loop: Header=BB2_1345 Depth=4
	s_mov_b32 s35, 0x7f800001
	s_xor_b32 s14, exec_lo, -1
; %bb.1946:                             ;   in Loop: Header=BB2_1345 Depth=4
	s_or_b32 exec_lo, exec_lo, s37
	s_delay_alu instid0(SALU_CYCLE_1)
	s_and_b32 s14, s14, exec_lo
                                        ; implicit-def: $vgpr163
	s_or_saveexec_b32 s36, s36
	v_mov_b32_e32 v162, s35
	s_xor_b32 exec_lo, exec_lo, s36
	s_cbranch_execz .LBB2_1708
.LBB2_1947:                             ;   in Loop: Header=BB2_1345 Depth=4
	v_cmp_ne_u16_e64 vcc_lo, 0, v163
	v_mov_b32_e32 v162, 0
	s_and_not1_b32 s14, s14, exec_lo
	s_delay_alu instid0(VALU_DEP_2) | instskip(NEXT) | instid1(SALU_CYCLE_1)
	s_and_b32 vcc_lo, vcc_lo, exec_lo
	s_or_b32 s14, s14, vcc_lo
	s_or_b32 exec_lo, exec_lo, s36
	s_and_saveexec_b32 s35, s14
	s_cbranch_execnz .LBB2_1709
	s_branch .LBB2_1710
.LBB2_1948:                             ;   in Loop: Header=BB2_1345 Depth=4
	s_mov_b32 s14, -1
	s_mov_b32 s37, exec_lo
                                        ; implicit-def: $sgpr35
	v_cmpx_eq_u16_e64 0x80, v164
; %bb.1949:                             ;   in Loop: Header=BB2_1345 Depth=4
	s_mov_b32 s35, 0x7f800001
	s_xor_b32 s14, exec_lo, -1
; %bb.1950:                             ;   in Loop: Header=BB2_1345 Depth=4
	s_or_b32 exec_lo, exec_lo, s37
	s_delay_alu instid0(SALU_CYCLE_1)
	s_and_b32 s14, s14, exec_lo
                                        ; implicit-def: $vgpr164
	s_or_saveexec_b32 s36, s36
	v_mov_b32_e32 v163, s35
	s_xor_b32 exec_lo, exec_lo, s36
	s_cbranch_execz .LBB2_1712
.LBB2_1951:                             ;   in Loop: Header=BB2_1345 Depth=4
	v_cmp_ne_u16_e64 vcc_lo, 0, v164
	v_mov_b32_e32 v163, 0
	s_and_not1_b32 s14, s14, exec_lo
	s_delay_alu instid0(VALU_DEP_2) | instskip(NEXT) | instid1(SALU_CYCLE_1)
	s_and_b32 vcc_lo, vcc_lo, exec_lo
	s_or_b32 s14, s14, vcc_lo
	s_or_b32 exec_lo, exec_lo, s36
	s_and_saveexec_b32 s35, s14
	s_cbranch_execnz .LBB2_1713
	s_branch .LBB2_1714
.LBB2_1952:                             ;   in Loop: Header=BB2_1345 Depth=4
	s_mov_b32 s14, -1
	s_mov_b32 s37, exec_lo
                                        ; implicit-def: $sgpr35
	v_cmpx_eq_u16_e64 0x80, v163
; %bb.1953:                             ;   in Loop: Header=BB2_1345 Depth=4
	s_mov_b32 s35, 0x7f800001
	s_xor_b32 s14, exec_lo, -1
; %bb.1954:                             ;   in Loop: Header=BB2_1345 Depth=4
	s_or_b32 exec_lo, exec_lo, s37
	s_delay_alu instid0(SALU_CYCLE_1)
	s_and_b32 s14, s14, exec_lo
	s_or_saveexec_b32 s36, s36
	v_mov_b32_e32 v162, s35
	s_xor_b32 exec_lo, exec_lo, s36
	s_cbranch_execz .LBB2_1724
.LBB2_1955:                             ;   in Loop: Header=BB2_1345 Depth=4
	v_cmp_ne_u16_e64 vcc_lo, 0, v163
	v_mov_b32_e32 v162, 0
	s_and_not1_b32 s14, s14, exec_lo
	s_delay_alu instid0(VALU_DEP_2) | instskip(NEXT) | instid1(SALU_CYCLE_1)
	s_and_b32 vcc_lo, vcc_lo, exec_lo
	s_or_b32 s14, s14, vcc_lo
	s_or_b32 exec_lo, exec_lo, s36
	s_and_saveexec_b32 s35, s14
	s_cbranch_execnz .LBB2_1725
	s_branch .LBB2_1726
.LBB2_1956:                             ;   in Loop: Header=BB2_1345 Depth=4
	s_mov_b32 s14, -1
	s_mov_b32 s37, exec_lo
                                        ; implicit-def: $sgpr35
	v_cmpx_eq_u16_e64 0x80, v135
; %bb.1957:                             ;   in Loop: Header=BB2_1345 Depth=4
	s_mov_b32 s35, 0x7f800001
	s_xor_b32 s14, exec_lo, -1
; %bb.1958:                             ;   in Loop: Header=BB2_1345 Depth=4
	s_or_b32 exec_lo, exec_lo, s37
	s_delay_alu instid0(SALU_CYCLE_1)
	s_and_b32 s14, s14, exec_lo
	s_or_saveexec_b32 s36, s36
	v_mov_b32_e32 v163, s35
	s_xor_b32 exec_lo, exec_lo, s36
	s_cbranch_execz .LBB2_1728
.LBB2_1959:                             ;   in Loop: Header=BB2_1345 Depth=4
	v_cmp_ne_u16_e64 vcc_lo, 0, v135
	v_mov_b32_e32 v163, 0
	s_and_not1_b32 s14, s14, exec_lo
	s_delay_alu instid0(VALU_DEP_2) | instskip(NEXT) | instid1(SALU_CYCLE_1)
	s_and_b32 vcc_lo, vcc_lo, exec_lo
	s_or_b32 s14, s14, vcc_lo
	s_or_b32 exec_lo, exec_lo, s36
	s_and_saveexec_b32 s35, s14
	s_cbranch_execnz .LBB2_1729
	s_branch .LBB2_1730
.LBB2_1960:                             ;   in Loop: Header=BB2_1345 Depth=4
	s_mov_b32 s14, -1
	s_mov_b32 s37, exec_lo
                                        ; implicit-def: $sgpr35
	v_cmpx_eq_u16_e64 0x80, v148
; %bb.1961:                             ;   in Loop: Header=BB2_1345 Depth=4
	s_mov_b32 s35, 0x7f800001
	s_xor_b32 s14, exec_lo, -1
; %bb.1962:                             ;   in Loop: Header=BB2_1345 Depth=4
	s_or_b32 exec_lo, exec_lo, s37
	s_delay_alu instid0(SALU_CYCLE_1)
	s_and_b32 s14, s14, exec_lo
                                        ; implicit-def: $vgpr148
	s_or_saveexec_b32 s36, s36
	v_mov_b32_e32 v134, s35
	s_xor_b32 exec_lo, exec_lo, s36
	s_cbranch_execz .LBB2_1740
.LBB2_1963:                             ;   in Loop: Header=BB2_1345 Depth=4
	v_cmp_ne_u16_e64 vcc_lo, 0, v148
	v_mov_b32_e32 v134, 0
	s_and_not1_b32 s14, s14, exec_lo
	s_delay_alu instid0(VALU_DEP_2) | instskip(NEXT) | instid1(SALU_CYCLE_1)
	s_and_b32 vcc_lo, vcc_lo, exec_lo
	s_or_b32 s14, s14, vcc_lo
	s_or_b32 exec_lo, exec_lo, s36
	s_and_saveexec_b32 s35, s14
	s_cbranch_execnz .LBB2_1741
	s_branch .LBB2_1742
.LBB2_1964:                             ;   in Loop: Header=BB2_1345 Depth=4
	s_mov_b32 s14, -1
	s_mov_b32 s37, exec_lo
                                        ; implicit-def: $sgpr35
	v_cmpx_eq_u16_e64 0x80, v162
; %bb.1965:                             ;   in Loop: Header=BB2_1345 Depth=4
	s_mov_b32 s35, 0x7f800001
	s_xor_b32 s14, exec_lo, -1
; %bb.1966:                             ;   in Loop: Header=BB2_1345 Depth=4
	s_or_b32 exec_lo, exec_lo, s37
	s_delay_alu instid0(SALU_CYCLE_1)
	s_and_b32 s14, s14, exec_lo
                                        ; implicit-def: $vgpr162
	s_or_saveexec_b32 s36, s36
	v_mov_b32_e32 v148, s35
	s_xor_b32 exec_lo, exec_lo, s36
	s_cbranch_execz .LBB2_1744
.LBB2_1967:                             ;   in Loop: Header=BB2_1345 Depth=4
	v_cmp_ne_u16_e64 vcc_lo, 0, v162
	v_mov_b32_e32 v148, 0
	s_and_not1_b32 s14, s14, exec_lo
	s_delay_alu instid0(VALU_DEP_2) | instskip(NEXT) | instid1(SALU_CYCLE_1)
	s_and_b32 vcc_lo, vcc_lo, exec_lo
	s_or_b32 s14, s14, vcc_lo
	s_or_b32 exec_lo, exec_lo, s36
	s_and_saveexec_b32 s35, s14
	s_cbranch_execnz .LBB2_1745
	s_branch .LBB2_1746
.LBB2_1968:                             ;   in Loop: Header=BB2_1345 Depth=4
	s_mov_b32 s14, -1
	s_mov_b32 s37, exec_lo
                                        ; implicit-def: $sgpr35
	v_cmpx_eq_u16_e64 0x80, v162
; %bb.1969:                             ;   in Loop: Header=BB2_1345 Depth=4
	s_mov_b32 s35, 0x7f800001
	s_xor_b32 s14, exec_lo, -1
; %bb.1970:                             ;   in Loop: Header=BB2_1345 Depth=4
	s_or_b32 exec_lo, exec_lo, s37
	s_delay_alu instid0(SALU_CYCLE_1)
	s_and_b32 s14, s14, exec_lo
	s_or_saveexec_b32 s36, s36
	v_mov_b32_e32 v148, s35
	s_xor_b32 exec_lo, exec_lo, s36
	s_cbranch_execz .LBB2_1756
.LBB2_1971:                             ;   in Loop: Header=BB2_1345 Depth=4
	v_cmp_ne_u16_e64 vcc_lo, 0, v162
	v_mov_b32_e32 v148, 0
	s_and_not1_b32 s14, s14, exec_lo
	s_delay_alu instid0(VALU_DEP_2) | instskip(NEXT) | instid1(SALU_CYCLE_1)
	s_and_b32 vcc_lo, vcc_lo, exec_lo
	s_or_b32 s14, s14, vcc_lo
	s_or_b32 exec_lo, exec_lo, s36
	s_and_saveexec_b32 s35, s14
	s_cbranch_execnz .LBB2_1757
	s_branch .LBB2_1758
.LBB2_1972:                             ;   in Loop: Header=BB2_1345 Depth=4
	s_mov_b32 s14, -1
	s_mov_b32 s37, exec_lo
                                        ; implicit-def: $sgpr35
	v_cmpx_eq_u16_e64 0x80, v162
; %bb.1973:                             ;   in Loop: Header=BB2_1345 Depth=4
	s_mov_b32 s35, 0x7f800001
	s_xor_b32 s14, exec_lo, -1
; %bb.1974:                             ;   in Loop: Header=BB2_1345 Depth=4
	s_or_b32 exec_lo, exec_lo, s37
	s_delay_alu instid0(SALU_CYCLE_1)
	s_and_b32 s14, s14, exec_lo
	s_or_saveexec_b32 s36, s36
	v_mov_b32_e32 v163, s35
	s_xor_b32 exec_lo, exec_lo, s36
	s_cbranch_execz .LBB2_1760
.LBB2_1975:                             ;   in Loop: Header=BB2_1345 Depth=4
	v_cmp_ne_u16_e64 vcc_lo, 0, v162
	v_mov_b32_e32 v163, 0
	s_and_not1_b32 s14, s14, exec_lo
	s_delay_alu instid0(VALU_DEP_2) | instskip(NEXT) | instid1(SALU_CYCLE_1)
	s_and_b32 vcc_lo, vcc_lo, exec_lo
	s_or_b32 s14, s14, vcc_lo
	s_or_b32 exec_lo, exec_lo, s36
	s_and_saveexec_b32 s35, s14
	s_cbranch_execnz .LBB2_1761
	s_branch .LBB2_1762
.LBB2_1976:                             ;   in Loop: Header=BB2_1345 Depth=4
	s_mov_b32 s14, -1
	s_mov_b32 s37, exec_lo
                                        ; implicit-def: $sgpr35
	v_cmpx_eq_u16_e64 0x80, v162
; %bb.1977:                             ;   in Loop: Header=BB2_1345 Depth=4
	s_mov_b32 s35, 0x7f800001
	s_xor_b32 s14, exec_lo, -1
; %bb.1978:                             ;   in Loop: Header=BB2_1345 Depth=4
	s_or_b32 exec_lo, exec_lo, s37
	s_delay_alu instid0(SALU_CYCLE_1)
	s_and_b32 s14, s14, exec_lo
                                        ; implicit-def: $vgpr162
	s_or_saveexec_b32 s36, s36
	v_mov_b32_e32 v133, s35
	s_xor_b32 exec_lo, exec_lo, s36
	s_cbranch_execz .LBB2_1772
.LBB2_1979:                             ;   in Loop: Header=BB2_1345 Depth=4
	v_cmp_ne_u16_e64 vcc_lo, 0, v162
	v_mov_b32_e32 v133, 0
	s_and_not1_b32 s14, s14, exec_lo
	s_delay_alu instid0(VALU_DEP_2) | instskip(NEXT) | instid1(SALU_CYCLE_1)
	s_and_b32 vcc_lo, vcc_lo, exec_lo
	s_or_b32 s14, s14, vcc_lo
	s_or_b32 exec_lo, exec_lo, s36
	v_lshl_or_b32 v135, v145, 16, v135
	s_and_saveexec_b32 s35, s14
	s_cbranch_execnz .LBB2_1773
	s_branch .LBB2_1774
.LBB2_1980:                             ;   in Loop: Header=BB2_1345 Depth=4
	s_mov_b32 s14, -1
	s_mov_b32 s37, exec_lo
                                        ; implicit-def: $sgpr35
	v_cmpx_eq_u16_e64 0x80, v163
; %bb.1981:                             ;   in Loop: Header=BB2_1345 Depth=4
	s_mov_b32 s35, 0x7f800001
	s_xor_b32 s14, exec_lo, -1
; %bb.1982:                             ;   in Loop: Header=BB2_1345 Depth=4
	s_or_b32 exec_lo, exec_lo, s37
	s_delay_alu instid0(SALU_CYCLE_1)
	s_and_b32 s14, s14, exec_lo
                                        ; implicit-def: $vgpr163
	s_or_saveexec_b32 s36, s36
	v_mov_b32_e32 v162, s35
	s_xor_b32 exec_lo, exec_lo, s36
	s_cbranch_execz .LBB2_1776
.LBB2_1983:                             ;   in Loop: Header=BB2_1345 Depth=4
	v_cmp_ne_u16_e64 vcc_lo, 0, v163
	v_mov_b32_e32 v162, 0
	s_and_not1_b32 s14, s14, exec_lo
	s_delay_alu instid0(VALU_DEP_2) | instskip(NEXT) | instid1(SALU_CYCLE_1)
	s_and_b32 vcc_lo, vcc_lo, exec_lo
	s_or_b32 s14, s14, vcc_lo
	s_or_b32 exec_lo, exec_lo, s36
	s_and_saveexec_b32 s35, s14
	s_cbranch_execnz .LBB2_1777
	s_branch .LBB2_1778
.LBB2_1984:                             ;   in Loop: Header=BB2_1345 Depth=4
	s_mov_b32 s14, -1
	s_mov_b32 s37, exec_lo
                                        ; implicit-def: $sgpr35
	v_cmpx_eq_u16_e64 0x80, v162
; %bb.1985:                             ;   in Loop: Header=BB2_1345 Depth=4
	s_mov_b32 s35, 0x7f800001
	s_xor_b32 s14, exec_lo, -1
; %bb.1986:                             ;   in Loop: Header=BB2_1345 Depth=4
	s_or_b32 exec_lo, exec_lo, s37
	s_delay_alu instid0(SALU_CYCLE_1)
	s_and_b32 s14, s14, exec_lo
	s_or_saveexec_b32 s36, s36
	v_mov_b32_e32 v145, s35
	s_xor_b32 exec_lo, exec_lo, s36
	s_cbranch_execz .LBB2_1788
.LBB2_1987:                             ;   in Loop: Header=BB2_1345 Depth=4
	v_cmp_ne_u16_e64 vcc_lo, 0, v162
	v_mov_b32_e32 v145, 0
	s_and_not1_b32 s14, s14, exec_lo
	s_delay_alu instid0(VALU_DEP_2) | instskip(NEXT) | instid1(SALU_CYCLE_1)
	s_and_b32 vcc_lo, vcc_lo, exec_lo
	s_or_b32 s14, s14, vcc_lo
	s_or_b32 exec_lo, exec_lo, s36
	s_and_saveexec_b32 s35, s14
	s_cbranch_execnz .LBB2_1789
	s_branch .LBB2_1790
.LBB2_1988:                             ;   in Loop: Header=BB2_1345 Depth=4
	s_mov_b32 s14, -1
	s_mov_b32 s37, exec_lo
                                        ; implicit-def: $sgpr35
	v_cmpx_eq_u16_e64 0x80, v135
; %bb.1989:                             ;   in Loop: Header=BB2_1345 Depth=4
	s_mov_b32 s35, 0x7f800001
	s_xor_b32 s14, exec_lo, -1
; %bb.1990:                             ;   in Loop: Header=BB2_1345 Depth=4
	s_or_b32 exec_lo, exec_lo, s37
	s_delay_alu instid0(SALU_CYCLE_1)
	s_and_b32 s14, s14, exec_lo
	s_or_saveexec_b32 s36, s36
	v_mov_b32_e32 v162, s35
	s_xor_b32 exec_lo, exec_lo, s36
	s_cbranch_execz .LBB2_1792
.LBB2_1991:                             ;   in Loop: Header=BB2_1345 Depth=4
	v_cmp_ne_u16_e64 vcc_lo, 0, v135
	v_mov_b32_e32 v162, 0
	s_and_not1_b32 s14, s14, exec_lo
	s_delay_alu instid0(VALU_DEP_2) | instskip(NEXT) | instid1(SALU_CYCLE_1)
	s_and_b32 vcc_lo, vcc_lo, exec_lo
	s_or_b32 s14, s14, vcc_lo
	s_or_b32 exec_lo, exec_lo, s36
	s_and_saveexec_b32 s35, s14
	s_cbranch_execnz .LBB2_1793
	s_branch .LBB2_1794
.LBB2_1992:                             ;   in Loop: Header=BB2_1255 Depth=3
	s_or_b32 exec_lo, exec_lo, s31
.LBB2_1993:                             ;   in Loop: Header=BB2_1255 Depth=3
	s_delay_alu instid0(SALU_CYCLE_1) | instskip(SKIP_3) | instid1(VALU_DEP_1)
	s_or_b32 exec_lo, exec_lo, s30
	v_dual_mov_b32 v66, 0 :: v_dual_and_b32 v9, 15, v51
	s_mov_b32 s31, 0
	s_mov_b32 s30, exec_lo
                                        ; implicit-def: $vgpr67
                                        ; implicit-def: $vgpr133
                                        ; implicit-def: $vgpr8
	v_cndmask_b32_e64 v128, v129, v9, s13
	s_delay_alu instid0(VALU_DEP_1)
	v_cmpx_ne_u32_e32 0, v128
	s_cbranch_execz .LBB2_2651
; %bb.1994:                             ;   in Loop: Header=BB2_1255 Depth=3
	v_cmp_lt_i32_e32 vcc_lo, 0, v130
	v_ashrrev_i32_e32 v11, 31, v128
	v_sub_nc_u32_e32 v9, v129, v9
	s_mov_b32 s31, exec_lo
	v_cndmask_b32_e32 v8, 0, v71, vcc_lo
	s_delay_alu instid0(VALU_DEP_3) | instskip(NEXT) | instid1(VALU_DEP_3)
	v_lshrrev_b32_e32 v11, 23, v11
	v_cndmask_b32_e64 v9, 0, v9, s13
	s_delay_alu instid0(VALU_DEP_3) | instskip(NEXT) | instid1(VALU_DEP_3)
	v_sub_nc_u32_e32 v8, v8, v130
	v_add_nc_u32_e32 v11, v128, v11
	s_delay_alu instid0(VALU_DEP_3) | instskip(NEXT) | instid1(VALU_DEP_3)
	v_add_nc_u32_e32 v2, v9, v2
	v_lshl_add_u32 v8, v8, 5, v81
	s_delay_alu instid0(VALU_DEP_3) | instskip(SKIP_1) | instid1(VALU_DEP_3)
	v_and_b32_e32 v130, 0xfffffe00, v11
	v_ashrrev_i32_e32 v11, 9, v11
	v_ashrrev_i32_e32 v10, 31, v8
	s_delay_alu instid0(VALU_DEP_3) | instskip(NEXT) | instid1(VALU_DEP_2)
	v_sub_nc_u32_e32 v129, v128, v130
	v_lshrrev_b32_e32 v10, 27, v10
	s_delay_alu instid0(VALU_DEP_2) | instskip(NEXT) | instid1(VALU_DEP_2)
	v_cmp_lt_i32_e64 s13, 15, v129
	v_add_nc_u32_e32 v10, v8, v10
	s_delay_alu instid0(VALU_DEP_2) | instskip(NEXT) | instid1(VALU_DEP_2)
	v_add_co_ci_u32_e64 v11, vcc_lo, 0, v11, s13
	v_and_b32_e32 v54, 0xffffffe0, v10
	v_ashrrev_i32_e32 v10, 5, v10
	s_delay_alu instid0(VALU_DEP_2) | instskip(NEXT) | instid1(VALU_DEP_2)
	v_sub_nc_u32_e32 v131, v8, v54
	v_sub_nc_u32_e32 v132, v11, v10
	s_delay_alu instid0(VALU_DEP_2) | instskip(NEXT) | instid1(VALU_DEP_1)
	v_lshlrev_b32_e32 v8, 4, v131
	v_lshl_add_u32 v8, v10, 9, v8
	s_delay_alu instid0(VALU_DEP_1) | instskip(NEXT) | instid1(VALU_DEP_1)
	v_sub_nc_u32_e32 v133, v128, v8
	v_cmpx_lt_i32_e32 15, v133
	s_cbranch_execz .LBB2_2648
; %bb.1995:                             ;   in Loop: Header=BB2_1255 Depth=3
	s_cbranch_execz .LBB2_1996
; %bb.8091:
	s_getpc_b64 s[48:49]
.Lpost_getpc78:
	s_add_u32 s48, s48, (.LBB2_7721-.Lpost_getpc78)&4294967295
	s_addc_u32 s49, s49, (.LBB2_7721-.Lpost_getpc78)>>32
	s_setpc_b64 s[48:49]
.LBB2_1996:                             ;   in Loop: Header=BB2_1255 Depth=3
	ds_load_b64 v[9:10], v0
	ds_load_b128 v[64:67], v0
	v_add_nc_u32_e32 v8, v8, v2
	s_delay_alu instid0(VALU_DEP_1)
	v_ashrrev_i32_e32 v11, 31, v8
	s_waitcnt lgkmcnt(1)
	v_readfirstlane_b32 s14, v9
	s_waitcnt lgkmcnt(0)
	v_add_co_u32 v54, vcc_lo, v64, v8
	v_add_co_ci_u32_e32 v55, vcc_lo, v65, v11, vcc_lo
	s_delay_alu instid0(VALU_DEP_3)
	s_and_b32 s34, s14, 3
	v_add_co_u32 v64, vcc_lo, v66, v8
	s_clz_i32_u32 s35, s34
	v_add_co_ci_u32_e32 v65, vcc_lo, v67, v11, vcc_lo
	s_min_u32 s35, s35, 32
	s_bfe_u32 s36, s14, 0x50002
	s_sub_i32 vcc_lo, s35, 29
	s_sub_i32 s35, 30, s35
	s_lshl_b32 vcc_lo, s14, vcc_lo
	v_and_b32_e32 v134, 0xff, v9
	s_and_b32 s37, vcc_lo, 3
	v_add_co_u32 v66, vcc_lo, v9, v8
	s_cmp_eq_u32 s36, 0
	v_add_co_ci_u32_e32 v67, vcc_lo, v10, v11, vcc_lo
	s_cselect_b32 vcc_lo, s35, s36
	s_cselect_b32 s34, s37, s34
	s_lshl_b32 s14, s14, 24
	s_lshl_b32 vcc_lo, vcc_lo, 23
	s_and_b32 s14, s14, 0x80000000
	s_add_i32 vcc_lo, vcc_lo, 0x37800000
	s_lshl_b32 s35, s34, 21
	s_or_b32 s14, s14, vcc_lo
	s_mov_b32 s34, 0
	s_or_b32 s35, s14, s35
	s_branch .LBB2_2000
.LBB2_1997:                             ;   in Loop: Header=BB2_2000 Depth=4
	s_or_b32 exec_lo, exec_lo, s14
	s_delay_alu instid0(VALU_DEP_1) | instskip(NEXT) | instid1(VALU_DEP_2)
	v_lshrrev_b32_e32 v148, 21, v148
	v_cmp_gt_i32_e32 vcc_lo, 32, v146
	v_min_i32_e32 v165, 31, v146
	v_lshrrev_b32_e32 v11, 24, v11
	s_delay_alu instid0(VALU_DEP_2) | instskip(NEXT) | instid1(VALU_DEP_2)
	v_dual_cndmask_b32 v148, 3, v148 :: v_dual_lshlrev_b32 v165, 2, v165
	v_and_b32_e32 v11, 0x80, v11
	s_delay_alu instid0(VALU_DEP_2) | instskip(SKIP_1) | instid1(VALU_DEP_2)
	v_or_b32_e32 v146, v146, v148
	v_and_b32_e32 v166, 3, v148
	v_cmp_ne_u32_e32 vcc_lo, 0, v146
	v_and_b32_e32 v165, 0xfc, v165
	s_delay_alu instid0(VALU_DEP_1) | instskip(NEXT) | instid1(VALU_DEP_1)
	v_or3_b32 v11, v11, v165, v166
	v_lshlrev_b32_e32 v11, 8, v11
	s_delay_alu instid0(VALU_DEP_1)
	v_cndmask_b32_e32 v146, 0, v11, vcc_lo
.LBB2_1998:                             ;   in Loop: Header=BB2_2000 Depth=4
	s_or_b32 exec_lo, exec_lo, s37
.LBB2_1999:                             ;   in Loop: Header=BB2_2000 Depth=4
	s_delay_alu instid0(SALU_CYCLE_1)
	s_or_b32 exec_lo, exec_lo, s36
	v_or_b32_e32 v9, v9, v162
	v_and_b32_e32 v11, 0xff, v161
	v_lshlrev_b32_e32 v147, 8, v147
	v_and_b32_e32 v149, 0xff, v149
	v_lshlrev_b32_e32 v150, 8, v150
	v_or_b32_e32 v144, v146, v144
	v_and_b32_e32 v148, 0xff, v163
	v_lshlrev_b32_e32 v8, 24, v8
	v_lshlrev_b32_e32 v9, 16, v9
	;; [unrolled: 1-line block ×3, first 2 shown]
	v_perm_b32 v135, v147, v135, 0xc0c0500
	v_lshlrev_b32_e32 v10, 24, v10
	v_lshlrev_b32_e32 v146, 16, v149
	v_perm_b32 v147, v150, v160, 0xc0c0500
	v_and_b32_e32 v145, 0xff, v145
	v_lshlrev_b32_e32 v144, 16, v144
	v_add_co_u32 v54, vcc_lo, v54, v96
	v_or3_b32 v9, v164, v148, v9
	v_or3_b32 v8, v8, v11, v135
	;; [unrolled: 1-line block ×4, first 2 shown]
	v_sub_nc_u32_e32 v133, v133, v82
	v_add_co_ci_u32_e32 v55, vcc_lo, v55, v97, vcc_lo
	v_add_co_u32 v64, vcc_lo, v64, v96
	v_add_co_ci_u32_e32 v65, vcc_lo, v65, v97, vcc_lo
	global_store_b128 v[66:67], v[8:11], off glc slc dlc
	v_cmp_gt_i32_e32 vcc_lo, 16, v133
	v_add_co_u32 v66, s14, v66, v96
	s_delay_alu instid0(VALU_DEP_1) | instskip(SKIP_2) | instid1(SALU_CYCLE_1)
	v_add_co_ci_u32_e64 v67, s14, v67, v97, s14
	v_sub_nc_u32_e32 v132, v132, v71
	s_or_b32 s34, vcc_lo, s34
	s_and_not1_b32 exec_lo, exec_lo, s34
	s_cbranch_execz .LBB2_2647
.LBB2_2000:                             ;   Parent Loop BB2_51 Depth=1
                                        ;     Parent Loop BB2_1253 Depth=2
                                        ;       Parent Loop BB2_1255 Depth=3
                                        ; =>      This Inner Loop Header: Depth=4
	v_cmp_gt_i16_e64 vcc_lo, 0x80, v134
	s_delay_alu instid0(VALU_DEP_1)
	s_and_b32 vcc_lo, exec_lo, vcc_lo
	s_cbranch_vccnz .LBB2_2004
; %bb.2001:                             ;   in Loop: Header=BB2_2000 Depth=4
	v_cmp_eq_u16_e64 vcc_lo, 0x80, v134
	s_mov_b32 s14, -1
                                        ; implicit-def: $sgpr36
	s_delay_alu instid0(VALU_DEP_1)
	s_and_b32 vcc_lo, exec_lo, vcc_lo
	s_cbranch_vccz .LBB2_2003
; %bb.2002:                             ;   in Loop: Header=BB2_2000 Depth=4
	s_mov_b32 s14, 0
	s_mov_b32 s36, 0x7f800001
.LBB2_2003:                             ;   in Loop: Header=BB2_2000 Depth=4
	s_mov_b32 vcc_lo, 0
	s_branch .LBB2_2005
.LBB2_2004:                             ;   in Loop: Header=BB2_2000 Depth=4
	s_mov_b32 vcc_lo, -1
	s_mov_b32 s14, 0
                                        ; implicit-def: $sgpr36
.LBB2_2005:                             ;   in Loop: Header=BB2_2000 Depth=4
	s_and_b32 vcc_lo, exec_lo, vcc_lo
	s_cbranch_vccz .LBB2_2007
; %bb.2006:                             ;   in Loop: Header=BB2_2000 Depth=4
	v_cmp_ne_u16_e64 s14, 0, v134
	s_mov_b32 s36, 0
.LBB2_2007:                             ;   in Loop: Header=BB2_2000 Depth=4
	s_delay_alu instid0(VALU_DEP_1)
	s_and_not1_b32 vcc_lo, exec_lo, s14
	s_cbranch_vccnz .LBB2_2009
; %bb.2008:                             ;   in Loop: Header=BB2_2000 Depth=4
	s_mov_b32 s36, s35
.LBB2_2009:                             ;   in Loop: Header=BB2_2000 Depth=4
	global_load_b128 v[8:11], v[54:55], off slc dlc
	s_mov_b32 s14, 0
	s_mov_b32 s38, exec_lo
                                        ; implicit-def: $sgpr37
	s_waitcnt vmcnt(0)
	v_and_b32_e32 v144, 0xff, v8
	s_delay_alu instid0(VALU_DEP_1)
	v_cmpx_lt_i16_e64 0x7f, v144
	s_xor_b32 s38, exec_lo, s38
	s_cbranch_execnz .LBB2_2455
; %bb.2010:                             ;   in Loop: Header=BB2_2000 Depth=4
	s_or_saveexec_b32 s38, s38
	v_mov_b32_e32 v135, s37
	s_xor_b32 exec_lo, exec_lo, s38
	s_cbranch_execnz .LBB2_2458
.LBB2_2011:                             ;   in Loop: Header=BB2_2000 Depth=4
	s_or_b32 exec_lo, exec_lo, s38
	s_and_saveexec_b32 s37, s14
	s_cbranch_execz .LBB2_2013
.LBB2_2012:                             ;   in Loop: Header=BB2_2000 Depth=4
	v_and_b32_e32 v135, 3, v8
	v_bfe_u32 v146, v8, 2, 5
	v_lshlrev_b32_e32 v147, 24, v8
	s_delay_alu instid0(VALU_DEP_3) | instskip(NEXT) | instid1(VALU_DEP_3)
	v_clz_i32_u32_e32 v144, v135
	v_cmp_eq_u32_e32 vcc_lo, 0, v146
	s_delay_alu instid0(VALU_DEP_2) | instskip(NEXT) | instid1(VALU_DEP_1)
	v_min_u32_e32 v144, 32, v144
	v_subrev_nc_u32_e32 v145, 29, v144
	v_sub_nc_u32_e32 v144, 30, v144
	s_delay_alu instid0(VALU_DEP_2) | instskip(NEXT) | instid1(VALU_DEP_1)
	v_lshlrev_b32_e32 v145, v145, v8
	v_dual_cndmask_b32 v144, v146, v144 :: v_dual_and_b32 v145, 3, v145
	s_delay_alu instid0(VALU_DEP_1) | instskip(NEXT) | instid1(VALU_DEP_2)
	v_lshl_add_u32 v144, v144, 23, 0x37800000
	v_cndmask_b32_e32 v135, v135, v145, vcc_lo
	v_and_b32_e32 v145, 0x80000000, v147
	s_delay_alu instid0(VALU_DEP_2) | instskip(NEXT) | instid1(VALU_DEP_1)
	v_lshlrev_b32_e32 v135, 21, v135
	v_or3_b32 v135, v145, v144, v135
.LBB2_2013:                             ;   in Loop: Header=BB2_2000 Depth=4
	s_or_b32 exec_lo, exec_lo, s37
	s_delay_alu instid0(VALU_DEP_1) | instskip(NEXT) | instid1(VALU_DEP_1)
	v_mul_f32_e32 v144, s36, v135
	v_and_b32_e32 v135, 0x7f800000, v144
	s_delay_alu instid0(VALU_DEP_1)
	v_cmp_ne_u32_e32 vcc_lo, 0x7f800000, v135
	v_mov_b32_e32 v135, 0x80
	s_and_saveexec_b32 s37, vcc_lo
	s_cbranch_execz .LBB2_2021
; %bb.2014:                             ;   in Loop: Header=BB2_2000 Depth=4
	v_mov_b32_e32 v135, 0
	s_mov_b32 s38, exec_lo
	v_cmpx_ne_u32_e32 0, v144
	s_cbranch_execz .LBB2_2020
; %bb.2015:                             ;   in Loop: Header=BB2_2000 Depth=4
	v_bfe_u32 v135, v144, 23, 8
	s_delay_alu instid0(VALU_DEP_1) | instskip(SKIP_1) | instid1(VALU_DEP_2)
	v_sub_nc_u32_e32 v146, 0x70, v135
	v_cmp_gt_u32_e32 vcc_lo, 0x71, v135
	v_dual_cndmask_b32 v146, 0, v146 :: v_dual_and_b32 v145, 0x7fffff, v144
	s_delay_alu instid0(VALU_DEP_1) | instskip(SKIP_2) | instid1(VALU_DEP_4)
	v_or_b32_e32 v147, 0x800000, v145
	v_cmp_eq_u32_e32 vcc_lo, 0, v135
	v_add_nc_u32_e32 v135, 0xffffff91, v135
	v_cndmask_b32_e64 v146, v146, 0x6f, vcc_lo
	s_delay_alu instid0(VALU_DEP_2) | instskip(SKIP_1) | instid1(VALU_DEP_3)
	v_cndmask_b32_e64 v135, v135, 0xffffff92, vcc_lo
	v_cndmask_b32_e32 v145, v147, v145, vcc_lo
	v_lshl_add_u32 v147, 0x200000, v146, -1
	v_lshlrev_b32_e64 v150, v146, 0x100000
	s_delay_alu instid0(VALU_DEP_3) | instskip(SKIP_1) | instid1(VALU_DEP_4)
	v_lshrrev_b32_e32 v148, v146, v145
	v_add_nc_u32_e32 v146, v146, v135
	v_and_b32_e32 v145, v147, v145
	s_delay_alu instid0(VALU_DEP_3) | instskip(NEXT) | instid1(VALU_DEP_2)
	v_bfe_u32 v149, v148, 21, 1
	v_cmp_eq_u32_e64 s14, v145, v150
	s_delay_alu instid0(VALU_DEP_2) | instskip(NEXT) | instid1(VALU_DEP_1)
	v_add_nc_u32_e32 v147, -1, v149
	v_cndmask_b32_e64 v145, 0, v147, s14
	v_lshrrev_b32_e32 v147, 23, v148
	s_mov_b32 s14, exec_lo
	s_delay_alu instid0(VALU_DEP_2) | instskip(NEXT) | instid1(VALU_DEP_2)
	v_add_nc_u32_e32 v145, v145, v148
	v_xor_b32_e32 v147, 1, v147
	s_delay_alu instid0(VALU_DEP_2) | instskip(NEXT) | instid1(VALU_DEP_1)
	v_and_b32_e32 v135, 0x1fffff, v145
	v_add_nc_u32_e32 v145, v135, v148
                                        ; implicit-def: $vgpr135
	s_delay_alu instid0(VALU_DEP_3)
	v_cmpx_ne_u32_e64 v146, v147
	s_xor_b32 s14, exec_lo, s14
; %bb.2016:                             ;   in Loop: Header=BB2_2000 Depth=4
	s_delay_alu instid0(VALU_DEP_2) | instskip(SKIP_2) | instid1(VALU_DEP_2)
	v_cmp_lt_u32_e32 vcc_lo, 0xffffff, v145
	v_sub_nc_u32_e32 v135, v146, v147
	v_cndmask_b32_e64 v146, 0, 1, vcc_lo
	v_add_co_ci_u32_e32 v135, vcc_lo, 0, v135, vcc_lo
	s_delay_alu instid0(VALU_DEP_2)
	v_lshrrev_b32_e32 v145, v146, v145
; %bb.2017:                             ;   in Loop: Header=BB2_2000 Depth=4
	s_and_not1_saveexec_b32 s14, s14
; %bb.2018:                             ;   in Loop: Header=BB2_2000 Depth=4
	s_delay_alu instid0(VALU_DEP_1)
	v_bfe_u32 v135, v145, 23, 1
; %bb.2019:                             ;   in Loop: Header=BB2_2000 Depth=4
	s_or_b32 exec_lo, exec_lo, s14
	v_lshrrev_b32_e32 v145, 21, v145
	s_delay_alu instid0(VALU_DEP_2) | instskip(SKIP_2) | instid1(VALU_DEP_2)
	v_cmp_gt_i32_e32 vcc_lo, 32, v135
	v_lshrrev_b32_e32 v144, 24, v144
	v_min_i32_e32 v146, 31, v135
	v_dual_cndmask_b32 v145, 3, v145 :: v_dual_and_b32 v144, 0x80, v144
	s_delay_alu instid0(VALU_DEP_1) | instskip(SKIP_1) | instid1(VALU_DEP_2)
	v_or_b32_e32 v135, v135, v145
	v_and_b32_e32 v147, 3, v145
	v_cmp_ne_u32_e32 vcc_lo, 0, v135
	v_lshlrev_b32_e32 v146, 2, v146
	s_delay_alu instid0(VALU_DEP_1) | instskip(NEXT) | instid1(VALU_DEP_1)
	v_or3_b32 v144, v146, v144, v147
	v_cndmask_b32_e32 v135, 0, v144, vcc_lo
.LBB2_2020:                             ;   in Loop: Header=BB2_2000 Depth=4
	s_or_b32 exec_lo, exec_lo, s38
.LBB2_2021:                             ;   in Loop: Header=BB2_2000 Depth=4
	s_delay_alu instid0(SALU_CYCLE_1) | instskip(SKIP_3) | instid1(VALU_DEP_1)
	s_or_b32 exec_lo, exec_lo, s37
	v_lshrrev_b16 v144, 8, v8
	s_mov_b32 s14, 0
	s_mov_b32 s38, exec_lo
                                        ; implicit-def: $sgpr37
	v_cmpx_lt_i16_e64 0x7f, v144
	s_xor_b32 s38, exec_lo, s38
	s_cbranch_execnz .LBB2_2459
; %bb.2022:                             ;   in Loop: Header=BB2_2000 Depth=4
	s_or_saveexec_b32 s38, s38
	v_mov_b32_e32 v145, s37
	s_xor_b32 exec_lo, exec_lo, s38
	s_cbranch_execnz .LBB2_2462
.LBB2_2023:                             ;   in Loop: Header=BB2_2000 Depth=4
	s_or_b32 exec_lo, exec_lo, s38
	s_and_saveexec_b32 s37, s14
	s_cbranch_execz .LBB2_2025
.LBB2_2024:                             ;   in Loop: Header=BB2_2000 Depth=4
	v_and_b32_e32 v145, 0xffff, v144
	v_lshlrev_b32_e32 v144, 24, v144
	s_delay_alu instid0(VALU_DEP_2) | instskip(NEXT) | instid1(VALU_DEP_2)
	v_and_b32_e32 v146, 3, v145
	v_and_b32_e32 v144, 0x80000000, v144
	s_delay_alu instid0(VALU_DEP_2) | instskip(NEXT) | instid1(VALU_DEP_1)
	v_clz_i32_u32_e32 v147, v146
	v_min_u32_e32 v147, 32, v147
	s_delay_alu instid0(VALU_DEP_1) | instskip(SKIP_1) | instid1(VALU_DEP_2)
	v_subrev_nc_u32_e32 v148, 29, v147
	v_sub_nc_u32_e32 v147, 30, v147
	v_lshlrev_b32_e32 v148, v148, v145
	v_bfe_u32 v145, v145, 2, 5
	s_delay_alu instid0(VALU_DEP_2) | instskip(NEXT) | instid1(VALU_DEP_2)
	v_and_b32_e32 v148, 3, v148
	v_cmp_eq_u32_e32 vcc_lo, 0, v145
	s_delay_alu instid0(VALU_DEP_2) | instskip(NEXT) | instid1(VALU_DEP_1)
	v_dual_cndmask_b32 v145, v145, v147 :: v_dual_cndmask_b32 v146, v146, v148
	v_lshl_add_u32 v145, v145, 23, 0x37800000
	s_delay_alu instid0(VALU_DEP_2) | instskip(NEXT) | instid1(VALU_DEP_1)
	v_lshlrev_b32_e32 v146, 21, v146
	v_or3_b32 v145, v144, v145, v146
.LBB2_2025:                             ;   in Loop: Header=BB2_2000 Depth=4
	s_or_b32 exec_lo, exec_lo, s37
	s_delay_alu instid0(VALU_DEP_1) | instskip(SKIP_1) | instid1(VALU_DEP_1)
	v_dual_mul_f32 v144, s36, v145 :: v_dual_mov_b32 v147, 0x80
	s_mov_b32 s37, exec_lo
	v_and_b32_e32 v145, 0x7f800000, v144
	s_delay_alu instid0(VALU_DEP_1)
	v_cmpx_ne_u32_e32 0x7f800000, v145
	s_cbranch_execz .LBB2_2033
; %bb.2026:                             ;   in Loop: Header=BB2_2000 Depth=4
	v_mov_b32_e32 v147, 0
	s_mov_b32 s38, exec_lo
	v_cmpx_ne_u32_e32 0, v144
	s_cbranch_execz .LBB2_2032
; %bb.2027:                             ;   in Loop: Header=BB2_2000 Depth=4
	v_bfe_u32 v145, v144, 23, 8
	s_delay_alu instid0(VALU_DEP_1) | instskip(SKIP_1) | instid1(VALU_DEP_2)
	v_sub_nc_u32_e32 v147, 0x70, v145
	v_cmp_gt_u32_e32 vcc_lo, 0x71, v145
	v_dual_cndmask_b32 v147, 0, v147 :: v_dual_and_b32 v146, 0x7fffff, v144
	s_delay_alu instid0(VALU_DEP_1) | instskip(SKIP_2) | instid1(VALU_DEP_4)
	v_or_b32_e32 v148, 0x800000, v146
	v_cmp_eq_u32_e32 vcc_lo, 0, v145
	v_add_nc_u32_e32 v145, 0xffffff91, v145
	v_cndmask_b32_e64 v147, v147, 0x6f, vcc_lo
	s_delay_alu instid0(VALU_DEP_4) | instskip(NEXT) | instid1(VALU_DEP_3)
	v_cndmask_b32_e32 v146, v148, v146, vcc_lo
	v_cndmask_b32_e64 v145, v145, 0xffffff92, vcc_lo
	s_delay_alu instid0(VALU_DEP_3) | instskip(NEXT) | instid1(VALU_DEP_3)
	v_lshl_add_u32 v148, 0x200000, v147, -1
	v_lshrrev_b32_e32 v149, v147, v146
	v_lshlrev_b32_e64 v151, v147, 0x100000
	s_delay_alu instid0(VALU_DEP_4) | instskip(NEXT) | instid1(VALU_DEP_4)
	v_add_nc_u32_e32 v147, v147, v145
	v_and_b32_e32 v146, v148, v146
	s_delay_alu instid0(VALU_DEP_4) | instskip(NEXT) | instid1(VALU_DEP_2)
	v_bfe_u32 v150, v149, 21, 1
	v_cmp_eq_u32_e64 s14, v146, v151
	s_delay_alu instid0(VALU_DEP_2) | instskip(NEXT) | instid1(VALU_DEP_1)
	v_add_nc_u32_e32 v148, -1, v150
	v_cndmask_b32_e64 v146, 0, v148, s14
	v_lshrrev_b32_e32 v148, 23, v149
	s_mov_b32 s14, exec_lo
	s_delay_alu instid0(VALU_DEP_2) | instskip(NEXT) | instid1(VALU_DEP_2)
	v_add_nc_u32_e32 v146, v146, v149
	v_xor_b32_e32 v148, 1, v148
	s_delay_alu instid0(VALU_DEP_2) | instskip(NEXT) | instid1(VALU_DEP_1)
	v_and_b32_e32 v145, 0x1fffff, v146
	v_add_nc_u32_e32 v146, v145, v149
                                        ; implicit-def: $vgpr145
	s_delay_alu instid0(VALU_DEP_3)
	v_cmpx_ne_u32_e64 v147, v148
	s_xor_b32 s14, exec_lo, s14
; %bb.2028:                             ;   in Loop: Header=BB2_2000 Depth=4
	s_delay_alu instid0(VALU_DEP_2) | instskip(SKIP_2) | instid1(VALU_DEP_2)
	v_cmp_lt_u32_e32 vcc_lo, 0xffffff, v146
	v_sub_nc_u32_e32 v145, v147, v148
	v_cndmask_b32_e64 v147, 0, 1, vcc_lo
	v_add_co_ci_u32_e32 v145, vcc_lo, 0, v145, vcc_lo
	s_delay_alu instid0(VALU_DEP_2)
	v_lshrrev_b32_e32 v146, v147, v146
; %bb.2029:                             ;   in Loop: Header=BB2_2000 Depth=4
	s_and_not1_saveexec_b32 s14, s14
; %bb.2030:                             ;   in Loop: Header=BB2_2000 Depth=4
	s_delay_alu instid0(VALU_DEP_1)
	v_bfe_u32 v145, v146, 23, 1
; %bb.2031:                             ;   in Loop: Header=BB2_2000 Depth=4
	s_or_b32 exec_lo, exec_lo, s14
	v_lshrrev_b32_e32 v146, 21, v146
	s_delay_alu instid0(VALU_DEP_2) | instskip(SKIP_2) | instid1(VALU_DEP_2)
	v_cmp_gt_i32_e32 vcc_lo, 32, v145
	v_min_i32_e32 v147, 31, v145
	v_lshrrev_b32_e32 v144, 24, v144
	v_dual_cndmask_b32 v146, 3, v146 :: v_dual_lshlrev_b32 v147, 2, v147
	s_delay_alu instid0(VALU_DEP_2) | instskip(NEXT) | instid1(VALU_DEP_2)
	v_and_b32_e32 v144, 0x80, v144
	v_or_b32_e32 v145, v145, v146
	s_delay_alu instid0(VALU_DEP_1) | instskip(SKIP_1) | instid1(VALU_DEP_1)
	v_cmp_ne_u32_e32 vcc_lo, 0, v145
	v_and_b32_e32 v148, 3, v146
	v_or3_b32 v144, v147, v144, v148
	s_delay_alu instid0(VALU_DEP_1)
	v_cndmask_b32_e32 v147, 0, v144, vcc_lo
.LBB2_2032:                             ;   in Loop: Header=BB2_2000 Depth=4
	s_or_b32 exec_lo, exec_lo, s38
.LBB2_2033:                             ;   in Loop: Header=BB2_2000 Depth=4
	s_delay_alu instid0(SALU_CYCLE_1) | instskip(SKIP_3) | instid1(VALU_DEP_1)
	s_or_b32 exec_lo, exec_lo, s37
	v_lshrrev_b32_e32 v144, 16, v8
	s_mov_b32 s14, 0
	s_mov_b32 s38, exec_lo
                                        ; implicit-def: $sgpr37
	v_and_b32_e32 v146, 0xff, v144
	s_delay_alu instid0(VALU_DEP_1)
	v_cmpx_lt_i16_e64 0x7f, v146
	s_xor_b32 s38, exec_lo, s38
	s_cbranch_execnz .LBB2_2463
; %bb.2034:                             ;   in Loop: Header=BB2_2000 Depth=4
	s_or_saveexec_b32 s38, s38
	v_mov_b32_e32 v145, s37
	s_xor_b32 exec_lo, exec_lo, s38
	s_cbranch_execnz .LBB2_2466
.LBB2_2035:                             ;   in Loop: Header=BB2_2000 Depth=4
	s_or_b32 exec_lo, exec_lo, s38
	s_and_saveexec_b32 s37, s14
	s_cbranch_execz .LBB2_2037
.LBB2_2036:                             ;   in Loop: Header=BB2_2000 Depth=4
	v_bfe_u32 v145, v8, 16, 2
	s_delay_alu instid0(VALU_DEP_1) | instskip(NEXT) | instid1(VALU_DEP_1)
	v_clz_i32_u32_e32 v146, v145
	v_min_u32_e32 v146, 32, v146
	s_delay_alu instid0(VALU_DEP_1) | instskip(SKIP_1) | instid1(VALU_DEP_2)
	v_subrev_nc_u32_e32 v148, 29, v146
	v_sub_nc_u32_e32 v146, 30, v146
	v_lshlrev_b32_e32 v144, v148, v144
	v_bfe_u32 v148, v8, 18, 5
	s_delay_alu instid0(VALU_DEP_2) | instskip(NEXT) | instid1(VALU_DEP_2)
	v_and_b32_e32 v144, 3, v144
	v_cmp_eq_u32_e32 vcc_lo, 0, v148
	v_dual_cndmask_b32 v146, v148, v146 :: v_dual_lshlrev_b32 v149, 8, v8
	s_delay_alu instid0(VALU_DEP_1) | instskip(NEXT) | instid1(VALU_DEP_2)
	v_dual_cndmask_b32 v144, v145, v144 :: v_dual_and_b32 v145, 0x80000000, v149
	v_lshl_add_u32 v146, v146, 23, 0x37800000
	s_delay_alu instid0(VALU_DEP_2) | instskip(NEXT) | instid1(VALU_DEP_1)
	v_lshlrev_b32_e32 v144, 21, v144
	v_or3_b32 v145, v145, v146, v144
.LBB2_2037:                             ;   in Loop: Header=BB2_2000 Depth=4
	s_or_b32 exec_lo, exec_lo, s37
	s_delay_alu instid0(VALU_DEP_1) | instskip(SKIP_1) | instid1(VALU_DEP_1)
	v_dual_mul_f32 v144, s36, v145 :: v_dual_mov_b32 v161, 0x80
	s_mov_b32 s37, exec_lo
	v_and_b32_e32 v145, 0x7f800000, v144
	s_delay_alu instid0(VALU_DEP_1)
	v_cmpx_ne_u32_e32 0x7f800000, v145
	s_cbranch_execz .LBB2_2045
; %bb.2038:                             ;   in Loop: Header=BB2_2000 Depth=4
	v_mov_b32_e32 v161, 0
	s_mov_b32 s38, exec_lo
	v_cmpx_ne_u32_e32 0, v144
	s_cbranch_execz .LBB2_2044
; %bb.2039:                             ;   in Loop: Header=BB2_2000 Depth=4
	v_bfe_u32 v145, v144, 23, 8
	v_and_b32_e32 v146, 0x7fffff, v144
	s_delay_alu instid0(VALU_DEP_2) | instskip(SKIP_1) | instid1(VALU_DEP_3)
	v_sub_nc_u32_e32 v148, 0x70, v145
	v_cmp_gt_u32_e32 vcc_lo, 0x71, v145
	v_or_b32_e32 v149, 0x800000, v146
	s_delay_alu instid0(VALU_DEP_3) | instskip(SKIP_2) | instid1(VALU_DEP_3)
	v_cndmask_b32_e32 v148, 0, v148, vcc_lo
	v_cmp_eq_u32_e32 vcc_lo, 0, v145
	v_add_nc_u32_e32 v145, 0xffffff91, v145
	v_cndmask_b32_e64 v148, v148, 0x6f, vcc_lo
	v_cndmask_b32_e32 v146, v149, v146, vcc_lo
	s_delay_alu instid0(VALU_DEP_3) | instskip(NEXT) | instid1(VALU_DEP_3)
	v_cndmask_b32_e64 v145, v145, 0xffffff92, vcc_lo
	v_lshl_add_u32 v149, 0x200000, v148, -1
	s_delay_alu instid0(VALU_DEP_3) | instskip(SKIP_1) | instid1(VALU_DEP_4)
	v_lshrrev_b32_e32 v150, v148, v146
	v_lshlrev_b32_e64 v160, v148, 0x100000
	v_add_nc_u32_e32 v148, v148, v145
	s_delay_alu instid0(VALU_DEP_4) | instskip(NEXT) | instid1(VALU_DEP_4)
	v_and_b32_e32 v146, v149, v146
	v_bfe_u32 v151, v150, 21, 1
	s_delay_alu instid0(VALU_DEP_2) | instskip(NEXT) | instid1(VALU_DEP_2)
	v_cmp_eq_u32_e64 s14, v146, v160
	v_add_nc_u32_e32 v149, -1, v151
	s_delay_alu instid0(VALU_DEP_1) | instskip(SKIP_2) | instid1(VALU_DEP_2)
	v_cndmask_b32_e64 v146, 0, v149, s14
	v_lshrrev_b32_e32 v149, 23, v150
	s_mov_b32 s14, exec_lo
	v_add_nc_u32_e32 v146, v146, v150
	s_delay_alu instid0(VALU_DEP_2) | instskip(NEXT) | instid1(VALU_DEP_2)
	v_xor_b32_e32 v149, 1, v149
	v_and_b32_e32 v145, 0x1fffff, v146
	s_delay_alu instid0(VALU_DEP_1) | instskip(NEXT) | instid1(VALU_DEP_3)
	v_add_nc_u32_e32 v146, v145, v150
                                        ; implicit-def: $vgpr145
	v_cmpx_ne_u32_e64 v148, v149
	s_xor_b32 s14, exec_lo, s14
; %bb.2040:                             ;   in Loop: Header=BB2_2000 Depth=4
	s_delay_alu instid0(VALU_DEP_2) | instskip(SKIP_2) | instid1(VALU_DEP_2)
	v_cmp_lt_u32_e32 vcc_lo, 0xffffff, v146
	v_sub_nc_u32_e32 v145, v148, v149
	v_cndmask_b32_e64 v148, 0, 1, vcc_lo
	v_add_co_ci_u32_e32 v145, vcc_lo, 0, v145, vcc_lo
	s_delay_alu instid0(VALU_DEP_2)
	v_lshrrev_b32_e32 v146, v148, v146
; %bb.2041:                             ;   in Loop: Header=BB2_2000 Depth=4
	s_and_not1_saveexec_b32 s14, s14
; %bb.2042:                             ;   in Loop: Header=BB2_2000 Depth=4
	s_delay_alu instid0(VALU_DEP_1)
	v_bfe_u32 v145, v146, 23, 1
; %bb.2043:                             ;   in Loop: Header=BB2_2000 Depth=4
	s_or_b32 exec_lo, exec_lo, s14
	v_lshrrev_b32_e32 v146, 21, v146
	s_delay_alu instid0(VALU_DEP_2) | instskip(SKIP_2) | instid1(VALU_DEP_4)
	v_cmp_gt_i32_e32 vcc_lo, 32, v145
	v_lshrrev_b32_e32 v144, 24, v144
	v_min_i32_e32 v148, 31, v145
	v_cndmask_b32_e32 v146, 3, v146, vcc_lo
	s_delay_alu instid0(VALU_DEP_3) | instskip(NEXT) | instid1(VALU_DEP_3)
	v_and_b32_e32 v144, 0x80, v144
	v_lshlrev_b32_e32 v148, 2, v148
	s_delay_alu instid0(VALU_DEP_3) | instskip(SKIP_1) | instid1(VALU_DEP_2)
	v_and_b32_e32 v149, 3, v146
	v_or_b32_e32 v145, v145, v146
	v_or3_b32 v144, v148, v144, v149
	s_delay_alu instid0(VALU_DEP_2) | instskip(NEXT) | instid1(VALU_DEP_2)
	v_cmp_ne_u32_e32 vcc_lo, 0, v145
	v_cndmask_b32_e32 v161, 0, v144, vcc_lo
.LBB2_2044:                             ;   in Loop: Header=BB2_2000 Depth=4
	s_or_b32 exec_lo, exec_lo, s38
.LBB2_2045:                             ;   in Loop: Header=BB2_2000 Depth=4
	s_delay_alu instid0(SALU_CYCLE_1) | instskip(SKIP_3) | instid1(VALU_DEP_1)
	s_or_b32 exec_lo, exec_lo, s37
	v_lshrrev_b32_e32 v144, 24, v8
	s_mov_b32 s14, 0
	s_mov_b32 s38, exec_lo
                                        ; implicit-def: $sgpr37
	v_cmpx_lt_i16_e64 0x7f, v144
	s_xor_b32 s38, exec_lo, s38
	s_cbranch_execnz .LBB2_2467
; %bb.2046:                             ;   in Loop: Header=BB2_2000 Depth=4
	s_or_saveexec_b32 s38, s38
	v_mov_b32_e32 v145, s37
	s_xor_b32 exec_lo, exec_lo, s38
	s_cbranch_execnz .LBB2_2470
.LBB2_2047:                             ;   in Loop: Header=BB2_2000 Depth=4
	s_or_b32 exec_lo, exec_lo, s38
	s_and_saveexec_b32 s37, s14
	s_cbranch_execz .LBB2_2049
.LBB2_2048:                             ;   in Loop: Header=BB2_2000 Depth=4
	v_bfe_u32 v145, v8, 24, 2
	s_delay_alu instid0(VALU_DEP_1) | instskip(NEXT) | instid1(VALU_DEP_1)
	v_clz_i32_u32_e32 v146, v145
	v_min_u32_e32 v146, 32, v146
	s_delay_alu instid0(VALU_DEP_1) | instskip(SKIP_1) | instid1(VALU_DEP_2)
	v_subrev_nc_u32_e32 v148, 29, v146
	v_sub_nc_u32_e32 v146, 30, v146
	v_lshlrev_b32_e32 v144, v148, v144
	v_bfe_u32 v148, v8, 26, 5
	v_and_b32_e32 v8, 0x80000000, v8
	s_delay_alu instid0(VALU_DEP_3) | instskip(NEXT) | instid1(VALU_DEP_3)
	v_and_b32_e32 v144, 3, v144
	v_cmp_eq_u32_e32 vcc_lo, 0, v148
	v_cndmask_b32_e32 v146, v148, v146, vcc_lo
	s_delay_alu instid0(VALU_DEP_3) | instskip(NEXT) | instid1(VALU_DEP_2)
	v_cndmask_b32_e32 v144, v145, v144, vcc_lo
	v_lshl_add_u32 v145, v146, 23, 0x37800000
	s_delay_alu instid0(VALU_DEP_2) | instskip(NEXT) | instid1(VALU_DEP_1)
	v_lshlrev_b32_e32 v144, 21, v144
	v_or3_b32 v145, v8, v145, v144
.LBB2_2049:                             ;   in Loop: Header=BB2_2000 Depth=4
	s_or_b32 exec_lo, exec_lo, s37
	s_delay_alu instid0(VALU_DEP_1) | instskip(SKIP_2) | instid1(VALU_DEP_2)
	v_mul_f32_e32 v8, s36, v145
	v_mov_b32_e32 v164, 0x80
	s_mov_b32 s37, exec_lo
	v_and_b32_e32 v144, 0x7f800000, v8
	s_delay_alu instid0(VALU_DEP_1)
	v_cmpx_ne_u32_e32 0x7f800000, v144
	s_cbranch_execz .LBB2_2057
; %bb.2050:                             ;   in Loop: Header=BB2_2000 Depth=4
	v_mov_b32_e32 v164, 0
	s_mov_b32 s38, exec_lo
	v_cmpx_ne_u32_e32 0, v8
	s_cbranch_execz .LBB2_2056
; %bb.2051:                             ;   in Loop: Header=BB2_2000 Depth=4
	v_bfe_u32 v144, v8, 23, 8
	s_delay_alu instid0(VALU_DEP_1) | instskip(SKIP_1) | instid1(VALU_DEP_2)
	v_sub_nc_u32_e32 v146, 0x70, v144
	v_cmp_gt_u32_e32 vcc_lo, 0x71, v144
	v_dual_cndmask_b32 v146, 0, v146 :: v_dual_and_b32 v145, 0x7fffff, v8
	s_delay_alu instid0(VALU_DEP_1) | instskip(SKIP_2) | instid1(VALU_DEP_4)
	v_or_b32_e32 v148, 0x800000, v145
	v_cmp_eq_u32_e32 vcc_lo, 0, v144
	v_add_nc_u32_e32 v144, 0xffffff91, v144
	v_cndmask_b32_e64 v146, v146, 0x6f, vcc_lo
	s_delay_alu instid0(VALU_DEP_4) | instskip(NEXT) | instid1(VALU_DEP_3)
	v_cndmask_b32_e32 v145, v148, v145, vcc_lo
	v_cndmask_b32_e64 v144, v144, 0xffffff92, vcc_lo
	s_delay_alu instid0(VALU_DEP_3) | instskip(NEXT) | instid1(VALU_DEP_3)
	v_lshl_add_u32 v148, 0x200000, v146, -1
	v_lshrrev_b32_e32 v149, v146, v145
	v_lshlrev_b32_e64 v151, v146, 0x100000
	s_delay_alu instid0(VALU_DEP_4) | instskip(NEXT) | instid1(VALU_DEP_4)
	v_add_nc_u32_e32 v146, v146, v144
	v_and_b32_e32 v145, v148, v145
	s_delay_alu instid0(VALU_DEP_4) | instskip(NEXT) | instid1(VALU_DEP_2)
	v_bfe_u32 v150, v149, 21, 1
	v_cmp_eq_u32_e64 s14, v145, v151
	s_delay_alu instid0(VALU_DEP_2) | instskip(NEXT) | instid1(VALU_DEP_1)
	v_add_nc_u32_e32 v148, -1, v150
	v_cndmask_b32_e64 v145, 0, v148, s14
	v_lshrrev_b32_e32 v148, 23, v149
	s_mov_b32 s14, exec_lo
	s_delay_alu instid0(VALU_DEP_2) | instskip(NEXT) | instid1(VALU_DEP_2)
	v_add_nc_u32_e32 v145, v145, v149
	v_xor_b32_e32 v148, 1, v148
	s_delay_alu instid0(VALU_DEP_2) | instskip(NEXT) | instid1(VALU_DEP_1)
	v_and_b32_e32 v144, 0x1fffff, v145
	v_add_nc_u32_e32 v145, v144, v149
                                        ; implicit-def: $vgpr144
	s_delay_alu instid0(VALU_DEP_3)
	v_cmpx_ne_u32_e64 v146, v148
	s_xor_b32 s14, exec_lo, s14
; %bb.2052:                             ;   in Loop: Header=BB2_2000 Depth=4
	s_delay_alu instid0(VALU_DEP_2) | instskip(SKIP_2) | instid1(VALU_DEP_2)
	v_cmp_lt_u32_e32 vcc_lo, 0xffffff, v145
	v_sub_nc_u32_e32 v144, v146, v148
	v_cndmask_b32_e64 v146, 0, 1, vcc_lo
	v_add_co_ci_u32_e32 v144, vcc_lo, 0, v144, vcc_lo
	s_delay_alu instid0(VALU_DEP_2)
	v_lshrrev_b32_e32 v145, v146, v145
; %bb.2053:                             ;   in Loop: Header=BB2_2000 Depth=4
	s_and_not1_saveexec_b32 s14, s14
; %bb.2054:                             ;   in Loop: Header=BB2_2000 Depth=4
	s_delay_alu instid0(VALU_DEP_1)
	v_bfe_u32 v144, v145, 23, 1
; %bb.2055:                             ;   in Loop: Header=BB2_2000 Depth=4
	s_or_b32 exec_lo, exec_lo, s14
	v_lshrrev_b32_e32 v145, 21, v145
	s_delay_alu instid0(VALU_DEP_2) | instskip(SKIP_2) | instid1(VALU_DEP_2)
	v_cmp_gt_i32_e32 vcc_lo, 32, v144
	v_lshrrev_b32_e32 v8, 24, v8
	v_min_i32_e32 v146, 31, v144
	v_dual_cndmask_b32 v145, 3, v145 :: v_dual_and_b32 v8, 0x80, v8
	s_delay_alu instid0(VALU_DEP_2) | instskip(NEXT) | instid1(VALU_DEP_2)
	v_lshlrev_b32_e32 v146, 2, v146
	v_and_b32_e32 v148, 3, v145
	v_or_b32_e32 v144, v144, v145
	s_delay_alu instid0(VALU_DEP_2) | instskip(NEXT) | instid1(VALU_DEP_2)
	v_or3_b32 v8, v146, v8, v148
	v_cmp_ne_u32_e32 vcc_lo, 0, v144
	s_delay_alu instid0(VALU_DEP_2)
	v_cndmask_b32_e32 v164, 0, v8, vcc_lo
.LBB2_2056:                             ;   in Loop: Header=BB2_2000 Depth=4
	s_or_b32 exec_lo, exec_lo, s38
.LBB2_2057:                             ;   in Loop: Header=BB2_2000 Depth=4
	s_delay_alu instid0(SALU_CYCLE_1) | instskip(SKIP_3) | instid1(VALU_DEP_1)
	s_or_b32 exec_lo, exec_lo, s37
	v_and_b32_e32 v144, 0xff, v9
	s_mov_b32 s14, 0
	s_mov_b32 s38, exec_lo
                                        ; implicit-def: $sgpr37
	v_cmpx_lt_i16_e64 0x7f, v144
	s_xor_b32 s38, exec_lo, s38
	s_cbranch_execnz .LBB2_2471
; %bb.2058:                             ;   in Loop: Header=BB2_2000 Depth=4
	s_or_saveexec_b32 s38, s38
	v_mov_b32_e32 v8, s37
	s_xor_b32 exec_lo, exec_lo, s38
	s_cbranch_execnz .LBB2_2474
.LBB2_2059:                             ;   in Loop: Header=BB2_2000 Depth=4
	s_or_b32 exec_lo, exec_lo, s38
	s_and_saveexec_b32 s37, s14
	s_cbranch_execz .LBB2_2061
.LBB2_2060:                             ;   in Loop: Header=BB2_2000 Depth=4
	v_and_b32_e32 v8, 3, v9
	v_bfe_u32 v146, v9, 2, 5
	v_lshlrev_b32_e32 v148, 24, v9
	s_delay_alu instid0(VALU_DEP_3) | instskip(NEXT) | instid1(VALU_DEP_3)
	v_clz_i32_u32_e32 v144, v8
	v_cmp_eq_u32_e32 vcc_lo, 0, v146
	s_delay_alu instid0(VALU_DEP_2) | instskip(NEXT) | instid1(VALU_DEP_1)
	v_min_u32_e32 v144, 32, v144
	v_subrev_nc_u32_e32 v145, 29, v144
	v_sub_nc_u32_e32 v144, 30, v144
	s_delay_alu instid0(VALU_DEP_1) | instskip(NEXT) | instid1(VALU_DEP_1)
	v_dual_cndmask_b32 v144, v146, v144 :: v_dual_lshlrev_b32 v145, v145, v9
	v_and_b32_e32 v145, 3, v145
	s_delay_alu instid0(VALU_DEP_2) | instskip(NEXT) | instid1(VALU_DEP_2)
	v_lshl_add_u32 v144, v144, 23, 0x37800000
	v_dual_cndmask_b32 v8, v8, v145 :: v_dual_and_b32 v145, 0x80000000, v148
	s_delay_alu instid0(VALU_DEP_1) | instskip(NEXT) | instid1(VALU_DEP_1)
	v_lshlrev_b32_e32 v8, 21, v8
	v_or3_b32 v8, v145, v144, v8
.LBB2_2061:                             ;   in Loop: Header=BB2_2000 Depth=4
	s_or_b32 exec_lo, exec_lo, s37
	s_delay_alu instid0(VALU_DEP_1) | instskip(SKIP_1) | instid1(VALU_DEP_1)
	v_dual_mul_f32 v8, s36, v8 :: v_dual_mov_b32 v163, 0x80
	s_mov_b32 s37, exec_lo
	v_and_b32_e32 v144, 0x7f800000, v8
	s_delay_alu instid0(VALU_DEP_1)
	v_cmpx_ne_u32_e32 0x7f800000, v144
	s_cbranch_execz .LBB2_2069
; %bb.2062:                             ;   in Loop: Header=BB2_2000 Depth=4
	v_mov_b32_e32 v163, 0
	s_mov_b32 s38, exec_lo
	v_cmpx_ne_u32_e32 0, v8
	s_cbranch_execz .LBB2_2068
; %bb.2063:                             ;   in Loop: Header=BB2_2000 Depth=4
	v_bfe_u32 v144, v8, 23, 8
	s_delay_alu instid0(VALU_DEP_1) | instskip(SKIP_1) | instid1(VALU_DEP_2)
	v_sub_nc_u32_e32 v146, 0x70, v144
	v_cmp_gt_u32_e32 vcc_lo, 0x71, v144
	v_dual_cndmask_b32 v146, 0, v146 :: v_dual_and_b32 v145, 0x7fffff, v8
	s_delay_alu instid0(VALU_DEP_1) | instskip(SKIP_2) | instid1(VALU_DEP_4)
	v_or_b32_e32 v148, 0x800000, v145
	v_cmp_eq_u32_e32 vcc_lo, 0, v144
	v_add_nc_u32_e32 v144, 0xffffff91, v144
	v_cndmask_b32_e64 v146, v146, 0x6f, vcc_lo
	s_delay_alu instid0(VALU_DEP_4) | instskip(NEXT) | instid1(VALU_DEP_3)
	v_cndmask_b32_e32 v145, v148, v145, vcc_lo
	v_cndmask_b32_e64 v144, v144, 0xffffff92, vcc_lo
	s_delay_alu instid0(VALU_DEP_3) | instskip(NEXT) | instid1(VALU_DEP_3)
	v_lshl_add_u32 v148, 0x200000, v146, -1
	v_lshrrev_b32_e32 v149, v146, v145
	v_lshlrev_b32_e64 v151, v146, 0x100000
	s_delay_alu instid0(VALU_DEP_4) | instskip(NEXT) | instid1(VALU_DEP_4)
	v_add_nc_u32_e32 v146, v146, v144
	v_and_b32_e32 v145, v148, v145
	s_delay_alu instid0(VALU_DEP_4) | instskip(NEXT) | instid1(VALU_DEP_2)
	v_bfe_u32 v150, v149, 21, 1
	v_cmp_eq_u32_e64 s14, v145, v151
	s_delay_alu instid0(VALU_DEP_2) | instskip(NEXT) | instid1(VALU_DEP_1)
	v_add_nc_u32_e32 v148, -1, v150
	v_cndmask_b32_e64 v145, 0, v148, s14
	v_lshrrev_b32_e32 v148, 23, v149
	s_mov_b32 s14, exec_lo
	s_delay_alu instid0(VALU_DEP_2) | instskip(NEXT) | instid1(VALU_DEP_2)
	v_add_nc_u32_e32 v145, v145, v149
	v_xor_b32_e32 v148, 1, v148
	s_delay_alu instid0(VALU_DEP_2) | instskip(NEXT) | instid1(VALU_DEP_1)
	v_and_b32_e32 v144, 0x1fffff, v145
	v_add_nc_u32_e32 v145, v144, v149
                                        ; implicit-def: $vgpr144
	s_delay_alu instid0(VALU_DEP_3)
	v_cmpx_ne_u32_e64 v146, v148
	s_xor_b32 s14, exec_lo, s14
; %bb.2064:                             ;   in Loop: Header=BB2_2000 Depth=4
	s_delay_alu instid0(VALU_DEP_2) | instskip(SKIP_2) | instid1(VALU_DEP_2)
	v_cmp_lt_u32_e32 vcc_lo, 0xffffff, v145
	v_sub_nc_u32_e32 v144, v146, v148
	v_cndmask_b32_e64 v146, 0, 1, vcc_lo
	v_add_co_ci_u32_e32 v144, vcc_lo, 0, v144, vcc_lo
	s_delay_alu instid0(VALU_DEP_2)
	v_lshrrev_b32_e32 v145, v146, v145
; %bb.2065:                             ;   in Loop: Header=BB2_2000 Depth=4
	s_and_not1_saveexec_b32 s14, s14
; %bb.2066:                             ;   in Loop: Header=BB2_2000 Depth=4
	s_delay_alu instid0(VALU_DEP_1)
	v_bfe_u32 v144, v145, 23, 1
; %bb.2067:                             ;   in Loop: Header=BB2_2000 Depth=4
	s_or_b32 exec_lo, exec_lo, s14
	v_lshrrev_b32_e32 v145, 21, v145
	s_delay_alu instid0(VALU_DEP_2) | instskip(SKIP_2) | instid1(VALU_DEP_2)
	v_cmp_gt_i32_e32 vcc_lo, 32, v144
	v_min_i32_e32 v146, 31, v144
	v_lshrrev_b32_e32 v8, 24, v8
	v_dual_cndmask_b32 v145, 3, v145 :: v_dual_lshlrev_b32 v146, 2, v146
	s_delay_alu instid0(VALU_DEP_2) | instskip(NEXT) | instid1(VALU_DEP_2)
	v_and_b32_e32 v8, 0x80, v8
	v_or_b32_e32 v144, v144, v145
	s_delay_alu instid0(VALU_DEP_3) | instskip(NEXT) | instid1(VALU_DEP_2)
	v_and_b32_e32 v146, 0xfc, v146
	v_cmp_ne_u32_e32 vcc_lo, 0, v144
	v_and_b32_e32 v148, 3, v145
	s_delay_alu instid0(VALU_DEP_1) | instskip(NEXT) | instid1(VALU_DEP_1)
	v_or3_b32 v8, v146, v8, v148
	v_cndmask_b32_e32 v163, 0, v8, vcc_lo
.LBB2_2068:                             ;   in Loop: Header=BB2_2000 Depth=4
	s_or_b32 exec_lo, exec_lo, s38
.LBB2_2069:                             ;   in Loop: Header=BB2_2000 Depth=4
	s_delay_alu instid0(SALU_CYCLE_1) | instskip(SKIP_3) | instid1(VALU_DEP_1)
	s_or_b32 exec_lo, exec_lo, s37
	v_lshrrev_b16 v8, 8, v9
	s_mov_b32 s14, 0
	s_mov_b32 s38, exec_lo
                                        ; implicit-def: $sgpr37
	v_cmpx_lt_i16_e32 0x7f, v8
	s_xor_b32 s38, exec_lo, s38
	s_cbranch_execnz .LBB2_2475
; %bb.2070:                             ;   in Loop: Header=BB2_2000 Depth=4
	s_or_saveexec_b32 s38, s38
	v_mov_b32_e32 v144, s37
	s_xor_b32 exec_lo, exec_lo, s38
	s_cbranch_execnz .LBB2_2478
.LBB2_2071:                             ;   in Loop: Header=BB2_2000 Depth=4
	s_or_b32 exec_lo, exec_lo, s38
	s_and_saveexec_b32 s37, s14
	s_cbranch_execz .LBB2_2073
.LBB2_2072:                             ;   in Loop: Header=BB2_2000 Depth=4
	v_and_b32_e32 v144, 0xffff, v8
	v_lshlrev_b32_e32 v8, 24, v8
	s_delay_alu instid0(VALU_DEP_2) | instskip(NEXT) | instid1(VALU_DEP_2)
	v_and_b32_e32 v145, 3, v144
	v_and_b32_e32 v8, 0x80000000, v8
	s_delay_alu instid0(VALU_DEP_2) | instskip(NEXT) | instid1(VALU_DEP_1)
	v_clz_i32_u32_e32 v146, v145
	v_min_u32_e32 v146, 32, v146
	s_delay_alu instid0(VALU_DEP_1) | instskip(SKIP_1) | instid1(VALU_DEP_2)
	v_subrev_nc_u32_e32 v148, 29, v146
	v_sub_nc_u32_e32 v146, 30, v146
	v_lshlrev_b32_e32 v148, v148, v144
	v_bfe_u32 v144, v144, 2, 5
	s_delay_alu instid0(VALU_DEP_2) | instskip(NEXT) | instid1(VALU_DEP_2)
	v_and_b32_e32 v148, 3, v148
	v_cmp_eq_u32_e32 vcc_lo, 0, v144
	s_delay_alu instid0(VALU_DEP_2) | instskip(NEXT) | instid1(VALU_DEP_1)
	v_dual_cndmask_b32 v144, v144, v146 :: v_dual_cndmask_b32 v145, v145, v148
	v_lshl_add_u32 v144, v144, 23, 0x37800000
	s_delay_alu instid0(VALU_DEP_2) | instskip(NEXT) | instid1(VALU_DEP_1)
	v_lshlrev_b32_e32 v145, 21, v145
	v_or3_b32 v144, v8, v144, v145
.LBB2_2073:                             ;   in Loop: Header=BB2_2000 Depth=4
	s_or_b32 exec_lo, exec_lo, s37
	s_delay_alu instid0(VALU_DEP_1) | instskip(SKIP_2) | instid1(VALU_DEP_2)
	v_mul_f32_e32 v8, s36, v144
	v_mov_b32_e32 v166, 0x8000
	s_mov_b32 s37, exec_lo
	v_and_b32_e32 v144, 0x7f800000, v8
	s_delay_alu instid0(VALU_DEP_1)
	v_cmpx_ne_u32_e32 0x7f800000, v144
	s_cbranch_execz .LBB2_2081
; %bb.2074:                             ;   in Loop: Header=BB2_2000 Depth=4
	v_mov_b32_e32 v166, 0
	s_mov_b32 s38, exec_lo
	v_cmpx_ne_u32_e32 0, v8
	s_cbranch_execz .LBB2_2080
; %bb.2075:                             ;   in Loop: Header=BB2_2000 Depth=4
	v_bfe_u32 v144, v8, 23, 8
	s_delay_alu instid0(VALU_DEP_1) | instskip(SKIP_1) | instid1(VALU_DEP_2)
	v_sub_nc_u32_e32 v146, 0x70, v144
	v_cmp_gt_u32_e32 vcc_lo, 0x71, v144
	v_dual_cndmask_b32 v146, 0, v146 :: v_dual_and_b32 v145, 0x7fffff, v8
	s_delay_alu instid0(VALU_DEP_1) | instskip(SKIP_2) | instid1(VALU_DEP_4)
	v_or_b32_e32 v148, 0x800000, v145
	v_cmp_eq_u32_e32 vcc_lo, 0, v144
	v_add_nc_u32_e32 v144, 0xffffff91, v144
	v_cndmask_b32_e64 v146, v146, 0x6f, vcc_lo
	s_delay_alu instid0(VALU_DEP_4) | instskip(NEXT) | instid1(VALU_DEP_3)
	v_cndmask_b32_e32 v145, v148, v145, vcc_lo
	v_cndmask_b32_e64 v144, v144, 0xffffff92, vcc_lo
	s_delay_alu instid0(VALU_DEP_3) | instskip(NEXT) | instid1(VALU_DEP_3)
	v_lshl_add_u32 v148, 0x200000, v146, -1
	v_lshrrev_b32_e32 v149, v146, v145
	v_lshlrev_b32_e64 v151, v146, 0x100000
	s_delay_alu instid0(VALU_DEP_4) | instskip(NEXT) | instid1(VALU_DEP_4)
	v_add_nc_u32_e32 v146, v146, v144
	v_and_b32_e32 v145, v148, v145
	s_delay_alu instid0(VALU_DEP_4) | instskip(NEXT) | instid1(VALU_DEP_2)
	v_bfe_u32 v150, v149, 21, 1
	v_cmp_eq_u32_e64 s14, v145, v151
	s_delay_alu instid0(VALU_DEP_2) | instskip(NEXT) | instid1(VALU_DEP_1)
	v_add_nc_u32_e32 v148, -1, v150
	v_cndmask_b32_e64 v145, 0, v148, s14
	v_lshrrev_b32_e32 v148, 23, v149
	s_mov_b32 s14, exec_lo
	s_delay_alu instid0(VALU_DEP_2) | instskip(NEXT) | instid1(VALU_DEP_2)
	v_add_nc_u32_e32 v145, v145, v149
	v_xor_b32_e32 v148, 1, v148
	s_delay_alu instid0(VALU_DEP_2) | instskip(NEXT) | instid1(VALU_DEP_1)
	v_and_b32_e32 v144, 0x1fffff, v145
	v_add_nc_u32_e32 v145, v144, v149
                                        ; implicit-def: $vgpr144
	s_delay_alu instid0(VALU_DEP_3)
	v_cmpx_ne_u32_e64 v146, v148
	s_xor_b32 s14, exec_lo, s14
; %bb.2076:                             ;   in Loop: Header=BB2_2000 Depth=4
	s_delay_alu instid0(VALU_DEP_2) | instskip(SKIP_2) | instid1(VALU_DEP_2)
	v_cmp_lt_u32_e32 vcc_lo, 0xffffff, v145
	v_sub_nc_u32_e32 v144, v146, v148
	v_cndmask_b32_e64 v146, 0, 1, vcc_lo
	v_add_co_ci_u32_e32 v144, vcc_lo, 0, v144, vcc_lo
	s_delay_alu instid0(VALU_DEP_2)
	v_lshrrev_b32_e32 v145, v146, v145
; %bb.2077:                             ;   in Loop: Header=BB2_2000 Depth=4
	s_and_not1_saveexec_b32 s14, s14
; %bb.2078:                             ;   in Loop: Header=BB2_2000 Depth=4
	s_delay_alu instid0(VALU_DEP_1)
	v_bfe_u32 v144, v145, 23, 1
; %bb.2079:                             ;   in Loop: Header=BB2_2000 Depth=4
	s_or_b32 exec_lo, exec_lo, s14
	v_lshrrev_b32_e32 v145, 21, v145
	s_delay_alu instid0(VALU_DEP_2) | instskip(SKIP_2) | instid1(VALU_DEP_3)
	v_min_i32_e32 v146, 31, v144
	v_cmp_gt_i32_e32 vcc_lo, 32, v144
	v_lshrrev_b32_e32 v8, 24, v8
	v_dual_cndmask_b32 v145, 3, v145 :: v_dual_lshlrev_b32 v146, 2, v146
	s_delay_alu instid0(VALU_DEP_2) | instskip(NEXT) | instid1(VALU_DEP_2)
	v_and_b32_e32 v8, 0x80, v8
	v_and_b32_e32 v146, 0xfc, v146
	s_delay_alu instid0(VALU_DEP_3) | instskip(SKIP_1) | instid1(VALU_DEP_2)
	v_and_b32_e32 v148, 3, v145
	v_or_b32_e32 v144, v144, v145
	v_or3_b32 v8, v8, v146, v148
	s_delay_alu instid0(VALU_DEP_2) | instskip(NEXT) | instid1(VALU_DEP_2)
	v_cmp_ne_u32_e32 vcc_lo, 0, v144
	v_lshlrev_b32_e32 v8, 8, v8
	s_delay_alu instid0(VALU_DEP_1)
	v_cndmask_b32_e32 v166, 0, v8, vcc_lo
.LBB2_2080:                             ;   in Loop: Header=BB2_2000 Depth=4
	s_or_b32 exec_lo, exec_lo, s38
.LBB2_2081:                             ;   in Loop: Header=BB2_2000 Depth=4
	s_delay_alu instid0(SALU_CYCLE_1) | instskip(SKIP_3) | instid1(VALU_DEP_1)
	s_or_b32 exec_lo, exec_lo, s37
	v_lshrrev_b32_e32 v8, 16, v9
	s_mov_b32 s14, 0
	s_mov_b32 s38, exec_lo
                                        ; implicit-def: $sgpr37
	v_and_b32_e32 v145, 0xff, v8
	s_delay_alu instid0(VALU_DEP_1)
	v_cmpx_lt_i16_e64 0x7f, v145
	s_xor_b32 s38, exec_lo, s38
	s_cbranch_execnz .LBB2_2479
; %bb.2082:                             ;   in Loop: Header=BB2_2000 Depth=4
	s_or_saveexec_b32 s38, s38
	v_mov_b32_e32 v144, s37
	s_xor_b32 exec_lo, exec_lo, s38
	s_cbranch_execnz .LBB2_2482
.LBB2_2083:                             ;   in Loop: Header=BB2_2000 Depth=4
	s_or_b32 exec_lo, exec_lo, s38
	s_and_saveexec_b32 s37, s14
	s_cbranch_execz .LBB2_2085
.LBB2_2084:                             ;   in Loop: Header=BB2_2000 Depth=4
	v_bfe_u32 v144, v9, 16, 2
	v_lshlrev_b32_e32 v148, 8, v9
	s_delay_alu instid0(VALU_DEP_2) | instskip(NEXT) | instid1(VALU_DEP_1)
	v_clz_i32_u32_e32 v145, v144
	v_min_u32_e32 v145, 32, v145
	s_delay_alu instid0(VALU_DEP_1) | instskip(SKIP_1) | instid1(VALU_DEP_2)
	v_subrev_nc_u32_e32 v146, 29, v145
	v_sub_nc_u32_e32 v145, 30, v145
	v_lshlrev_b32_e32 v8, v146, v8
	v_bfe_u32 v146, v9, 18, 5
	s_delay_alu instid0(VALU_DEP_1) | instskip(NEXT) | instid1(VALU_DEP_3)
	v_cmp_eq_u32_e32 vcc_lo, 0, v146
	v_dual_cndmask_b32 v145, v146, v145 :: v_dual_and_b32 v8, 3, v8
	s_delay_alu instid0(VALU_DEP_1) | instskip(SKIP_1) | instid1(VALU_DEP_3)
	v_cndmask_b32_e32 v8, v144, v8, vcc_lo
	v_and_b32_e32 v144, 0x80000000, v148
	v_lshl_add_u32 v145, v145, 23, 0x37800000
	s_delay_alu instid0(VALU_DEP_3) | instskip(NEXT) | instid1(VALU_DEP_1)
	v_lshlrev_b32_e32 v8, 21, v8
	v_or3_b32 v144, v144, v145, v8
.LBB2_2085:                             ;   in Loop: Header=BB2_2000 Depth=4
	s_or_b32 exec_lo, exec_lo, s37
	s_delay_alu instid0(VALU_DEP_1) | instskip(SKIP_2) | instid1(VALU_DEP_2)
	v_mul_f32_e32 v8, s36, v144
	v_mov_b32_e32 v162, 0x80
	s_mov_b32 s37, exec_lo
	v_and_b32_e32 v144, 0x7f800000, v8
	s_delay_alu instid0(VALU_DEP_1)
	v_cmpx_ne_u32_e32 0x7f800000, v144
	s_cbranch_execz .LBB2_2093
; %bb.2086:                             ;   in Loop: Header=BB2_2000 Depth=4
	v_mov_b32_e32 v162, 0
	s_mov_b32 s38, exec_lo
	v_cmpx_ne_u32_e32 0, v8
	s_cbranch_execz .LBB2_2092
; %bb.2087:                             ;   in Loop: Header=BB2_2000 Depth=4
	v_bfe_u32 v144, v8, 23, 8
	s_delay_alu instid0(VALU_DEP_1) | instskip(SKIP_1) | instid1(VALU_DEP_2)
	v_sub_nc_u32_e32 v146, 0x70, v144
	v_cmp_gt_u32_e32 vcc_lo, 0x71, v144
	v_dual_cndmask_b32 v146, 0, v146 :: v_dual_and_b32 v145, 0x7fffff, v8
	s_delay_alu instid0(VALU_DEP_1) | instskip(SKIP_2) | instid1(VALU_DEP_4)
	v_or_b32_e32 v148, 0x800000, v145
	v_cmp_eq_u32_e32 vcc_lo, 0, v144
	v_add_nc_u32_e32 v144, 0xffffff91, v144
	v_cndmask_b32_e64 v146, v146, 0x6f, vcc_lo
	s_delay_alu instid0(VALU_DEP_4) | instskip(NEXT) | instid1(VALU_DEP_3)
	v_cndmask_b32_e32 v145, v148, v145, vcc_lo
	v_cndmask_b32_e64 v144, v144, 0xffffff92, vcc_lo
	s_delay_alu instid0(VALU_DEP_3) | instskip(NEXT) | instid1(VALU_DEP_3)
	v_lshl_add_u32 v148, 0x200000, v146, -1
	v_lshrrev_b32_e32 v149, v146, v145
	v_lshlrev_b32_e64 v151, v146, 0x100000
	s_delay_alu instid0(VALU_DEP_4) | instskip(NEXT) | instid1(VALU_DEP_4)
	v_add_nc_u32_e32 v146, v146, v144
	v_and_b32_e32 v145, v148, v145
	s_delay_alu instid0(VALU_DEP_4) | instskip(NEXT) | instid1(VALU_DEP_2)
	v_bfe_u32 v150, v149, 21, 1
	v_cmp_eq_u32_e64 s14, v145, v151
	s_delay_alu instid0(VALU_DEP_2) | instskip(NEXT) | instid1(VALU_DEP_1)
	v_add_nc_u32_e32 v148, -1, v150
	v_cndmask_b32_e64 v145, 0, v148, s14
	v_lshrrev_b32_e32 v148, 23, v149
	s_mov_b32 s14, exec_lo
	s_delay_alu instid0(VALU_DEP_2) | instskip(NEXT) | instid1(VALU_DEP_2)
	v_add_nc_u32_e32 v145, v145, v149
	v_xor_b32_e32 v148, 1, v148
	s_delay_alu instid0(VALU_DEP_2) | instskip(NEXT) | instid1(VALU_DEP_1)
	v_and_b32_e32 v144, 0x1fffff, v145
	v_add_nc_u32_e32 v145, v144, v149
                                        ; implicit-def: $vgpr144
	s_delay_alu instid0(VALU_DEP_3)
	v_cmpx_ne_u32_e64 v146, v148
	s_xor_b32 s14, exec_lo, s14
; %bb.2088:                             ;   in Loop: Header=BB2_2000 Depth=4
	s_delay_alu instid0(VALU_DEP_2) | instskip(SKIP_2) | instid1(VALU_DEP_2)
	v_cmp_lt_u32_e32 vcc_lo, 0xffffff, v145
	v_sub_nc_u32_e32 v144, v146, v148
	v_cndmask_b32_e64 v146, 0, 1, vcc_lo
	v_add_co_ci_u32_e32 v144, vcc_lo, 0, v144, vcc_lo
	s_delay_alu instid0(VALU_DEP_2)
	v_lshrrev_b32_e32 v145, v146, v145
; %bb.2089:                             ;   in Loop: Header=BB2_2000 Depth=4
	s_and_not1_saveexec_b32 s14, s14
; %bb.2090:                             ;   in Loop: Header=BB2_2000 Depth=4
	s_delay_alu instid0(VALU_DEP_1)
	v_bfe_u32 v144, v145, 23, 1
; %bb.2091:                             ;   in Loop: Header=BB2_2000 Depth=4
	s_or_b32 exec_lo, exec_lo, s14
	v_lshrrev_b32_e32 v145, 21, v145
	s_delay_alu instid0(VALU_DEP_2) | instskip(SKIP_2) | instid1(VALU_DEP_3)
	v_min_i32_e32 v146, 31, v144
	v_cmp_gt_i32_e32 vcc_lo, 32, v144
	v_lshrrev_b32_e32 v8, 24, v8
	v_dual_cndmask_b32 v145, 3, v145 :: v_dual_lshlrev_b32 v146, 2, v146
	s_delay_alu instid0(VALU_DEP_2) | instskip(NEXT) | instid1(VALU_DEP_2)
	v_and_b32_e32 v8, 0x80, v8
	v_and_b32_e32 v146, 0xfc, v146
	s_delay_alu instid0(VALU_DEP_3) | instskip(SKIP_1) | instid1(VALU_DEP_2)
	v_and_b32_e32 v148, 3, v145
	v_or_b32_e32 v144, v144, v145
	v_or3_b32 v8, v146, v8, v148
	s_delay_alu instid0(VALU_DEP_2) | instskip(NEXT) | instid1(VALU_DEP_2)
	v_cmp_ne_u32_e32 vcc_lo, 0, v144
	v_cndmask_b32_e32 v162, 0, v8, vcc_lo
.LBB2_2092:                             ;   in Loop: Header=BB2_2000 Depth=4
	s_or_b32 exec_lo, exec_lo, s38
.LBB2_2093:                             ;   in Loop: Header=BB2_2000 Depth=4
	s_delay_alu instid0(SALU_CYCLE_1) | instskip(SKIP_3) | instid1(VALU_DEP_1)
	s_or_b32 exec_lo, exec_lo, s37
	v_lshrrev_b32_e32 v8, 24, v9
	s_mov_b32 s14, 0
	s_mov_b32 s38, exec_lo
                                        ; implicit-def: $sgpr37
	v_cmpx_lt_i16_e32 0x7f, v8
	s_xor_b32 s38, exec_lo, s38
	s_cbranch_execnz .LBB2_2483
; %bb.2094:                             ;   in Loop: Header=BB2_2000 Depth=4
	s_or_saveexec_b32 s38, s38
	v_mov_b32_e32 v144, s37
	s_xor_b32 exec_lo, exec_lo, s38
	s_cbranch_execnz .LBB2_2486
.LBB2_2095:                             ;   in Loop: Header=BB2_2000 Depth=4
	s_or_b32 exec_lo, exec_lo, s38
	s_and_saveexec_b32 s37, s14
	s_cbranch_execz .LBB2_2097
.LBB2_2096:                             ;   in Loop: Header=BB2_2000 Depth=4
	v_bfe_u32 v144, v9, 24, 2
	s_delay_alu instid0(VALU_DEP_1) | instskip(NEXT) | instid1(VALU_DEP_1)
	v_clz_i32_u32_e32 v145, v144
	v_min_u32_e32 v145, 32, v145
	s_delay_alu instid0(VALU_DEP_1) | instskip(SKIP_1) | instid1(VALU_DEP_2)
	v_subrev_nc_u32_e32 v146, 29, v145
	v_sub_nc_u32_e32 v145, 30, v145
	v_lshlrev_b32_e32 v8, v146, v8
	v_bfe_u32 v146, v9, 26, 5
	v_and_b32_e32 v9, 0x80000000, v9
	s_delay_alu instid0(VALU_DEP_2) | instskip(NEXT) | instid1(VALU_DEP_4)
	v_cmp_eq_u32_e32 vcc_lo, 0, v146
	v_dual_cndmask_b32 v145, v146, v145 :: v_dual_and_b32 v8, 3, v8
	s_delay_alu instid0(VALU_DEP_1) | instskip(NEXT) | instid1(VALU_DEP_2)
	v_cndmask_b32_e32 v8, v144, v8, vcc_lo
	v_lshl_add_u32 v144, v145, 23, 0x37800000
	s_delay_alu instid0(VALU_DEP_2) | instskip(NEXT) | instid1(VALU_DEP_1)
	v_lshlrev_b32_e32 v8, 21, v8
	v_or3_b32 v144, v9, v144, v8
.LBB2_2097:                             ;   in Loop: Header=BB2_2000 Depth=4
	s_or_b32 exec_lo, exec_lo, s37
	s_delay_alu instid0(VALU_DEP_1) | instskip(SKIP_1) | instid1(VALU_DEP_1)
	v_dual_mul_f32 v8, s36, v144 :: v_dual_mov_b32 v165, 0x8000
	s_mov_b32 s37, exec_lo
	v_and_b32_e32 v9, 0x7f800000, v8
	s_delay_alu instid0(VALU_DEP_1)
	v_cmpx_ne_u32_e32 0x7f800000, v9
	s_cbranch_execz .LBB2_2105
; %bb.2098:                             ;   in Loop: Header=BB2_2000 Depth=4
	v_mov_b32_e32 v165, 0
	s_mov_b32 s38, exec_lo
	v_cmpx_ne_u32_e32 0, v8
	s_cbranch_execz .LBB2_2104
; %bb.2099:                             ;   in Loop: Header=BB2_2000 Depth=4
	v_bfe_u32 v9, v8, 23, 8
	s_delay_alu instid0(VALU_DEP_1) | instskip(SKIP_1) | instid1(VALU_DEP_2)
	v_sub_nc_u32_e32 v145, 0x70, v9
	v_cmp_gt_u32_e32 vcc_lo, 0x71, v9
	v_dual_cndmask_b32 v145, 0, v145 :: v_dual_and_b32 v144, 0x7fffff, v8
	s_delay_alu instid0(VALU_DEP_1) | instskip(SKIP_2) | instid1(VALU_DEP_4)
	v_or_b32_e32 v146, 0x800000, v144
	v_cmp_eq_u32_e32 vcc_lo, 0, v9
	v_add_nc_u32_e32 v9, 0xffffff91, v9
	v_cndmask_b32_e64 v145, v145, 0x6f, vcc_lo
	s_delay_alu instid0(VALU_DEP_4) | instskip(NEXT) | instid1(VALU_DEP_3)
	v_cndmask_b32_e32 v144, v146, v144, vcc_lo
	v_cndmask_b32_e64 v9, v9, 0xffffff92, vcc_lo
	s_delay_alu instid0(VALU_DEP_3) | instskip(NEXT) | instid1(VALU_DEP_3)
	v_lshl_add_u32 v146, 0x200000, v145, -1
	v_lshrrev_b32_e32 v148, v145, v144
	v_lshlrev_b32_e64 v150, v145, 0x100000
	s_delay_alu instid0(VALU_DEP_4) | instskip(NEXT) | instid1(VALU_DEP_4)
	v_add_nc_u32_e32 v145, v145, v9
	v_and_b32_e32 v144, v146, v144
	s_delay_alu instid0(VALU_DEP_4) | instskip(NEXT) | instid1(VALU_DEP_2)
	v_bfe_u32 v149, v148, 21, 1
	v_cmp_eq_u32_e64 s14, v144, v150
	s_delay_alu instid0(VALU_DEP_2) | instskip(NEXT) | instid1(VALU_DEP_1)
	v_add_nc_u32_e32 v146, -1, v149
	v_cndmask_b32_e64 v144, 0, v146, s14
	v_lshrrev_b32_e32 v146, 23, v148
	s_mov_b32 s14, exec_lo
	s_delay_alu instid0(VALU_DEP_2) | instskip(NEXT) | instid1(VALU_DEP_2)
	v_add_nc_u32_e32 v144, v144, v148
	v_xor_b32_e32 v146, 1, v146
	s_delay_alu instid0(VALU_DEP_2) | instskip(NEXT) | instid1(VALU_DEP_1)
	v_and_b32_e32 v9, 0x1fffff, v144
	v_add_nc_u32_e32 v144, v9, v148
                                        ; implicit-def: $vgpr9
	s_delay_alu instid0(VALU_DEP_3)
	v_cmpx_ne_u32_e64 v145, v146
	s_xor_b32 s14, exec_lo, s14
; %bb.2100:                             ;   in Loop: Header=BB2_2000 Depth=4
	s_delay_alu instid0(VALU_DEP_2) | instskip(SKIP_2) | instid1(VALU_DEP_2)
	v_cmp_lt_u32_e32 vcc_lo, 0xffffff, v144
	v_sub_nc_u32_e32 v9, v145, v146
	v_cndmask_b32_e64 v145, 0, 1, vcc_lo
	v_add_co_ci_u32_e32 v9, vcc_lo, 0, v9, vcc_lo
	s_delay_alu instid0(VALU_DEP_2)
	v_lshrrev_b32_e32 v144, v145, v144
; %bb.2101:                             ;   in Loop: Header=BB2_2000 Depth=4
	s_and_not1_saveexec_b32 s14, s14
; %bb.2102:                             ;   in Loop: Header=BB2_2000 Depth=4
	s_delay_alu instid0(VALU_DEP_1)
	v_bfe_u32 v9, v144, 23, 1
; %bb.2103:                             ;   in Loop: Header=BB2_2000 Depth=4
	s_or_b32 exec_lo, exec_lo, s14
	v_lshrrev_b32_e32 v144, 21, v144
	s_delay_alu instid0(VALU_DEP_2) | instskip(SKIP_2) | instid1(VALU_DEP_3)
	v_min_i32_e32 v145, 31, v9
	v_cmp_gt_i32_e32 vcc_lo, 32, v9
	v_lshrrev_b32_e32 v8, 24, v8
	v_dual_cndmask_b32 v144, 3, v144 :: v_dual_lshlrev_b32 v145, 2, v145
	s_delay_alu instid0(VALU_DEP_2) | instskip(NEXT) | instid1(VALU_DEP_2)
	v_and_b32_e32 v8, 0x80, v8
	v_and_b32_e32 v145, 0xfc, v145
	s_delay_alu instid0(VALU_DEP_3) | instskip(SKIP_1) | instid1(VALU_DEP_2)
	v_and_b32_e32 v146, 3, v144
	v_or_b32_e32 v9, v9, v144
	v_or3_b32 v8, v8, v145, v146
	s_delay_alu instid0(VALU_DEP_2) | instskip(NEXT) | instid1(VALU_DEP_2)
	v_cmp_ne_u32_e32 vcc_lo, 0, v9
	v_lshlrev_b32_e32 v8, 8, v8
	s_delay_alu instid0(VALU_DEP_1)
	v_cndmask_b32_e32 v165, 0, v8, vcc_lo
.LBB2_2104:                             ;   in Loop: Header=BB2_2000 Depth=4
	s_or_b32 exec_lo, exec_lo, s38
.LBB2_2105:                             ;   in Loop: Header=BB2_2000 Depth=4
	s_delay_alu instid0(SALU_CYCLE_1) | instskip(SKIP_3) | instid1(VALU_DEP_1)
	s_or_b32 exec_lo, exec_lo, s37
	v_and_b32_e32 v9, 0xff, v10
	s_mov_b32 s14, 0
	s_mov_b32 s38, exec_lo
                                        ; implicit-def: $sgpr37
	v_cmpx_lt_i16_e32 0x7f, v9
	s_xor_b32 s38, exec_lo, s38
	s_cbranch_execnz .LBB2_2487
; %bb.2106:                             ;   in Loop: Header=BB2_2000 Depth=4
	s_or_saveexec_b32 s38, s38
	v_mov_b32_e32 v8, s37
	s_xor_b32 exec_lo, exec_lo, s38
	s_cbranch_execnz .LBB2_2490
.LBB2_2107:                             ;   in Loop: Header=BB2_2000 Depth=4
	s_or_b32 exec_lo, exec_lo, s38
	s_and_saveexec_b32 s37, s14
	s_cbranch_execz .LBB2_2109
.LBB2_2108:                             ;   in Loop: Header=BB2_2000 Depth=4
	v_bfe_u32 v145, v10, 2, 5
	v_lshlrev_b32_e32 v146, 24, v10
	s_delay_alu instid0(VALU_DEP_2) | instskip(SKIP_1) | instid1(VALU_DEP_1)
	v_cmp_eq_u32_e32 vcc_lo, 0, v145
	v_and_b32_e32 v8, 3, v10
	v_clz_i32_u32_e32 v9, v8
	s_delay_alu instid0(VALU_DEP_1) | instskip(NEXT) | instid1(VALU_DEP_1)
	v_min_u32_e32 v9, 32, v9
	v_subrev_nc_u32_e32 v144, 29, v9
	v_sub_nc_u32_e32 v9, 30, v9
	s_delay_alu instid0(VALU_DEP_1) | instskip(NEXT) | instid1(VALU_DEP_1)
	v_dual_cndmask_b32 v9, v145, v9 :: v_dual_lshlrev_b32 v144, v144, v10
	v_and_b32_e32 v144, 3, v144
	s_delay_alu instid0(VALU_DEP_2) | instskip(NEXT) | instid1(VALU_DEP_2)
	v_lshl_add_u32 v9, v9, 23, 0x37800000
	v_cndmask_b32_e32 v8, v8, v144, vcc_lo
	v_and_b32_e32 v144, 0x80000000, v146
	s_delay_alu instid0(VALU_DEP_2) | instskip(NEXT) | instid1(VALU_DEP_1)
	v_lshlrev_b32_e32 v8, 21, v8
	v_or3_b32 v8, v144, v9, v8
.LBB2_2109:                             ;   in Loop: Header=BB2_2000 Depth=4
	s_or_b32 exec_lo, exec_lo, s37
	s_delay_alu instid0(VALU_DEP_1) | instskip(SKIP_2) | instid1(VALU_DEP_2)
	v_mul_f32_e32 v8, s36, v8
	v_mov_b32_e32 v160, 0x80
	s_mov_b32 s37, exec_lo
	v_and_b32_e32 v9, 0x7f800000, v8
	s_delay_alu instid0(VALU_DEP_1)
	v_cmpx_ne_u32_e32 0x7f800000, v9
	s_cbranch_execz .LBB2_2117
; %bb.2110:                             ;   in Loop: Header=BB2_2000 Depth=4
	v_mov_b32_e32 v160, 0
	s_mov_b32 s38, exec_lo
	v_cmpx_ne_u32_e32 0, v8
	s_cbranch_execz .LBB2_2116
; %bb.2111:                             ;   in Loop: Header=BB2_2000 Depth=4
	v_bfe_u32 v9, v8, 23, 8
	s_delay_alu instid0(VALU_DEP_1) | instskip(SKIP_1) | instid1(VALU_DEP_2)
	v_sub_nc_u32_e32 v145, 0x70, v9
	v_cmp_gt_u32_e32 vcc_lo, 0x71, v9
	v_dual_cndmask_b32 v145, 0, v145 :: v_dual_and_b32 v144, 0x7fffff, v8
	s_delay_alu instid0(VALU_DEP_1) | instskip(SKIP_2) | instid1(VALU_DEP_4)
	v_or_b32_e32 v146, 0x800000, v144
	v_cmp_eq_u32_e32 vcc_lo, 0, v9
	v_add_nc_u32_e32 v9, 0xffffff91, v9
	v_cndmask_b32_e64 v145, v145, 0x6f, vcc_lo
	s_delay_alu instid0(VALU_DEP_4) | instskip(NEXT) | instid1(VALU_DEP_3)
	v_cndmask_b32_e32 v144, v146, v144, vcc_lo
	v_cndmask_b32_e64 v9, v9, 0xffffff92, vcc_lo
	s_delay_alu instid0(VALU_DEP_3) | instskip(NEXT) | instid1(VALU_DEP_3)
	v_lshl_add_u32 v146, 0x200000, v145, -1
	v_lshrrev_b32_e32 v148, v145, v144
	v_lshlrev_b32_e64 v150, v145, 0x100000
	s_delay_alu instid0(VALU_DEP_4) | instskip(NEXT) | instid1(VALU_DEP_4)
	v_add_nc_u32_e32 v145, v145, v9
	v_and_b32_e32 v144, v146, v144
	s_delay_alu instid0(VALU_DEP_4) | instskip(NEXT) | instid1(VALU_DEP_2)
	v_bfe_u32 v149, v148, 21, 1
	v_cmp_eq_u32_e64 s14, v144, v150
	s_delay_alu instid0(VALU_DEP_2) | instskip(NEXT) | instid1(VALU_DEP_1)
	v_add_nc_u32_e32 v146, -1, v149
	v_cndmask_b32_e64 v144, 0, v146, s14
	v_lshrrev_b32_e32 v146, 23, v148
	s_mov_b32 s14, exec_lo
	s_delay_alu instid0(VALU_DEP_2) | instskip(NEXT) | instid1(VALU_DEP_2)
	v_add_nc_u32_e32 v144, v144, v148
	v_xor_b32_e32 v146, 1, v146
	s_delay_alu instid0(VALU_DEP_2) | instskip(NEXT) | instid1(VALU_DEP_1)
	v_and_b32_e32 v9, 0x1fffff, v144
	v_add_nc_u32_e32 v144, v9, v148
                                        ; implicit-def: $vgpr9
	s_delay_alu instid0(VALU_DEP_3)
	v_cmpx_ne_u32_e64 v145, v146
	s_xor_b32 s14, exec_lo, s14
; %bb.2112:                             ;   in Loop: Header=BB2_2000 Depth=4
	s_delay_alu instid0(VALU_DEP_2) | instskip(SKIP_2) | instid1(VALU_DEP_2)
	v_cmp_lt_u32_e32 vcc_lo, 0xffffff, v144
	v_sub_nc_u32_e32 v9, v145, v146
	v_cndmask_b32_e64 v145, 0, 1, vcc_lo
	v_add_co_ci_u32_e32 v9, vcc_lo, 0, v9, vcc_lo
	s_delay_alu instid0(VALU_DEP_2)
	v_lshrrev_b32_e32 v144, v145, v144
; %bb.2113:                             ;   in Loop: Header=BB2_2000 Depth=4
	s_and_not1_saveexec_b32 s14, s14
; %bb.2114:                             ;   in Loop: Header=BB2_2000 Depth=4
	s_delay_alu instid0(VALU_DEP_1)
	v_bfe_u32 v9, v144, 23, 1
; %bb.2115:                             ;   in Loop: Header=BB2_2000 Depth=4
	s_or_b32 exec_lo, exec_lo, s14
	v_lshrrev_b32_e32 v144, 21, v144
	s_delay_alu instid0(VALU_DEP_2) | instskip(SKIP_2) | instid1(VALU_DEP_4)
	v_cmp_gt_i32_e32 vcc_lo, 32, v9
	v_lshrrev_b32_e32 v8, 24, v8
	v_min_i32_e32 v145, 31, v9
	v_cndmask_b32_e32 v144, 3, v144, vcc_lo
	s_delay_alu instid0(VALU_DEP_3) | instskip(NEXT) | instid1(VALU_DEP_3)
	v_and_b32_e32 v8, 0x80, v8
	v_lshlrev_b32_e32 v145, 2, v145
	s_delay_alu instid0(VALU_DEP_3) | instskip(SKIP_1) | instid1(VALU_DEP_2)
	v_and_b32_e32 v146, 3, v144
	v_or_b32_e32 v9, v9, v144
	v_or3_b32 v8, v145, v8, v146
	s_delay_alu instid0(VALU_DEP_2) | instskip(NEXT) | instid1(VALU_DEP_2)
	v_cmp_ne_u32_e32 vcc_lo, 0, v9
	v_cndmask_b32_e32 v160, 0, v8, vcc_lo
.LBB2_2116:                             ;   in Loop: Header=BB2_2000 Depth=4
	s_or_b32 exec_lo, exec_lo, s38
.LBB2_2117:                             ;   in Loop: Header=BB2_2000 Depth=4
	s_delay_alu instid0(SALU_CYCLE_1) | instskip(SKIP_3) | instid1(VALU_DEP_1)
	s_or_b32 exec_lo, exec_lo, s37
	v_lshrrev_b16 v8, 8, v10
	s_mov_b32 s14, 0
	s_mov_b32 s38, exec_lo
                                        ; implicit-def: $sgpr37
	v_cmpx_lt_i16_e32 0x7f, v8
	s_xor_b32 s38, exec_lo, s38
	s_cbranch_execnz .LBB2_2491
; %bb.2118:                             ;   in Loop: Header=BB2_2000 Depth=4
	s_or_saveexec_b32 s38, s38
	v_mov_b32_e32 v9, s37
	s_xor_b32 exec_lo, exec_lo, s38
	s_cbranch_execnz .LBB2_2494
.LBB2_2119:                             ;   in Loop: Header=BB2_2000 Depth=4
	s_or_b32 exec_lo, exec_lo, s38
	s_and_saveexec_b32 s37, s14
	s_cbranch_execz .LBB2_2121
.LBB2_2120:                             ;   in Loop: Header=BB2_2000 Depth=4
	v_and_b32_e32 v9, 0xffff, v8
	v_lshlrev_b32_e32 v8, 24, v8
	s_delay_alu instid0(VALU_DEP_2) | instskip(NEXT) | instid1(VALU_DEP_2)
	v_and_b32_e32 v144, 3, v9
	v_and_b32_e32 v8, 0x80000000, v8
	s_delay_alu instid0(VALU_DEP_2) | instskip(NEXT) | instid1(VALU_DEP_1)
	v_clz_i32_u32_e32 v145, v144
	v_min_u32_e32 v145, 32, v145
	s_delay_alu instid0(VALU_DEP_1) | instskip(SKIP_1) | instid1(VALU_DEP_2)
	v_subrev_nc_u32_e32 v146, 29, v145
	v_sub_nc_u32_e32 v145, 30, v145
	v_lshlrev_b32_e32 v146, v146, v9
	v_bfe_u32 v9, v9, 2, 5
	s_delay_alu instid0(VALU_DEP_1) | instskip(NEXT) | instid1(VALU_DEP_3)
	v_cmp_eq_u32_e32 vcc_lo, 0, v9
	v_dual_cndmask_b32 v9, v9, v145 :: v_dual_and_b32 v146, 3, v146
	s_delay_alu instid0(VALU_DEP_1) | instskip(NEXT) | instid1(VALU_DEP_2)
	v_cndmask_b32_e32 v144, v144, v146, vcc_lo
	v_lshl_add_u32 v9, v9, 23, 0x37800000
	s_delay_alu instid0(VALU_DEP_2) | instskip(NEXT) | instid1(VALU_DEP_1)
	v_lshlrev_b32_e32 v144, 21, v144
	v_or3_b32 v9, v8, v9, v144
.LBB2_2121:                             ;   in Loop: Header=BB2_2000 Depth=4
	s_or_b32 exec_lo, exec_lo, s37
	s_delay_alu instid0(VALU_DEP_1) | instskip(SKIP_2) | instid1(VALU_DEP_2)
	v_mul_f32_e32 v8, s36, v9
	v_mov_b32_e32 v150, 0x80
	s_mov_b32 s37, exec_lo
	v_and_b32_e32 v9, 0x7f800000, v8
	s_delay_alu instid0(VALU_DEP_1)
	v_cmpx_ne_u32_e32 0x7f800000, v9
	s_cbranch_execz .LBB2_2129
; %bb.2122:                             ;   in Loop: Header=BB2_2000 Depth=4
	v_mov_b32_e32 v150, 0
	s_mov_b32 s38, exec_lo
	v_cmpx_ne_u32_e32 0, v8
	s_cbranch_execz .LBB2_2128
; %bb.2123:                             ;   in Loop: Header=BB2_2000 Depth=4
	v_bfe_u32 v9, v8, 23, 8
	s_delay_alu instid0(VALU_DEP_1) | instskip(SKIP_1) | instid1(VALU_DEP_2)
	v_sub_nc_u32_e32 v145, 0x70, v9
	v_cmp_gt_u32_e32 vcc_lo, 0x71, v9
	v_dual_cndmask_b32 v145, 0, v145 :: v_dual_and_b32 v144, 0x7fffff, v8
	s_delay_alu instid0(VALU_DEP_1) | instskip(SKIP_2) | instid1(VALU_DEP_4)
	v_or_b32_e32 v146, 0x800000, v144
	v_cmp_eq_u32_e32 vcc_lo, 0, v9
	v_add_nc_u32_e32 v9, 0xffffff91, v9
	v_cndmask_b32_e64 v145, v145, 0x6f, vcc_lo
	s_delay_alu instid0(VALU_DEP_4) | instskip(NEXT) | instid1(VALU_DEP_3)
	v_cndmask_b32_e32 v144, v146, v144, vcc_lo
	v_cndmask_b32_e64 v9, v9, 0xffffff92, vcc_lo
	s_delay_alu instid0(VALU_DEP_3) | instskip(NEXT) | instid1(VALU_DEP_3)
	v_lshl_add_u32 v146, 0x200000, v145, -1
	v_lshrrev_b32_e32 v148, v145, v144
	v_lshlrev_b32_e64 v150, v145, 0x100000
	s_delay_alu instid0(VALU_DEP_4) | instskip(NEXT) | instid1(VALU_DEP_4)
	v_add_nc_u32_e32 v145, v145, v9
	v_and_b32_e32 v144, v146, v144
	s_delay_alu instid0(VALU_DEP_4) | instskip(NEXT) | instid1(VALU_DEP_2)
	v_bfe_u32 v149, v148, 21, 1
	v_cmp_eq_u32_e64 s14, v144, v150
	s_delay_alu instid0(VALU_DEP_2) | instskip(NEXT) | instid1(VALU_DEP_1)
	v_add_nc_u32_e32 v146, -1, v149
	v_cndmask_b32_e64 v144, 0, v146, s14
	v_lshrrev_b32_e32 v146, 23, v148
	s_mov_b32 s14, exec_lo
	s_delay_alu instid0(VALU_DEP_2) | instskip(NEXT) | instid1(VALU_DEP_2)
	v_add_nc_u32_e32 v144, v144, v148
	v_xor_b32_e32 v146, 1, v146
	s_delay_alu instid0(VALU_DEP_2) | instskip(NEXT) | instid1(VALU_DEP_1)
	v_and_b32_e32 v9, 0x1fffff, v144
	v_add_nc_u32_e32 v144, v9, v148
                                        ; implicit-def: $vgpr9
	s_delay_alu instid0(VALU_DEP_3)
	v_cmpx_ne_u32_e64 v145, v146
	s_xor_b32 s14, exec_lo, s14
; %bb.2124:                             ;   in Loop: Header=BB2_2000 Depth=4
	s_delay_alu instid0(VALU_DEP_2) | instskip(SKIP_2) | instid1(VALU_DEP_2)
	v_cmp_lt_u32_e32 vcc_lo, 0xffffff, v144
	v_sub_nc_u32_e32 v9, v145, v146
	v_cndmask_b32_e64 v145, 0, 1, vcc_lo
	v_add_co_ci_u32_e32 v9, vcc_lo, 0, v9, vcc_lo
	s_delay_alu instid0(VALU_DEP_2)
	v_lshrrev_b32_e32 v144, v145, v144
; %bb.2125:                             ;   in Loop: Header=BB2_2000 Depth=4
	s_and_not1_saveexec_b32 s14, s14
; %bb.2126:                             ;   in Loop: Header=BB2_2000 Depth=4
	s_delay_alu instid0(VALU_DEP_1)
	v_bfe_u32 v9, v144, 23, 1
; %bb.2127:                             ;   in Loop: Header=BB2_2000 Depth=4
	s_or_b32 exec_lo, exec_lo, s14
	v_lshrrev_b32_e32 v144, 21, v144
	s_delay_alu instid0(VALU_DEP_2) | instskip(SKIP_2) | instid1(VALU_DEP_4)
	v_cmp_gt_i32_e32 vcc_lo, 32, v9
	v_lshrrev_b32_e32 v8, 24, v8
	v_min_i32_e32 v145, 31, v9
	v_cndmask_b32_e32 v144, 3, v144, vcc_lo
	s_delay_alu instid0(VALU_DEP_3) | instskip(NEXT) | instid1(VALU_DEP_3)
	v_and_b32_e32 v8, 0x80, v8
	v_lshlrev_b32_e32 v145, 2, v145
	s_delay_alu instid0(VALU_DEP_3) | instskip(SKIP_1) | instid1(VALU_DEP_2)
	v_and_b32_e32 v146, 3, v144
	v_or_b32_e32 v9, v9, v144
	v_or3_b32 v8, v145, v8, v146
	s_delay_alu instid0(VALU_DEP_2) | instskip(NEXT) | instid1(VALU_DEP_2)
	v_cmp_ne_u32_e32 vcc_lo, 0, v9
	v_cndmask_b32_e32 v150, 0, v8, vcc_lo
.LBB2_2128:                             ;   in Loop: Header=BB2_2000 Depth=4
	s_or_b32 exec_lo, exec_lo, s38
.LBB2_2129:                             ;   in Loop: Header=BB2_2000 Depth=4
	s_delay_alu instid0(SALU_CYCLE_1) | instskip(SKIP_3) | instid1(VALU_DEP_1)
	s_or_b32 exec_lo, exec_lo, s37
	v_lshrrev_b32_e32 v8, 16, v10
	s_mov_b32 s14, 0
	s_mov_b32 s38, exec_lo
                                        ; implicit-def: $sgpr37
	v_and_b32_e32 v144, 0xff, v8
	s_delay_alu instid0(VALU_DEP_1)
	v_cmpx_lt_i16_e64 0x7f, v144
	s_xor_b32 s38, exec_lo, s38
	s_cbranch_execnz .LBB2_2495
; %bb.2130:                             ;   in Loop: Header=BB2_2000 Depth=4
	s_or_saveexec_b32 s38, s38
	v_mov_b32_e32 v9, s37
	s_xor_b32 exec_lo, exec_lo, s38
	s_cbranch_execnz .LBB2_2498
.LBB2_2131:                             ;   in Loop: Header=BB2_2000 Depth=4
	s_or_b32 exec_lo, exec_lo, s38
	s_and_saveexec_b32 s37, s14
	s_cbranch_execz .LBB2_2133
.LBB2_2132:                             ;   in Loop: Header=BB2_2000 Depth=4
	v_bfe_u32 v9, v10, 16, 2
	v_lshlrev_b32_e32 v146, 8, v10
	s_delay_alu instid0(VALU_DEP_2) | instskip(NEXT) | instid1(VALU_DEP_1)
	v_clz_i32_u32_e32 v144, v9
	v_min_u32_e32 v144, 32, v144
	s_delay_alu instid0(VALU_DEP_1) | instskip(SKIP_1) | instid1(VALU_DEP_2)
	v_subrev_nc_u32_e32 v145, 29, v144
	v_sub_nc_u32_e32 v144, 30, v144
	v_lshlrev_b32_e32 v8, v145, v8
	v_bfe_u32 v145, v10, 18, 5
	s_delay_alu instid0(VALU_DEP_2) | instskip(NEXT) | instid1(VALU_DEP_2)
	v_and_b32_e32 v8, 3, v8
	v_cmp_eq_u32_e32 vcc_lo, 0, v145
	v_cndmask_b32_e32 v144, v145, v144, vcc_lo
	s_delay_alu instid0(VALU_DEP_3) | instskip(NEXT) | instid1(VALU_DEP_2)
	v_dual_cndmask_b32 v8, v9, v8 :: v_dual_and_b32 v9, 0x80000000, v146
	v_lshl_add_u32 v144, v144, 23, 0x37800000
	s_delay_alu instid0(VALU_DEP_2) | instskip(NEXT) | instid1(VALU_DEP_1)
	v_lshlrev_b32_e32 v8, 21, v8
	v_or3_b32 v9, v9, v144, v8
.LBB2_2133:                             ;   in Loop: Header=BB2_2000 Depth=4
	s_or_b32 exec_lo, exec_lo, s37
	s_delay_alu instid0(VALU_DEP_1) | instskip(SKIP_1) | instid1(VALU_DEP_1)
	v_dual_mul_f32 v8, s36, v9 :: v_dual_mov_b32 v149, 0x80
	s_mov_b32 s37, exec_lo
	v_and_b32_e32 v9, 0x7f800000, v8
	s_delay_alu instid0(VALU_DEP_1)
	v_cmpx_ne_u32_e32 0x7f800000, v9
	s_cbranch_execz .LBB2_2141
; %bb.2134:                             ;   in Loop: Header=BB2_2000 Depth=4
	v_mov_b32_e32 v149, 0
	s_mov_b32 s38, exec_lo
	v_cmpx_ne_u32_e32 0, v8
	s_cbranch_execz .LBB2_2140
; %bb.2135:                             ;   in Loop: Header=BB2_2000 Depth=4
	v_bfe_u32 v9, v8, 23, 8
	s_delay_alu instid0(VALU_DEP_1) | instskip(SKIP_1) | instid1(VALU_DEP_2)
	v_sub_nc_u32_e32 v145, 0x70, v9
	v_cmp_gt_u32_e32 vcc_lo, 0x71, v9
	v_dual_cndmask_b32 v145, 0, v145 :: v_dual_and_b32 v144, 0x7fffff, v8
	s_delay_alu instid0(VALU_DEP_1) | instskip(SKIP_2) | instid1(VALU_DEP_4)
	v_or_b32_e32 v146, 0x800000, v144
	v_cmp_eq_u32_e32 vcc_lo, 0, v9
	v_add_nc_u32_e32 v9, 0xffffff91, v9
	v_cndmask_b32_e64 v145, v145, 0x6f, vcc_lo
	s_delay_alu instid0(VALU_DEP_4) | instskip(NEXT) | instid1(VALU_DEP_3)
	v_cndmask_b32_e32 v144, v146, v144, vcc_lo
	v_cndmask_b32_e64 v9, v9, 0xffffff92, vcc_lo
	s_delay_alu instid0(VALU_DEP_3) | instskip(NEXT) | instid1(VALU_DEP_3)
	v_lshl_add_u32 v146, 0x200000, v145, -1
	v_lshrrev_b32_e32 v148, v145, v144
	v_lshlrev_b32_e64 v151, v145, 0x100000
	s_delay_alu instid0(VALU_DEP_4) | instskip(NEXT) | instid1(VALU_DEP_4)
	v_add_nc_u32_e32 v145, v145, v9
	v_and_b32_e32 v144, v146, v144
	s_delay_alu instid0(VALU_DEP_4) | instskip(NEXT) | instid1(VALU_DEP_2)
	v_bfe_u32 v149, v148, 21, 1
	v_cmp_eq_u32_e64 s14, v144, v151
	s_delay_alu instid0(VALU_DEP_2) | instskip(NEXT) | instid1(VALU_DEP_1)
	v_add_nc_u32_e32 v146, -1, v149
	v_cndmask_b32_e64 v144, 0, v146, s14
	v_lshrrev_b32_e32 v146, 23, v148
	s_mov_b32 s14, exec_lo
	s_delay_alu instid0(VALU_DEP_2) | instskip(NEXT) | instid1(VALU_DEP_2)
	v_add_nc_u32_e32 v144, v144, v148
	v_xor_b32_e32 v146, 1, v146
	s_delay_alu instid0(VALU_DEP_2) | instskip(NEXT) | instid1(VALU_DEP_1)
	v_and_b32_e32 v9, 0x1fffff, v144
	v_add_nc_u32_e32 v144, v9, v148
                                        ; implicit-def: $vgpr9
	s_delay_alu instid0(VALU_DEP_3)
	v_cmpx_ne_u32_e64 v145, v146
	s_xor_b32 s14, exec_lo, s14
; %bb.2136:                             ;   in Loop: Header=BB2_2000 Depth=4
	s_delay_alu instid0(VALU_DEP_2) | instskip(SKIP_2) | instid1(VALU_DEP_2)
	v_cmp_lt_u32_e32 vcc_lo, 0xffffff, v144
	v_sub_nc_u32_e32 v9, v145, v146
	v_cndmask_b32_e64 v145, 0, 1, vcc_lo
	v_add_co_ci_u32_e32 v9, vcc_lo, 0, v9, vcc_lo
	s_delay_alu instid0(VALU_DEP_2)
	v_lshrrev_b32_e32 v144, v145, v144
; %bb.2137:                             ;   in Loop: Header=BB2_2000 Depth=4
	s_and_not1_saveexec_b32 s14, s14
; %bb.2138:                             ;   in Loop: Header=BB2_2000 Depth=4
	s_delay_alu instid0(VALU_DEP_1)
	v_bfe_u32 v9, v144, 23, 1
; %bb.2139:                             ;   in Loop: Header=BB2_2000 Depth=4
	s_or_b32 exec_lo, exec_lo, s14
	v_lshrrev_b32_e32 v144, 21, v144
	s_delay_alu instid0(VALU_DEP_2) | instskip(SKIP_2) | instid1(VALU_DEP_4)
	v_cmp_gt_i32_e32 vcc_lo, 32, v9
	v_lshrrev_b32_e32 v8, 24, v8
	v_min_i32_e32 v145, 31, v9
	v_cndmask_b32_e32 v144, 3, v144, vcc_lo
	s_delay_alu instid0(VALU_DEP_3) | instskip(NEXT) | instid1(VALU_DEP_3)
	v_and_b32_e32 v8, 0x80, v8
	v_lshlrev_b32_e32 v145, 2, v145
	s_delay_alu instid0(VALU_DEP_3) | instskip(SKIP_1) | instid1(VALU_DEP_2)
	v_and_b32_e32 v146, 3, v144
	v_or_b32_e32 v9, v9, v144
	v_or3_b32 v8, v145, v8, v146
	s_delay_alu instid0(VALU_DEP_2) | instskip(NEXT) | instid1(VALU_DEP_2)
	v_cmp_ne_u32_e32 vcc_lo, 0, v9
	v_cndmask_b32_e32 v149, 0, v8, vcc_lo
.LBB2_2140:                             ;   in Loop: Header=BB2_2000 Depth=4
	s_or_b32 exec_lo, exec_lo, s38
.LBB2_2141:                             ;   in Loop: Header=BB2_2000 Depth=4
	s_delay_alu instid0(SALU_CYCLE_1) | instskip(SKIP_3) | instid1(VALU_DEP_1)
	s_or_b32 exec_lo, exec_lo, s37
	v_lshrrev_b32_e32 v8, 24, v10
	s_mov_b32 s14, 0
	s_mov_b32 s38, exec_lo
                                        ; implicit-def: $sgpr37
	v_cmpx_lt_i16_e32 0x7f, v8
	s_xor_b32 s38, exec_lo, s38
	s_cbranch_execnz .LBB2_2499
; %bb.2142:                             ;   in Loop: Header=BB2_2000 Depth=4
	s_or_saveexec_b32 s38, s38
	v_mov_b32_e32 v9, s37
	s_xor_b32 exec_lo, exec_lo, s38
	s_cbranch_execnz .LBB2_2502
.LBB2_2143:                             ;   in Loop: Header=BB2_2000 Depth=4
	s_or_b32 exec_lo, exec_lo, s38
	s_and_saveexec_b32 s37, s14
	s_cbranch_execz .LBB2_2145
.LBB2_2144:                             ;   in Loop: Header=BB2_2000 Depth=4
	v_bfe_u32 v9, v10, 24, 2
	s_delay_alu instid0(VALU_DEP_1) | instskip(NEXT) | instid1(VALU_DEP_1)
	v_clz_i32_u32_e32 v144, v9
	v_min_u32_e32 v144, 32, v144
	s_delay_alu instid0(VALU_DEP_1) | instskip(SKIP_1) | instid1(VALU_DEP_2)
	v_subrev_nc_u32_e32 v145, 29, v144
	v_sub_nc_u32_e32 v144, 30, v144
	v_lshlrev_b32_e32 v8, v145, v8
	v_bfe_u32 v145, v10, 26, 5
	s_delay_alu instid0(VALU_DEP_2) | instskip(NEXT) | instid1(VALU_DEP_2)
	v_and_b32_e32 v8, 3, v8
	v_cmp_eq_u32_e32 vcc_lo, 0, v145
	v_cndmask_b32_e32 v144, v145, v144, vcc_lo
	s_delay_alu instid0(VALU_DEP_3) | instskip(NEXT) | instid1(VALU_DEP_2)
	v_dual_cndmask_b32 v8, v9, v8 :: v_dual_and_b32 v9, 0x80000000, v10
	v_lshl_add_u32 v10, v144, 23, 0x37800000
	s_delay_alu instid0(VALU_DEP_2) | instskip(NEXT) | instid1(VALU_DEP_1)
	v_lshlrev_b32_e32 v8, 21, v8
	v_or3_b32 v9, v9, v10, v8
.LBB2_2145:                             ;   in Loop: Header=BB2_2000 Depth=4
	s_or_b32 exec_lo, exec_lo, s37
	s_delay_alu instid0(VALU_DEP_1) | instskip(SKIP_2) | instid1(VALU_DEP_2)
	v_mul_f32_e32 v8, s36, v9
	v_mov_b32_e32 v146, 0x80
	s_mov_b32 s37, exec_lo
	v_and_b32_e32 v9, 0x7f800000, v8
	s_delay_alu instid0(VALU_DEP_1)
	v_cmpx_ne_u32_e32 0x7f800000, v9
	s_cbranch_execz .LBB2_2153
; %bb.2146:                             ;   in Loop: Header=BB2_2000 Depth=4
	v_mov_b32_e32 v146, 0
	s_mov_b32 s38, exec_lo
	v_cmpx_ne_u32_e32 0, v8
	s_cbranch_execz .LBB2_2152
; %bb.2147:                             ;   in Loop: Header=BB2_2000 Depth=4
	v_bfe_u32 v9, v8, 23, 8
	v_and_b32_e32 v10, 0x7fffff, v8
	s_delay_alu instid0(VALU_DEP_2) | instskip(SKIP_1) | instid1(VALU_DEP_3)
	v_sub_nc_u32_e32 v144, 0x70, v9
	v_cmp_gt_u32_e32 vcc_lo, 0x71, v9
	v_or_b32_e32 v145, 0x800000, v10
	s_delay_alu instid0(VALU_DEP_3) | instskip(SKIP_2) | instid1(VALU_DEP_3)
	v_cndmask_b32_e32 v144, 0, v144, vcc_lo
	v_cmp_eq_u32_e32 vcc_lo, 0, v9
	v_add_nc_u32_e32 v9, 0xffffff91, v9
	v_cndmask_b32_e64 v144, v144, 0x6f, vcc_lo
	v_cndmask_b32_e32 v10, v145, v10, vcc_lo
	s_delay_alu instid0(VALU_DEP_3) | instskip(NEXT) | instid1(VALU_DEP_3)
	v_cndmask_b32_e64 v9, v9, 0xffffff92, vcc_lo
	v_lshl_add_u32 v145, 0x200000, v144, -1
	s_delay_alu instid0(VALU_DEP_3) | instskip(SKIP_1) | instid1(VALU_DEP_4)
	v_lshrrev_b32_e32 v146, v144, v10
	v_lshlrev_b32_e64 v151, v144, 0x100000
	v_add_nc_u32_e32 v144, v144, v9
	s_delay_alu instid0(VALU_DEP_4) | instskip(NEXT) | instid1(VALU_DEP_4)
	v_and_b32_e32 v10, v145, v10
	v_bfe_u32 v148, v146, 21, 1
	s_delay_alu instid0(VALU_DEP_2) | instskip(NEXT) | instid1(VALU_DEP_2)
	v_cmp_eq_u32_e64 s14, v10, v151
	v_add_nc_u32_e32 v145, -1, v148
	s_delay_alu instid0(VALU_DEP_1) | instskip(SKIP_2) | instid1(VALU_DEP_2)
	v_cndmask_b32_e64 v10, 0, v145, s14
	v_lshrrev_b32_e32 v145, 23, v146
	s_mov_b32 s14, exec_lo
	v_add_nc_u32_e32 v10, v10, v146
	s_delay_alu instid0(VALU_DEP_2) | instskip(NEXT) | instid1(VALU_DEP_2)
	v_xor_b32_e32 v145, 1, v145
	v_and_b32_e32 v9, 0x1fffff, v10
	s_delay_alu instid0(VALU_DEP_1) | instskip(NEXT) | instid1(VALU_DEP_3)
	v_add_nc_u32_e32 v10, v9, v146
                                        ; implicit-def: $vgpr9
	v_cmpx_ne_u32_e64 v144, v145
	s_xor_b32 s14, exec_lo, s14
; %bb.2148:                             ;   in Loop: Header=BB2_2000 Depth=4
	s_delay_alu instid0(VALU_DEP_2) | instskip(SKIP_2) | instid1(VALU_DEP_2)
	v_cmp_lt_u32_e32 vcc_lo, 0xffffff, v10
	v_sub_nc_u32_e32 v9, v144, v145
	v_cndmask_b32_e64 v144, 0, 1, vcc_lo
	v_add_co_ci_u32_e32 v9, vcc_lo, 0, v9, vcc_lo
	s_delay_alu instid0(VALU_DEP_2)
	v_lshrrev_b32_e32 v10, v144, v10
; %bb.2149:                             ;   in Loop: Header=BB2_2000 Depth=4
	s_and_not1_saveexec_b32 s14, s14
; %bb.2150:                             ;   in Loop: Header=BB2_2000 Depth=4
	s_delay_alu instid0(VALU_DEP_1)
	v_bfe_u32 v9, v10, 23, 1
; %bb.2151:                             ;   in Loop: Header=BB2_2000 Depth=4
	s_or_b32 exec_lo, exec_lo, s14
	v_lshrrev_b32_e32 v10, 21, v10
	s_delay_alu instid0(VALU_DEP_2) | instskip(SKIP_2) | instid1(VALU_DEP_4)
	v_cmp_gt_i32_e32 vcc_lo, 32, v9
	v_lshrrev_b32_e32 v8, 24, v8
	v_min_i32_e32 v144, 31, v9
	v_cndmask_b32_e32 v10, 3, v10, vcc_lo
	s_delay_alu instid0(VALU_DEP_3) | instskip(NEXT) | instid1(VALU_DEP_3)
	v_and_b32_e32 v8, 0x80, v8
	v_lshlrev_b32_e32 v144, 2, v144
	s_delay_alu instid0(VALU_DEP_3) | instskip(NEXT) | instid1(VALU_DEP_1)
	v_or_b32_e32 v9, v9, v10
	v_cmp_ne_u32_e32 vcc_lo, 0, v9
	v_and_b32_e32 v145, 3, v10
	s_delay_alu instid0(VALU_DEP_1) | instskip(NEXT) | instid1(VALU_DEP_1)
	v_or3_b32 v8, v144, v8, v145
	v_cndmask_b32_e32 v146, 0, v8, vcc_lo
.LBB2_2152:                             ;   in Loop: Header=BB2_2000 Depth=4
	s_or_b32 exec_lo, exec_lo, s38
.LBB2_2153:                             ;   in Loop: Header=BB2_2000 Depth=4
	s_delay_alu instid0(SALU_CYCLE_1) | instskip(SKIP_3) | instid1(VALU_DEP_1)
	s_or_b32 exec_lo, exec_lo, s37
	v_and_b32_e32 v9, 0xff, v11
	s_mov_b32 s14, 0
	s_mov_b32 s38, exec_lo
                                        ; implicit-def: $sgpr37
	v_cmpx_lt_i16_e32 0x7f, v9
	s_xor_b32 s38, exec_lo, s38
	s_cbranch_execnz .LBB2_2503
; %bb.2154:                             ;   in Loop: Header=BB2_2000 Depth=4
	s_or_saveexec_b32 s38, s38
	v_mov_b32_e32 v8, s37
	s_xor_b32 exec_lo, exec_lo, s38
	s_cbranch_execnz .LBB2_2506
.LBB2_2155:                             ;   in Loop: Header=BB2_2000 Depth=4
	s_or_b32 exec_lo, exec_lo, s38
	s_and_saveexec_b32 s37, s14
	s_cbranch_execz .LBB2_2157
.LBB2_2156:                             ;   in Loop: Header=BB2_2000 Depth=4
	v_bfe_u32 v144, v11, 2, 5
	s_delay_alu instid0(VALU_DEP_1) | instskip(SKIP_1) | instid1(VALU_DEP_1)
	v_cmp_eq_u32_e32 vcc_lo, 0, v144
	v_and_b32_e32 v8, 3, v11
	v_clz_i32_u32_e32 v9, v8
	s_delay_alu instid0(VALU_DEP_1) | instskip(NEXT) | instid1(VALU_DEP_1)
	v_min_u32_e32 v9, 32, v9
	v_subrev_nc_u32_e32 v10, 29, v9
	v_sub_nc_u32_e32 v9, 30, v9
	s_delay_alu instid0(VALU_DEP_1) | instskip(NEXT) | instid1(VALU_DEP_1)
	v_dual_cndmask_b32 v9, v144, v9 :: v_dual_lshlrev_b32 v10, v10, v11
	v_and_b32_e32 v10, 3, v10
	v_lshlrev_b32_e32 v145, 24, v11
	s_delay_alu instid0(VALU_DEP_3) | instskip(NEXT) | instid1(VALU_DEP_3)
	v_lshl_add_u32 v9, v9, 23, 0x37800000
	v_cndmask_b32_e32 v8, v8, v10, vcc_lo
	s_delay_alu instid0(VALU_DEP_3) | instskip(NEXT) | instid1(VALU_DEP_2)
	v_and_b32_e32 v10, 0x80000000, v145
	v_lshlrev_b32_e32 v8, 21, v8
	s_delay_alu instid0(VALU_DEP_1)
	v_or3_b32 v8, v10, v9, v8
.LBB2_2157:                             ;   in Loop: Header=BB2_2000 Depth=4
	s_or_b32 exec_lo, exec_lo, s37
	s_delay_alu instid0(VALU_DEP_1) | instskip(SKIP_1) | instid1(VALU_DEP_1)
	v_dual_mul_f32 v8, s36, v8 :: v_dual_mov_b32 v145, 0x80
	s_mov_b32 s37, exec_lo
	v_and_b32_e32 v9, 0x7f800000, v8
	s_delay_alu instid0(VALU_DEP_1)
	v_cmpx_ne_u32_e32 0x7f800000, v9
	s_cbranch_execz .LBB2_2165
; %bb.2158:                             ;   in Loop: Header=BB2_2000 Depth=4
	v_mov_b32_e32 v145, 0
	s_mov_b32 s38, exec_lo
	v_cmpx_ne_u32_e32 0, v8
	s_cbranch_execz .LBB2_2164
; %bb.2159:                             ;   in Loop: Header=BB2_2000 Depth=4
	v_bfe_u32 v9, v8, 23, 8
	v_and_b32_e32 v10, 0x7fffff, v8
	s_delay_alu instid0(VALU_DEP_2) | instskip(SKIP_1) | instid1(VALU_DEP_3)
	v_sub_nc_u32_e32 v144, 0x70, v9
	v_cmp_gt_u32_e32 vcc_lo, 0x71, v9
	v_or_b32_e32 v145, 0x800000, v10
	s_delay_alu instid0(VALU_DEP_3) | instskip(SKIP_2) | instid1(VALU_DEP_3)
	v_cndmask_b32_e32 v144, 0, v144, vcc_lo
	v_cmp_eq_u32_e32 vcc_lo, 0, v9
	v_add_nc_u32_e32 v9, 0xffffff91, v9
	v_cndmask_b32_e64 v144, v144, 0x6f, vcc_lo
	v_cndmask_b32_e32 v10, v145, v10, vcc_lo
	s_delay_alu instid0(VALU_DEP_3) | instskip(NEXT) | instid1(VALU_DEP_3)
	v_cndmask_b32_e64 v9, v9, 0xffffff92, vcc_lo
	v_lshl_add_u32 v145, 0x200000, v144, -1
	s_delay_alu instid0(VALU_DEP_3) | instskip(SKIP_1) | instid1(VALU_DEP_4)
	v_lshrrev_b32_e32 v148, v144, v10
	v_lshlrev_b32_e64 v167, v144, 0x100000
	v_add_nc_u32_e32 v144, v144, v9
	s_delay_alu instid0(VALU_DEP_4) | instskip(NEXT) | instid1(VALU_DEP_4)
	v_and_b32_e32 v10, v145, v10
	v_bfe_u32 v151, v148, 21, 1
	s_delay_alu instid0(VALU_DEP_2) | instskip(NEXT) | instid1(VALU_DEP_2)
	v_cmp_eq_u32_e64 s14, v10, v167
	v_add_nc_u32_e32 v145, -1, v151
	s_delay_alu instid0(VALU_DEP_1) | instskip(SKIP_2) | instid1(VALU_DEP_2)
	v_cndmask_b32_e64 v10, 0, v145, s14
	v_lshrrev_b32_e32 v145, 23, v148
	s_mov_b32 s14, exec_lo
	v_add_nc_u32_e32 v10, v10, v148
	s_delay_alu instid0(VALU_DEP_2) | instskip(NEXT) | instid1(VALU_DEP_2)
	v_xor_b32_e32 v145, 1, v145
	v_and_b32_e32 v9, 0x1fffff, v10
	s_delay_alu instid0(VALU_DEP_1) | instskip(NEXT) | instid1(VALU_DEP_3)
	v_add_nc_u32_e32 v10, v9, v148
                                        ; implicit-def: $vgpr9
	v_cmpx_ne_u32_e64 v144, v145
	s_xor_b32 s14, exec_lo, s14
; %bb.2160:                             ;   in Loop: Header=BB2_2000 Depth=4
	s_delay_alu instid0(VALU_DEP_2) | instskip(SKIP_2) | instid1(VALU_DEP_2)
	v_cmp_lt_u32_e32 vcc_lo, 0xffffff, v10
	v_sub_nc_u32_e32 v9, v144, v145
	v_cndmask_b32_e64 v144, 0, 1, vcc_lo
	v_add_co_ci_u32_e32 v9, vcc_lo, 0, v9, vcc_lo
	s_delay_alu instid0(VALU_DEP_2)
	v_lshrrev_b32_e32 v10, v144, v10
; %bb.2161:                             ;   in Loop: Header=BB2_2000 Depth=4
	s_and_not1_saveexec_b32 s14, s14
; %bb.2162:                             ;   in Loop: Header=BB2_2000 Depth=4
	s_delay_alu instid0(VALU_DEP_1)
	v_bfe_u32 v9, v10, 23, 1
; %bb.2163:                             ;   in Loop: Header=BB2_2000 Depth=4
	s_or_b32 exec_lo, exec_lo, s14
	v_lshrrev_b32_e32 v10, 21, v10
	s_delay_alu instid0(VALU_DEP_2) | instskip(SKIP_2) | instid1(VALU_DEP_3)
	v_min_i32_e32 v144, 31, v9
	v_cmp_gt_i32_e32 vcc_lo, 32, v9
	v_lshrrev_b32_e32 v8, 24, v8
	v_lshlrev_b32_e32 v144, 2, v144
	v_cndmask_b32_e32 v10, 3, v10, vcc_lo
	s_delay_alu instid0(VALU_DEP_3) | instskip(NEXT) | instid1(VALU_DEP_3)
	v_and_b32_e32 v8, 0x80, v8
	v_and_b32_e32 v144, 0xfc, v144
	s_delay_alu instid0(VALU_DEP_3) | instskip(SKIP_1) | instid1(VALU_DEP_2)
	v_and_b32_e32 v145, 3, v10
	v_or_b32_e32 v9, v9, v10
	v_or3_b32 v8, v144, v8, v145
	s_delay_alu instid0(VALU_DEP_2) | instskip(NEXT) | instid1(VALU_DEP_2)
	v_cmp_ne_u32_e32 vcc_lo, 0, v9
	v_cndmask_b32_e32 v145, 0, v8, vcc_lo
.LBB2_2164:                             ;   in Loop: Header=BB2_2000 Depth=4
	s_or_b32 exec_lo, exec_lo, s38
.LBB2_2165:                             ;   in Loop: Header=BB2_2000 Depth=4
	s_delay_alu instid0(SALU_CYCLE_1) | instskip(SKIP_3) | instid1(VALU_DEP_1)
	s_or_b32 exec_lo, exec_lo, s37
	v_lshrrev_b16 v8, 8, v11
	s_mov_b32 s14, 0
	s_mov_b32 s38, exec_lo
                                        ; implicit-def: $sgpr37
	v_cmpx_lt_i16_e32 0x7f, v8
	s_xor_b32 s38, exec_lo, s38
	s_cbranch_execnz .LBB2_2507
; %bb.2166:                             ;   in Loop: Header=BB2_2000 Depth=4
	s_or_saveexec_b32 s38, s38
	v_mov_b32_e32 v9, s37
	s_xor_b32 exec_lo, exec_lo, s38
	s_cbranch_execnz .LBB2_2510
.LBB2_2167:                             ;   in Loop: Header=BB2_2000 Depth=4
	s_or_b32 exec_lo, exec_lo, s38
	s_and_saveexec_b32 s37, s14
	s_cbranch_execz .LBB2_2169
.LBB2_2168:                             ;   in Loop: Header=BB2_2000 Depth=4
	v_and_b32_e32 v9, 0xffff, v8
	v_lshlrev_b32_e32 v8, 24, v8
	s_delay_alu instid0(VALU_DEP_2) | instskip(NEXT) | instid1(VALU_DEP_2)
	v_and_b32_e32 v10, 3, v9
	v_and_b32_e32 v8, 0x80000000, v8
	s_delay_alu instid0(VALU_DEP_2) | instskip(NEXT) | instid1(VALU_DEP_1)
	v_clz_i32_u32_e32 v144, v10
	v_min_u32_e32 v144, 32, v144
	s_delay_alu instid0(VALU_DEP_1) | instskip(SKIP_1) | instid1(VALU_DEP_2)
	v_subrev_nc_u32_e32 v148, 29, v144
	v_sub_nc_u32_e32 v144, 30, v144
	v_lshlrev_b32_e32 v148, v148, v9
	v_bfe_u32 v9, v9, 2, 5
	s_delay_alu instid0(VALU_DEP_2) | instskip(NEXT) | instid1(VALU_DEP_2)
	v_and_b32_e32 v148, 3, v148
	v_cmp_eq_u32_e32 vcc_lo, 0, v9
	v_cndmask_b32_e32 v9, v9, v144, vcc_lo
	s_delay_alu instid0(VALU_DEP_3) | instskip(NEXT) | instid1(VALU_DEP_2)
	v_cndmask_b32_e32 v10, v10, v148, vcc_lo
	v_lshl_add_u32 v9, v9, 23, 0x37800000
	s_delay_alu instid0(VALU_DEP_2) | instskip(NEXT) | instid1(VALU_DEP_1)
	v_lshlrev_b32_e32 v10, 21, v10
	v_or3_b32 v9, v8, v9, v10
.LBB2_2169:                             ;   in Loop: Header=BB2_2000 Depth=4
	s_or_b32 exec_lo, exec_lo, s37
	s_delay_alu instid0(VALU_DEP_1) | instskip(SKIP_1) | instid1(VALU_DEP_1)
	v_dual_mul_f32 v8, s36, v9 :: v_dual_mov_b32 v151, 0x8000
	s_mov_b32 s37, exec_lo
	v_and_b32_e32 v9, 0x7f800000, v8
	s_delay_alu instid0(VALU_DEP_1)
	v_cmpx_ne_u32_e32 0x7f800000, v9
	s_cbranch_execz .LBB2_2177
; %bb.2170:                             ;   in Loop: Header=BB2_2000 Depth=4
	v_mov_b32_e32 v151, 0
	s_mov_b32 s38, exec_lo
	v_cmpx_ne_u32_e32 0, v8
	s_cbranch_execz .LBB2_2176
; %bb.2171:                             ;   in Loop: Header=BB2_2000 Depth=4
	v_bfe_u32 v9, v8, 23, 8
	v_and_b32_e32 v10, 0x7fffff, v8
	s_delay_alu instid0(VALU_DEP_2) | instskip(SKIP_1) | instid1(VALU_DEP_3)
	v_sub_nc_u32_e32 v144, 0x70, v9
	v_cmp_gt_u32_e32 vcc_lo, 0x71, v9
	v_or_b32_e32 v148, 0x800000, v10
	s_delay_alu instid0(VALU_DEP_3) | instskip(SKIP_2) | instid1(VALU_DEP_3)
	v_cndmask_b32_e32 v144, 0, v144, vcc_lo
	v_cmp_eq_u32_e32 vcc_lo, 0, v9
	v_add_nc_u32_e32 v9, 0xffffff91, v9
	v_cndmask_b32_e64 v144, v144, 0x6f, vcc_lo
	v_cndmask_b32_e32 v10, v148, v10, vcc_lo
	s_delay_alu instid0(VALU_DEP_3) | instskip(NEXT) | instid1(VALU_DEP_3)
	v_cndmask_b32_e64 v9, v9, 0xffffff92, vcc_lo
	v_lshl_add_u32 v148, 0x200000, v144, -1
	s_delay_alu instid0(VALU_DEP_3) | instskip(SKIP_1) | instid1(VALU_DEP_4)
	v_lshrrev_b32_e32 v151, v144, v10
	v_lshlrev_b32_e64 v176, v144, 0x100000
	v_add_nc_u32_e32 v144, v144, v9
	s_delay_alu instid0(VALU_DEP_4) | instskip(NEXT) | instid1(VALU_DEP_4)
	v_and_b32_e32 v10, v148, v10
	v_bfe_u32 v167, v151, 21, 1
	s_delay_alu instid0(VALU_DEP_2) | instskip(NEXT) | instid1(VALU_DEP_2)
	v_cmp_eq_u32_e64 s14, v10, v176
	v_add_nc_u32_e32 v148, -1, v167
	s_delay_alu instid0(VALU_DEP_1) | instskip(SKIP_2) | instid1(VALU_DEP_2)
	v_cndmask_b32_e64 v10, 0, v148, s14
	v_lshrrev_b32_e32 v148, 23, v151
	s_mov_b32 s14, exec_lo
	v_add_nc_u32_e32 v10, v10, v151
	s_delay_alu instid0(VALU_DEP_2) | instskip(NEXT) | instid1(VALU_DEP_2)
	v_xor_b32_e32 v148, 1, v148
	v_and_b32_e32 v9, 0x1fffff, v10
	s_delay_alu instid0(VALU_DEP_1) | instskip(NEXT) | instid1(VALU_DEP_3)
	v_add_nc_u32_e32 v10, v9, v151
                                        ; implicit-def: $vgpr9
	v_cmpx_ne_u32_e64 v144, v148
	s_xor_b32 s14, exec_lo, s14
; %bb.2172:                             ;   in Loop: Header=BB2_2000 Depth=4
	s_delay_alu instid0(VALU_DEP_2) | instskip(SKIP_2) | instid1(VALU_DEP_2)
	v_cmp_lt_u32_e32 vcc_lo, 0xffffff, v10
	v_sub_nc_u32_e32 v9, v144, v148
	v_cndmask_b32_e64 v144, 0, 1, vcc_lo
	v_add_co_ci_u32_e32 v9, vcc_lo, 0, v9, vcc_lo
	s_delay_alu instid0(VALU_DEP_2)
	v_lshrrev_b32_e32 v10, v144, v10
; %bb.2173:                             ;   in Loop: Header=BB2_2000 Depth=4
	s_and_not1_saveexec_b32 s14, s14
; %bb.2174:                             ;   in Loop: Header=BB2_2000 Depth=4
	s_delay_alu instid0(VALU_DEP_1)
	v_bfe_u32 v9, v10, 23, 1
; %bb.2175:                             ;   in Loop: Header=BB2_2000 Depth=4
	s_or_b32 exec_lo, exec_lo, s14
	v_lshrrev_b32_e32 v10, 21, v10
	s_delay_alu instid0(VALU_DEP_2) | instskip(SKIP_2) | instid1(VALU_DEP_3)
	v_min_i32_e32 v144, 31, v9
	v_cmp_gt_i32_e32 vcc_lo, 32, v9
	v_lshrrev_b32_e32 v8, 24, v8
	v_lshlrev_b32_e32 v144, 2, v144
	v_cndmask_b32_e32 v10, 3, v10, vcc_lo
	s_delay_alu instid0(VALU_DEP_3) | instskip(NEXT) | instid1(VALU_DEP_3)
	v_and_b32_e32 v8, 0x80, v8
	v_and_b32_e32 v144, 0xfc, v144
	s_delay_alu instid0(VALU_DEP_3) | instskip(SKIP_1) | instid1(VALU_DEP_2)
	v_and_b32_e32 v148, 3, v10
	v_or_b32_e32 v9, v9, v10
	v_or3_b32 v8, v8, v144, v148
	s_delay_alu instid0(VALU_DEP_2) | instskip(NEXT) | instid1(VALU_DEP_2)
	v_cmp_ne_u32_e32 vcc_lo, 0, v9
	v_lshlrev_b32_e32 v8, 8, v8
	s_delay_alu instid0(VALU_DEP_1)
	v_cndmask_b32_e32 v151, 0, v8, vcc_lo
.LBB2_2176:                             ;   in Loop: Header=BB2_2000 Depth=4
	s_or_b32 exec_lo, exec_lo, s38
.LBB2_2177:                             ;   in Loop: Header=BB2_2000 Depth=4
	s_delay_alu instid0(SALU_CYCLE_1) | instskip(SKIP_3) | instid1(VALU_DEP_1)
	s_or_b32 exec_lo, exec_lo, s37
	v_lshrrev_b32_e32 v8, 16, v11
	s_mov_b32 s14, 0
	s_mov_b32 s38, exec_lo
                                        ; implicit-def: $sgpr37
	v_and_b32_e32 v10, 0xff, v8
	s_delay_alu instid0(VALU_DEP_1)
	v_cmpx_lt_i16_e32 0x7f, v10
	s_xor_b32 s38, exec_lo, s38
	s_cbranch_execnz .LBB2_2511
; %bb.2178:                             ;   in Loop: Header=BB2_2000 Depth=4
	s_or_saveexec_b32 s38, s38
	v_mov_b32_e32 v9, s37
	s_xor_b32 exec_lo, exec_lo, s38
	s_cbranch_execnz .LBB2_2514
.LBB2_2179:                             ;   in Loop: Header=BB2_2000 Depth=4
	s_or_b32 exec_lo, exec_lo, s38
	s_and_saveexec_b32 s37, s14
	s_cbranch_execz .LBB2_2181
.LBB2_2180:                             ;   in Loop: Header=BB2_2000 Depth=4
	v_bfe_u32 v9, v11, 16, 2
	v_lshlrev_b32_e32 v148, 8, v11
	s_delay_alu instid0(VALU_DEP_2) | instskip(NEXT) | instid1(VALU_DEP_1)
	v_clz_i32_u32_e32 v10, v9
	v_min_u32_e32 v10, 32, v10
	s_delay_alu instid0(VALU_DEP_1) | instskip(SKIP_1) | instid1(VALU_DEP_2)
	v_subrev_nc_u32_e32 v144, 29, v10
	v_sub_nc_u32_e32 v10, 30, v10
	v_lshlrev_b32_e32 v8, v144, v8
	v_bfe_u32 v144, v11, 18, 5
	s_delay_alu instid0(VALU_DEP_2) | instskip(NEXT) | instid1(VALU_DEP_2)
	v_and_b32_e32 v8, 3, v8
	v_cmp_eq_u32_e32 vcc_lo, 0, v144
	v_cndmask_b32_e32 v10, v144, v10, vcc_lo
	s_delay_alu instid0(VALU_DEP_3) | instskip(SKIP_1) | instid1(VALU_DEP_3)
	v_cndmask_b32_e32 v8, v9, v8, vcc_lo
	v_and_b32_e32 v9, 0x80000000, v148
	v_lshl_add_u32 v10, v10, 23, 0x37800000
	s_delay_alu instid0(VALU_DEP_3) | instskip(NEXT) | instid1(VALU_DEP_1)
	v_lshlrev_b32_e32 v8, 21, v8
	v_or3_b32 v9, v9, v10, v8
.LBB2_2181:                             ;   in Loop: Header=BB2_2000 Depth=4
	s_or_b32 exec_lo, exec_lo, s37
	s_delay_alu instid0(VALU_DEP_1) | instskip(SKIP_2) | instid1(VALU_DEP_2)
	v_mul_f32_e32 v8, s36, v9
	v_mov_b32_e32 v144, 0x80
	s_mov_b32 s37, exec_lo
	v_and_b32_e32 v9, 0x7f800000, v8
	s_delay_alu instid0(VALU_DEP_1)
	v_cmpx_ne_u32_e32 0x7f800000, v9
	s_cbranch_execz .LBB2_2189
; %bb.2182:                             ;   in Loop: Header=BB2_2000 Depth=4
	v_mov_b32_e32 v144, 0
	s_mov_b32 s38, exec_lo
	v_cmpx_ne_u32_e32 0, v8
	s_cbranch_execz .LBB2_2188
; %bb.2183:                             ;   in Loop: Header=BB2_2000 Depth=4
	v_bfe_u32 v9, v8, 23, 8
	v_and_b32_e32 v10, 0x7fffff, v8
	s_delay_alu instid0(VALU_DEP_2) | instskip(SKIP_1) | instid1(VALU_DEP_3)
	v_sub_nc_u32_e32 v144, 0x70, v9
	v_cmp_gt_u32_e32 vcc_lo, 0x71, v9
	v_or_b32_e32 v148, 0x800000, v10
	s_delay_alu instid0(VALU_DEP_3) | instskip(SKIP_2) | instid1(VALU_DEP_3)
	v_cndmask_b32_e32 v144, 0, v144, vcc_lo
	v_cmp_eq_u32_e32 vcc_lo, 0, v9
	v_add_nc_u32_e32 v9, 0xffffff91, v9
	v_cndmask_b32_e64 v144, v144, 0x6f, vcc_lo
	v_cndmask_b32_e32 v10, v148, v10, vcc_lo
	s_delay_alu instid0(VALU_DEP_3) | instskip(NEXT) | instid1(VALU_DEP_3)
	v_cndmask_b32_e64 v9, v9, 0xffffff92, vcc_lo
	v_lshl_add_u32 v148, 0x200000, v144, -1
	s_delay_alu instid0(VALU_DEP_3) | instskip(SKIP_1) | instid1(VALU_DEP_4)
	v_lshrrev_b32_e32 v167, v144, v10
	v_lshlrev_b32_e64 v177, v144, 0x100000
	v_add_nc_u32_e32 v144, v144, v9
	s_delay_alu instid0(VALU_DEP_4) | instskip(NEXT) | instid1(VALU_DEP_4)
	v_and_b32_e32 v10, v148, v10
	v_bfe_u32 v176, v167, 21, 1
	s_delay_alu instid0(VALU_DEP_2) | instskip(NEXT) | instid1(VALU_DEP_2)
	v_cmp_eq_u32_e64 s14, v10, v177
	v_add_nc_u32_e32 v148, -1, v176
	s_delay_alu instid0(VALU_DEP_1) | instskip(SKIP_2) | instid1(VALU_DEP_2)
	v_cndmask_b32_e64 v10, 0, v148, s14
	v_lshrrev_b32_e32 v148, 23, v167
	s_mov_b32 s14, exec_lo
	v_add_nc_u32_e32 v10, v10, v167
	s_delay_alu instid0(VALU_DEP_2) | instskip(NEXT) | instid1(VALU_DEP_2)
	v_xor_b32_e32 v148, 1, v148
	v_and_b32_e32 v9, 0x1fffff, v10
	s_delay_alu instid0(VALU_DEP_1) | instskip(NEXT) | instid1(VALU_DEP_3)
	v_add_nc_u32_e32 v10, v9, v167
                                        ; implicit-def: $vgpr9
	v_cmpx_ne_u32_e64 v144, v148
	s_xor_b32 s14, exec_lo, s14
; %bb.2184:                             ;   in Loop: Header=BB2_2000 Depth=4
	s_delay_alu instid0(VALU_DEP_2) | instskip(SKIP_2) | instid1(VALU_DEP_2)
	v_cmp_lt_u32_e32 vcc_lo, 0xffffff, v10
	v_sub_nc_u32_e32 v9, v144, v148
	v_cndmask_b32_e64 v144, 0, 1, vcc_lo
	v_add_co_ci_u32_e32 v9, vcc_lo, 0, v9, vcc_lo
	s_delay_alu instid0(VALU_DEP_2)
	v_lshrrev_b32_e32 v10, v144, v10
; %bb.2185:                             ;   in Loop: Header=BB2_2000 Depth=4
	s_and_not1_saveexec_b32 s14, s14
; %bb.2186:                             ;   in Loop: Header=BB2_2000 Depth=4
	s_delay_alu instid0(VALU_DEP_1)
	v_bfe_u32 v9, v10, 23, 1
; %bb.2187:                             ;   in Loop: Header=BB2_2000 Depth=4
	s_or_b32 exec_lo, exec_lo, s14
	v_lshrrev_b32_e32 v10, 21, v10
	s_delay_alu instid0(VALU_DEP_2) | instskip(SKIP_2) | instid1(VALU_DEP_3)
	v_min_i32_e32 v144, 31, v9
	v_cmp_gt_i32_e32 vcc_lo, 32, v9
	v_lshrrev_b32_e32 v8, 24, v8
	v_lshlrev_b32_e32 v144, 2, v144
	v_cndmask_b32_e32 v10, 3, v10, vcc_lo
	s_delay_alu instid0(VALU_DEP_3) | instskip(NEXT) | instid1(VALU_DEP_3)
	v_and_b32_e32 v8, 0x80, v8
	v_and_b32_e32 v144, 0xfc, v144
	s_delay_alu instid0(VALU_DEP_3) | instskip(SKIP_1) | instid1(VALU_DEP_2)
	v_and_b32_e32 v148, 3, v10
	v_or_b32_e32 v9, v9, v10
	v_or3_b32 v8, v144, v8, v148
	s_delay_alu instid0(VALU_DEP_2) | instskip(NEXT) | instid1(VALU_DEP_2)
	v_cmp_ne_u32_e32 vcc_lo, 0, v9
	v_cndmask_b32_e32 v144, 0, v8, vcc_lo
.LBB2_2188:                             ;   in Loop: Header=BB2_2000 Depth=4
	s_or_b32 exec_lo, exec_lo, s38
.LBB2_2189:                             ;   in Loop: Header=BB2_2000 Depth=4
	s_delay_alu instid0(SALU_CYCLE_1) | instskip(SKIP_3) | instid1(VALU_DEP_1)
	s_or_b32 exec_lo, exec_lo, s37
	v_lshrrev_b32_e32 v8, 24, v11
	s_mov_b32 s14, 0
	s_mov_b32 s38, exec_lo
                                        ; implicit-def: $sgpr37
	v_cmpx_lt_i16_e32 0x7f, v8
	s_xor_b32 s38, exec_lo, s38
	s_cbranch_execnz .LBB2_2515
; %bb.2190:                             ;   in Loop: Header=BB2_2000 Depth=4
	s_or_saveexec_b32 s38, s38
	v_mov_b32_e32 v9, s37
	s_xor_b32 exec_lo, exec_lo, s38
	s_cbranch_execnz .LBB2_2518
.LBB2_2191:                             ;   in Loop: Header=BB2_2000 Depth=4
	s_or_b32 exec_lo, exec_lo, s38
	s_and_saveexec_b32 s37, s14
	s_cbranch_execz .LBB2_2193
.LBB2_2192:                             ;   in Loop: Header=BB2_2000 Depth=4
	v_bfe_u32 v9, v11, 24, 2
	s_delay_alu instid0(VALU_DEP_1) | instskip(NEXT) | instid1(VALU_DEP_1)
	v_clz_i32_u32_e32 v10, v9
	v_min_u32_e32 v10, 32, v10
	s_delay_alu instid0(VALU_DEP_1) | instskip(SKIP_1) | instid1(VALU_DEP_2)
	v_subrev_nc_u32_e32 v148, 29, v10
	v_sub_nc_u32_e32 v10, 30, v10
	v_lshlrev_b32_e32 v8, v148, v8
	v_bfe_u32 v148, v11, 26, 5
	s_delay_alu instid0(VALU_DEP_2) | instskip(NEXT) | instid1(VALU_DEP_2)
	v_and_b32_e32 v8, 3, v8
	v_cmp_eq_u32_e32 vcc_lo, 0, v148
	v_cndmask_b32_e32 v10, v148, v10, vcc_lo
	s_delay_alu instid0(VALU_DEP_3) | instskip(NEXT) | instid1(VALU_DEP_2)
	v_dual_cndmask_b32 v8, v9, v8 :: v_dual_and_b32 v9, 0x80000000, v11
	v_lshl_add_u32 v10, v10, 23, 0x37800000
	s_delay_alu instid0(VALU_DEP_2) | instskip(NEXT) | instid1(VALU_DEP_1)
	v_lshlrev_b32_e32 v8, 21, v8
	v_or3_b32 v9, v9, v10, v8
.LBB2_2193:                             ;   in Loop: Header=BB2_2000 Depth=4
	s_or_b32 exec_lo, exec_lo, s37
	s_delay_alu instid0(VALU_DEP_1) | instskip(SKIP_2) | instid1(VALU_DEP_2)
	v_mul_f32_e32 v8, s36, v9
	v_mov_b32_e32 v148, 0x8000
	s_mov_b32 s36, exec_lo
	v_and_b32_e32 v9, 0x7f800000, v8
	s_delay_alu instid0(VALU_DEP_1)
	v_cmpx_ne_u32_e32 0x7f800000, v9
	s_cbranch_execz .LBB2_2201
; %bb.2194:                             ;   in Loop: Header=BB2_2000 Depth=4
	v_mov_b32_e32 v148, 0
	s_mov_b32 s37, exec_lo
	v_cmpx_ne_u32_e32 0, v8
	s_cbranch_execz .LBB2_2200
; %bb.2195:                             ;   in Loop: Header=BB2_2000 Depth=4
	v_bfe_u32 v9, v8, 23, 8
	s_delay_alu instid0(VALU_DEP_1) | instskip(SKIP_1) | instid1(VALU_DEP_2)
	v_sub_nc_u32_e32 v11, 0x70, v9
	v_cmp_gt_u32_e32 vcc_lo, 0x71, v9
	v_dual_cndmask_b32 v11, 0, v11 :: v_dual_and_b32 v10, 0x7fffff, v8
	s_delay_alu instid0(VALU_DEP_1) | instskip(SKIP_2) | instid1(VALU_DEP_4)
	v_or_b32_e32 v148, 0x800000, v10
	v_cmp_eq_u32_e32 vcc_lo, 0, v9
	v_add_nc_u32_e32 v9, 0xffffff91, v9
	v_cndmask_b32_e64 v11, v11, 0x6f, vcc_lo
	s_delay_alu instid0(VALU_DEP_4) | instskip(NEXT) | instid1(VALU_DEP_3)
	v_cndmask_b32_e32 v10, v148, v10, vcc_lo
	v_cndmask_b32_e64 v9, v9, 0xffffff92, vcc_lo
	s_delay_alu instid0(VALU_DEP_3) | instskip(NEXT) | instid1(VALU_DEP_3)
	v_lshl_add_u32 v148, 0x200000, v11, -1
	v_lshrrev_b32_e32 v167, v11, v10
	v_lshlrev_b32_e64 v177, v11, 0x100000
	s_delay_alu instid0(VALU_DEP_4) | instskip(NEXT) | instid1(VALU_DEP_4)
	v_add_nc_u32_e32 v11, v11, v9
	v_and_b32_e32 v10, v148, v10
	s_delay_alu instid0(VALU_DEP_4) | instskip(NEXT) | instid1(VALU_DEP_2)
	v_bfe_u32 v176, v167, 21, 1
	v_cmp_eq_u32_e64 s14, v10, v177
	s_delay_alu instid0(VALU_DEP_2) | instskip(NEXT) | instid1(VALU_DEP_1)
	v_add_nc_u32_e32 v148, -1, v176
	v_cndmask_b32_e64 v10, 0, v148, s14
	v_lshrrev_b32_e32 v148, 23, v167
	s_mov_b32 s14, exec_lo
	s_delay_alu instid0(VALU_DEP_2) | instskip(NEXT) | instid1(VALU_DEP_2)
	v_add_nc_u32_e32 v10, v10, v167
	v_xor_b32_e32 v148, 1, v148
	s_delay_alu instid0(VALU_DEP_2) | instskip(NEXT) | instid1(VALU_DEP_1)
	v_and_b32_e32 v9, 0x1fffff, v10
	v_add_nc_u32_e32 v10, v9, v167
                                        ; implicit-def: $vgpr9
	s_delay_alu instid0(VALU_DEP_3)
	v_cmpx_ne_u32_e64 v11, v148
	s_xor_b32 s14, exec_lo, s14
; %bb.2196:                             ;   in Loop: Header=BB2_2000 Depth=4
	s_delay_alu instid0(VALU_DEP_2) | instskip(SKIP_2) | instid1(VALU_DEP_2)
	v_cmp_lt_u32_e32 vcc_lo, 0xffffff, v10
	v_sub_nc_u32_e32 v9, v11, v148
	v_cndmask_b32_e64 v11, 0, 1, vcc_lo
	v_add_co_ci_u32_e32 v9, vcc_lo, 0, v9, vcc_lo
	s_delay_alu instid0(VALU_DEP_2)
	v_lshrrev_b32_e32 v10, v11, v10
; %bb.2197:                             ;   in Loop: Header=BB2_2000 Depth=4
	s_and_not1_saveexec_b32 s14, s14
; %bb.2198:                             ;   in Loop: Header=BB2_2000 Depth=4
	s_delay_alu instid0(VALU_DEP_1)
	v_bfe_u32 v9, v10, 23, 1
; %bb.2199:                             ;   in Loop: Header=BB2_2000 Depth=4
	s_or_b32 exec_lo, exec_lo, s14
	v_lshrrev_b32_e32 v10, 21, v10
	s_delay_alu instid0(VALU_DEP_2) | instskip(SKIP_2) | instid1(VALU_DEP_2)
	v_cmp_gt_i32_e32 vcc_lo, 32, v9
	v_min_i32_e32 v11, 31, v9
	v_lshrrev_b32_e32 v8, 24, v8
	v_dual_cndmask_b32 v10, 3, v10 :: v_dual_lshlrev_b32 v11, 2, v11
	s_delay_alu instid0(VALU_DEP_2) | instskip(NEXT) | instid1(VALU_DEP_2)
	v_and_b32_e32 v8, 0x80, v8
	v_or_b32_e32 v9, v9, v10
	v_and_b32_e32 v148, 3, v10
	s_delay_alu instid0(VALU_DEP_2) | instskip(SKIP_1) | instid1(VALU_DEP_1)
	v_cmp_ne_u32_e32 vcc_lo, 0, v9
	v_and_b32_e32 v11, 0xfc, v11
	v_or3_b32 v8, v8, v11, v148
	s_delay_alu instid0(VALU_DEP_1) | instskip(NEXT) | instid1(VALU_DEP_1)
	v_lshlrev_b32_e32 v8, 8, v8
	v_cndmask_b32_e32 v148, 0, v8, vcc_lo
.LBB2_2200:                             ;   in Loop: Header=BB2_2000 Depth=4
	s_or_b32 exec_lo, exec_lo, s37
.LBB2_2201:                             ;   in Loop: Header=BB2_2000 Depth=4
	s_delay_alu instid0(SALU_CYCLE_1) | instskip(SKIP_4) | instid1(VALU_DEP_1)
	s_or_b32 exec_lo, exec_lo, s36
	global_load_b128 v[8:11], v[64:65], off slc dlc
	v_and_b32_e32 v176, 0xff, v135
	s_mov_b32 s14, 0
	s_mov_b32 s37, exec_lo
                                        ; implicit-def: $sgpr36
	v_cmpx_lt_i16_e64 0x7f, v176
	s_xor_b32 s37, exec_lo, s37
	s_cbranch_execnz .LBB2_2519
; %bb.2202:                             ;   in Loop: Header=BB2_2000 Depth=4
	s_or_saveexec_b32 s37, s37
	v_mov_b32_e32 v167, s36
	s_xor_b32 exec_lo, exec_lo, s37
	s_cbranch_execnz .LBB2_2522
.LBB2_2203:                             ;   in Loop: Header=BB2_2000 Depth=4
	s_or_b32 exec_lo, exec_lo, s37
	s_and_saveexec_b32 s36, s14
	s_cbranch_execz .LBB2_2205
.LBB2_2204:                             ;   in Loop: Header=BB2_2000 Depth=4
	v_bfe_u32 v178, v135, 2, 5
	s_delay_alu instid0(VALU_DEP_1) | instskip(SKIP_1) | instid1(VALU_DEP_1)
	v_cmp_eq_u32_e32 vcc_lo, 0, v178
	v_and_b32_e32 v167, 3, v135
	v_clz_i32_u32_e32 v176, v167
	s_delay_alu instid0(VALU_DEP_1) | instskip(NEXT) | instid1(VALU_DEP_1)
	v_min_u32_e32 v176, 32, v176
	v_subrev_nc_u32_e32 v177, 29, v176
	v_sub_nc_u32_e32 v176, 30, v176
	s_delay_alu instid0(VALU_DEP_1) | instskip(SKIP_1) | instid1(VALU_DEP_2)
	v_dual_cndmask_b32 v176, v178, v176 :: v_dual_lshlrev_b32 v177, v177, v135
	v_lshlrev_b32_e32 v135, 24, v135
	v_and_b32_e32 v177, 3, v177
	s_delay_alu instid0(VALU_DEP_3) | instskip(NEXT) | instid1(VALU_DEP_3)
	v_lshl_add_u32 v176, v176, 23, 0x37800000
	v_and_b32_e32 v135, 0x80000000, v135
	s_delay_alu instid0(VALU_DEP_3) | instskip(NEXT) | instid1(VALU_DEP_1)
	v_cndmask_b32_e32 v167, v167, v177, vcc_lo
	v_lshlrev_b32_e32 v167, 21, v167
	s_delay_alu instid0(VALU_DEP_1)
	v_or3_b32 v167, v135, v176, v167
.LBB2_2205:                             ;   in Loop: Header=BB2_2000 Depth=4
	s_or_b32 exec_lo, exec_lo, s36
	s_waitcnt vmcnt(0)
	v_and_b32_e32 v176, 0xff, v8
	s_mov_b32 s14, 0
	s_mov_b32 s37, exec_lo
                                        ; implicit-def: $sgpr36
	s_delay_alu instid0(VALU_DEP_1)
	v_cmpx_lt_i16_e64 0x7f, v176
	s_xor_b32 s37, exec_lo, s37
	s_cbranch_execnz .LBB2_2523
; %bb.2206:                             ;   in Loop: Header=BB2_2000 Depth=4
	s_or_saveexec_b32 s37, s37
	v_mov_b32_e32 v135, s36
	s_xor_b32 exec_lo, exec_lo, s37
	s_cbranch_execnz .LBB2_2526
.LBB2_2207:                             ;   in Loop: Header=BB2_2000 Depth=4
	s_or_b32 exec_lo, exec_lo, s37
	s_and_saveexec_b32 s36, s14
	s_cbranch_execz .LBB2_2209
.LBB2_2208:                             ;   in Loop: Header=BB2_2000 Depth=4
	v_and_b32_e32 v135, 3, v8
	v_bfe_u32 v178, v8, 2, 5
	v_lshlrev_b32_e32 v179, 24, v8
	s_delay_alu instid0(VALU_DEP_3) | instskip(NEXT) | instid1(VALU_DEP_3)
	v_clz_i32_u32_e32 v176, v135
	v_cmp_eq_u32_e32 vcc_lo, 0, v178
	s_delay_alu instid0(VALU_DEP_2) | instskip(NEXT) | instid1(VALU_DEP_1)
	v_min_u32_e32 v176, 32, v176
	v_subrev_nc_u32_e32 v177, 29, v176
	v_sub_nc_u32_e32 v176, 30, v176
	s_delay_alu instid0(VALU_DEP_2) | instskip(NEXT) | instid1(VALU_DEP_1)
	v_lshlrev_b32_e32 v177, v177, v8
	v_dual_cndmask_b32 v176, v178, v176 :: v_dual_and_b32 v177, 3, v177
	s_delay_alu instid0(VALU_DEP_1) | instskip(NEXT) | instid1(VALU_DEP_2)
	v_lshl_add_u32 v176, v176, 23, 0x37800000
	v_cndmask_b32_e32 v135, v135, v177, vcc_lo
	v_and_b32_e32 v177, 0x80000000, v179
	s_delay_alu instid0(VALU_DEP_2) | instskip(NEXT) | instid1(VALU_DEP_1)
	v_lshlrev_b32_e32 v135, 21, v135
	v_or3_b32 v135, v177, v176, v135
.LBB2_2209:                             ;   in Loop: Header=BB2_2000 Depth=4
	s_or_b32 exec_lo, exec_lo, s36
	s_delay_alu instid0(VALU_DEP_1) | instskip(NEXT) | instid1(VALU_DEP_1)
	v_add_f32_e32 v167, v167, v135
	v_and_b32_e32 v135, 0x7f800000, v167
	s_delay_alu instid0(VALU_DEP_1)
	v_cmp_ne_u32_e32 vcc_lo, 0x7f800000, v135
	v_mov_b32_e32 v135, 0x80
	s_and_saveexec_b32 s36, vcc_lo
	s_cbranch_execz .LBB2_2217
; %bb.2210:                             ;   in Loop: Header=BB2_2000 Depth=4
	v_mov_b32_e32 v135, 0
	s_mov_b32 s37, exec_lo
	v_cmpx_ne_u32_e32 0, v167
	s_cbranch_execz .LBB2_2216
; %bb.2211:                             ;   in Loop: Header=BB2_2000 Depth=4
	v_bfe_u32 v135, v167, 23, 8
	s_delay_alu instid0(VALU_DEP_1) | instskip(SKIP_1) | instid1(VALU_DEP_2)
	v_sub_nc_u32_e32 v177, 0x70, v135
	v_cmp_gt_u32_e32 vcc_lo, 0x71, v135
	v_dual_cndmask_b32 v177, 0, v177 :: v_dual_and_b32 v176, 0x7fffff, v167
	s_delay_alu instid0(VALU_DEP_1) | instskip(SKIP_2) | instid1(VALU_DEP_4)
	v_or_b32_e32 v178, 0x800000, v176
	v_cmp_eq_u32_e32 vcc_lo, 0, v135
	v_add_nc_u32_e32 v135, 0xffffff91, v135
	v_cndmask_b32_e64 v177, v177, 0x6f, vcc_lo
	s_delay_alu instid0(VALU_DEP_4) | instskip(NEXT) | instid1(VALU_DEP_3)
	v_cndmask_b32_e32 v176, v178, v176, vcc_lo
	v_cndmask_b32_e64 v135, v135, 0xffffff92, vcc_lo
	s_delay_alu instid0(VALU_DEP_3) | instskip(NEXT) | instid1(VALU_DEP_3)
	v_lshl_add_u32 v178, 0x200000, v177, -1
	v_lshrrev_b32_e32 v179, v177, v176
	v_lshlrev_b32_e64 v181, v177, 0x100000
	s_delay_alu instid0(VALU_DEP_4) | instskip(NEXT) | instid1(VALU_DEP_4)
	v_add_nc_u32_e32 v177, v177, v135
	v_and_b32_e32 v176, v178, v176
	s_delay_alu instid0(VALU_DEP_4) | instskip(NEXT) | instid1(VALU_DEP_2)
	v_bfe_u32 v180, v179, 21, 1
	v_cmp_eq_u32_e64 s14, v176, v181
	s_delay_alu instid0(VALU_DEP_2) | instskip(NEXT) | instid1(VALU_DEP_1)
	v_add_nc_u32_e32 v178, -1, v180
	v_cndmask_b32_e64 v176, 0, v178, s14
	v_lshrrev_b32_e32 v178, 23, v179
	s_mov_b32 s14, exec_lo
	s_delay_alu instid0(VALU_DEP_2) | instskip(NEXT) | instid1(VALU_DEP_2)
	v_add_nc_u32_e32 v176, v176, v179
	v_xor_b32_e32 v178, 1, v178
	s_delay_alu instid0(VALU_DEP_2) | instskip(NEXT) | instid1(VALU_DEP_1)
	v_and_b32_e32 v135, 0x1fffff, v176
	v_add_nc_u32_e32 v176, v135, v179
                                        ; implicit-def: $vgpr135
	s_delay_alu instid0(VALU_DEP_3)
	v_cmpx_ne_u32_e64 v177, v178
	s_xor_b32 s14, exec_lo, s14
; %bb.2212:                             ;   in Loop: Header=BB2_2000 Depth=4
	s_delay_alu instid0(VALU_DEP_2) | instskip(SKIP_2) | instid1(VALU_DEP_2)
	v_cmp_lt_u32_e32 vcc_lo, 0xffffff, v176
	v_sub_nc_u32_e32 v135, v177, v178
	v_cndmask_b32_e64 v177, 0, 1, vcc_lo
	v_add_co_ci_u32_e32 v135, vcc_lo, 0, v135, vcc_lo
	s_delay_alu instid0(VALU_DEP_2)
	v_lshrrev_b32_e32 v176, v177, v176
; %bb.2213:                             ;   in Loop: Header=BB2_2000 Depth=4
	s_and_not1_saveexec_b32 s14, s14
; %bb.2214:                             ;   in Loop: Header=BB2_2000 Depth=4
	s_delay_alu instid0(VALU_DEP_1)
	v_bfe_u32 v135, v176, 23, 1
; %bb.2215:                             ;   in Loop: Header=BB2_2000 Depth=4
	s_or_b32 exec_lo, exec_lo, s14
	v_lshrrev_b32_e32 v176, 21, v176
	s_delay_alu instid0(VALU_DEP_2) | instskip(SKIP_2) | instid1(VALU_DEP_2)
	v_cmp_gt_i32_e32 vcc_lo, 32, v135
	v_lshrrev_b32_e32 v167, 24, v167
	v_min_i32_e32 v177, 31, v135
	v_dual_cndmask_b32 v176, 3, v176 :: v_dual_and_b32 v167, 0x80, v167
	s_delay_alu instid0(VALU_DEP_2) | instskip(NEXT) | instid1(VALU_DEP_2)
	v_lshlrev_b32_e32 v177, 2, v177
	v_or_b32_e32 v135, v135, v176
	s_delay_alu instid0(VALU_DEP_1) | instskip(SKIP_1) | instid1(VALU_DEP_1)
	v_cmp_ne_u32_e32 vcc_lo, 0, v135
	v_and_b32_e32 v178, 3, v176
	v_or3_b32 v167, v177, v167, v178
	s_delay_alu instid0(VALU_DEP_1)
	v_cndmask_b32_e32 v135, 0, v167, vcc_lo
.LBB2_2216:                             ;   in Loop: Header=BB2_2000 Depth=4
	s_or_b32 exec_lo, exec_lo, s37
.LBB2_2217:                             ;   in Loop: Header=BB2_2000 Depth=4
	s_delay_alu instid0(SALU_CYCLE_1) | instskip(SKIP_3) | instid1(VALU_DEP_1)
	s_or_b32 exec_lo, exec_lo, s36
	v_and_b32_e32 v176, 0xff, v147
	s_mov_b32 s14, 0
	s_mov_b32 s37, exec_lo
                                        ; implicit-def: $sgpr36
	v_cmpx_lt_i16_e64 0x7f, v176
	s_xor_b32 s37, exec_lo, s37
	s_cbranch_execnz .LBB2_2527
; %bb.2218:                             ;   in Loop: Header=BB2_2000 Depth=4
	s_or_saveexec_b32 s37, s37
	v_mov_b32_e32 v167, s36
	s_xor_b32 exec_lo, exec_lo, s37
	s_cbranch_execnz .LBB2_2530
.LBB2_2219:                             ;   in Loop: Header=BB2_2000 Depth=4
	s_or_b32 exec_lo, exec_lo, s37
	s_and_saveexec_b32 s36, s14
	s_cbranch_execz .LBB2_2221
.LBB2_2220:                             ;   in Loop: Header=BB2_2000 Depth=4
	v_bfe_u32 v178, v147, 2, 5
	s_delay_alu instid0(VALU_DEP_1) | instskip(SKIP_1) | instid1(VALU_DEP_1)
	v_cmp_eq_u32_e32 vcc_lo, 0, v178
	v_and_b32_e32 v167, 3, v147
	v_clz_i32_u32_e32 v176, v167
	s_delay_alu instid0(VALU_DEP_1) | instskip(NEXT) | instid1(VALU_DEP_1)
	v_min_u32_e32 v176, 32, v176
	v_subrev_nc_u32_e32 v177, 29, v176
	v_sub_nc_u32_e32 v176, 30, v176
	s_delay_alu instid0(VALU_DEP_1) | instskip(SKIP_1) | instid1(VALU_DEP_2)
	v_dual_cndmask_b32 v176, v178, v176 :: v_dual_lshlrev_b32 v177, v177, v147
	v_lshlrev_b32_e32 v147, 24, v147
	v_and_b32_e32 v177, 3, v177
	s_delay_alu instid0(VALU_DEP_3) | instskip(NEXT) | instid1(VALU_DEP_3)
	v_lshl_add_u32 v176, v176, 23, 0x37800000
	v_and_b32_e32 v147, 0x80000000, v147
	s_delay_alu instid0(VALU_DEP_3) | instskip(NEXT) | instid1(VALU_DEP_1)
	v_cndmask_b32_e32 v167, v167, v177, vcc_lo
	v_lshlrev_b32_e32 v167, 21, v167
	s_delay_alu instid0(VALU_DEP_1)
	v_or3_b32 v167, v147, v176, v167
.LBB2_2221:                             ;   in Loop: Header=BB2_2000 Depth=4
	s_or_b32 exec_lo, exec_lo, s36
	v_lshrrev_b16 v147, 8, v8
	s_mov_b32 s14, 0
	s_mov_b32 s37, exec_lo
                                        ; implicit-def: $sgpr36
	s_delay_alu instid0(VALU_DEP_1)
	v_cmpx_lt_i16_e64 0x7f, v147
	s_xor_b32 s37, exec_lo, s37
	s_cbranch_execnz .LBB2_2531
; %bb.2222:                             ;   in Loop: Header=BB2_2000 Depth=4
	s_or_saveexec_b32 s37, s37
	v_mov_b32_e32 v176, s36
	s_xor_b32 exec_lo, exec_lo, s37
	s_cbranch_execnz .LBB2_2534
.LBB2_2223:                             ;   in Loop: Header=BB2_2000 Depth=4
	s_or_b32 exec_lo, exec_lo, s37
	s_and_saveexec_b32 s36, s14
	s_cbranch_execz .LBB2_2225
.LBB2_2224:                             ;   in Loop: Header=BB2_2000 Depth=4
	v_and_b32_e32 v176, 0xffff, v147
	v_lshlrev_b32_e32 v147, 24, v147
	s_delay_alu instid0(VALU_DEP_2) | instskip(NEXT) | instid1(VALU_DEP_2)
	v_and_b32_e32 v177, 3, v176
	v_and_b32_e32 v147, 0x80000000, v147
	s_delay_alu instid0(VALU_DEP_2) | instskip(NEXT) | instid1(VALU_DEP_1)
	v_clz_i32_u32_e32 v178, v177
	v_min_u32_e32 v178, 32, v178
	s_delay_alu instid0(VALU_DEP_1) | instskip(SKIP_1) | instid1(VALU_DEP_2)
	v_subrev_nc_u32_e32 v179, 29, v178
	v_sub_nc_u32_e32 v178, 30, v178
	v_lshlrev_b32_e32 v179, v179, v176
	v_bfe_u32 v176, v176, 2, 5
	s_delay_alu instid0(VALU_DEP_2) | instskip(NEXT) | instid1(VALU_DEP_2)
	v_and_b32_e32 v179, 3, v179
	v_cmp_eq_u32_e32 vcc_lo, 0, v176
	s_delay_alu instid0(VALU_DEP_2) | instskip(NEXT) | instid1(VALU_DEP_1)
	v_dual_cndmask_b32 v176, v176, v178 :: v_dual_cndmask_b32 v177, v177, v179
	v_lshl_add_u32 v176, v176, 23, 0x37800000
	s_delay_alu instid0(VALU_DEP_2) | instskip(NEXT) | instid1(VALU_DEP_1)
	v_lshlrev_b32_e32 v177, 21, v177
	v_or3_b32 v176, v147, v176, v177
.LBB2_2225:                             ;   in Loop: Header=BB2_2000 Depth=4
	s_or_b32 exec_lo, exec_lo, s36
	s_delay_alu instid0(VALU_DEP_1) | instskip(NEXT) | instid1(VALU_DEP_1)
	v_add_f32_e32 v167, v167, v176
	v_and_b32_e32 v147, 0x7f800000, v167
	s_delay_alu instid0(VALU_DEP_1)
	v_cmp_ne_u32_e32 vcc_lo, 0x7f800000, v147
	v_mov_b32_e32 v147, 0x80
	s_and_saveexec_b32 s36, vcc_lo
	s_cbranch_execz .LBB2_2233
; %bb.2226:                             ;   in Loop: Header=BB2_2000 Depth=4
	v_mov_b32_e32 v147, 0
	s_mov_b32 s37, exec_lo
	v_cmpx_ne_u32_e32 0, v167
	s_cbranch_execz .LBB2_2232
; %bb.2227:                             ;   in Loop: Header=BB2_2000 Depth=4
	v_bfe_u32 v147, v167, 23, 8
	s_delay_alu instid0(VALU_DEP_1) | instskip(SKIP_1) | instid1(VALU_DEP_2)
	v_sub_nc_u32_e32 v177, 0x70, v147
	v_cmp_gt_u32_e32 vcc_lo, 0x71, v147
	v_dual_cndmask_b32 v177, 0, v177 :: v_dual_and_b32 v176, 0x7fffff, v167
	s_delay_alu instid0(VALU_DEP_1) | instskip(SKIP_2) | instid1(VALU_DEP_4)
	v_or_b32_e32 v178, 0x800000, v176
	v_cmp_eq_u32_e32 vcc_lo, 0, v147
	v_add_nc_u32_e32 v147, 0xffffff91, v147
	v_cndmask_b32_e64 v177, v177, 0x6f, vcc_lo
	s_delay_alu instid0(VALU_DEP_4) | instskip(NEXT) | instid1(VALU_DEP_3)
	v_cndmask_b32_e32 v176, v178, v176, vcc_lo
	v_cndmask_b32_e64 v147, v147, 0xffffff92, vcc_lo
	s_delay_alu instid0(VALU_DEP_3) | instskip(NEXT) | instid1(VALU_DEP_3)
	v_lshl_add_u32 v178, 0x200000, v177, -1
	v_lshrrev_b32_e32 v179, v177, v176
	v_lshlrev_b32_e64 v181, v177, 0x100000
	s_delay_alu instid0(VALU_DEP_4) | instskip(NEXT) | instid1(VALU_DEP_4)
	v_add_nc_u32_e32 v177, v177, v147
	v_and_b32_e32 v176, v178, v176
	s_delay_alu instid0(VALU_DEP_4) | instskip(NEXT) | instid1(VALU_DEP_2)
	v_bfe_u32 v180, v179, 21, 1
	v_cmp_eq_u32_e64 s14, v176, v181
	s_delay_alu instid0(VALU_DEP_2) | instskip(NEXT) | instid1(VALU_DEP_1)
	v_add_nc_u32_e32 v178, -1, v180
	v_cndmask_b32_e64 v176, 0, v178, s14
	v_lshrrev_b32_e32 v178, 23, v179
	s_mov_b32 s14, exec_lo
	s_delay_alu instid0(VALU_DEP_2) | instskip(NEXT) | instid1(VALU_DEP_2)
	v_add_nc_u32_e32 v176, v176, v179
	v_xor_b32_e32 v178, 1, v178
	s_delay_alu instid0(VALU_DEP_2) | instskip(NEXT) | instid1(VALU_DEP_1)
	v_and_b32_e32 v147, 0x1fffff, v176
	v_add_nc_u32_e32 v176, v147, v179
                                        ; implicit-def: $vgpr147
	s_delay_alu instid0(VALU_DEP_3)
	v_cmpx_ne_u32_e64 v177, v178
	s_xor_b32 s14, exec_lo, s14
; %bb.2228:                             ;   in Loop: Header=BB2_2000 Depth=4
	s_delay_alu instid0(VALU_DEP_2) | instskip(SKIP_2) | instid1(VALU_DEP_2)
	v_cmp_lt_u32_e32 vcc_lo, 0xffffff, v176
	v_sub_nc_u32_e32 v147, v177, v178
	v_cndmask_b32_e64 v177, 0, 1, vcc_lo
	v_add_co_ci_u32_e32 v147, vcc_lo, 0, v147, vcc_lo
	s_delay_alu instid0(VALU_DEP_2)
	v_lshrrev_b32_e32 v176, v177, v176
; %bb.2229:                             ;   in Loop: Header=BB2_2000 Depth=4
	s_and_not1_saveexec_b32 s14, s14
; %bb.2230:                             ;   in Loop: Header=BB2_2000 Depth=4
	s_delay_alu instid0(VALU_DEP_1)
	v_bfe_u32 v147, v176, 23, 1
; %bb.2231:                             ;   in Loop: Header=BB2_2000 Depth=4
	s_or_b32 exec_lo, exec_lo, s14
	v_lshrrev_b32_e32 v176, 21, v176
	s_delay_alu instid0(VALU_DEP_2) | instskip(SKIP_2) | instid1(VALU_DEP_2)
	v_cmp_gt_i32_e32 vcc_lo, 32, v147
	v_lshrrev_b32_e32 v167, 24, v167
	v_min_i32_e32 v177, 31, v147
	v_dual_cndmask_b32 v176, 3, v176 :: v_dual_and_b32 v167, 0x80, v167
	s_delay_alu instid0(VALU_DEP_2) | instskip(NEXT) | instid1(VALU_DEP_2)
	v_lshlrev_b32_e32 v177, 2, v177
	v_or_b32_e32 v147, v147, v176
	s_delay_alu instid0(VALU_DEP_1) | instskip(SKIP_1) | instid1(VALU_DEP_1)
	v_cmp_ne_u32_e32 vcc_lo, 0, v147
	v_and_b32_e32 v178, 3, v176
	v_or3_b32 v167, v177, v167, v178
	s_delay_alu instid0(VALU_DEP_1)
	v_cndmask_b32_e32 v147, 0, v167, vcc_lo
.LBB2_2232:                             ;   in Loop: Header=BB2_2000 Depth=4
	s_or_b32 exec_lo, exec_lo, s37
.LBB2_2233:                             ;   in Loop: Header=BB2_2000 Depth=4
	s_delay_alu instid0(SALU_CYCLE_1) | instskip(SKIP_3) | instid1(VALU_DEP_1)
	s_or_b32 exec_lo, exec_lo, s36
	v_and_b32_e32 v176, 0xff, v161
	s_mov_b32 s14, 0
	s_mov_b32 s37, exec_lo
                                        ; implicit-def: $sgpr36
	v_cmpx_lt_i16_e64 0x7f, v176
	s_xor_b32 s37, exec_lo, s37
	s_cbranch_execnz .LBB2_2535
; %bb.2234:                             ;   in Loop: Header=BB2_2000 Depth=4
	s_or_saveexec_b32 s37, s37
	v_mov_b32_e32 v167, s36
	s_xor_b32 exec_lo, exec_lo, s37
	s_cbranch_execnz .LBB2_2538
.LBB2_2235:                             ;   in Loop: Header=BB2_2000 Depth=4
	s_or_b32 exec_lo, exec_lo, s37
	s_and_saveexec_b32 s36, s14
	s_cbranch_execz .LBB2_2237
.LBB2_2236:                             ;   in Loop: Header=BB2_2000 Depth=4
	v_bfe_u32 v178, v161, 2, 5
	s_delay_alu instid0(VALU_DEP_1) | instskip(SKIP_1) | instid1(VALU_DEP_1)
	v_cmp_eq_u32_e32 vcc_lo, 0, v178
	v_and_b32_e32 v167, 3, v161
	v_clz_i32_u32_e32 v176, v167
	s_delay_alu instid0(VALU_DEP_1) | instskip(NEXT) | instid1(VALU_DEP_1)
	v_min_u32_e32 v176, 32, v176
	v_subrev_nc_u32_e32 v177, 29, v176
	v_sub_nc_u32_e32 v176, 30, v176
	s_delay_alu instid0(VALU_DEP_1) | instskip(SKIP_1) | instid1(VALU_DEP_2)
	v_dual_cndmask_b32 v176, v178, v176 :: v_dual_lshlrev_b32 v177, v177, v161
	v_lshlrev_b32_e32 v161, 24, v161
	v_and_b32_e32 v177, 3, v177
	s_delay_alu instid0(VALU_DEP_3) | instskip(NEXT) | instid1(VALU_DEP_3)
	v_lshl_add_u32 v176, v176, 23, 0x37800000
	v_and_b32_e32 v161, 0x80000000, v161
	s_delay_alu instid0(VALU_DEP_3) | instskip(NEXT) | instid1(VALU_DEP_1)
	v_cndmask_b32_e32 v167, v167, v177, vcc_lo
	v_lshlrev_b32_e32 v167, 21, v167
	s_delay_alu instid0(VALU_DEP_1)
	v_or3_b32 v167, v161, v176, v167
.LBB2_2237:                             ;   in Loop: Header=BB2_2000 Depth=4
	s_or_b32 exec_lo, exec_lo, s36
	v_lshrrev_b32_e32 v161, 16, v8
	s_mov_b32 s14, 0
	s_mov_b32 s37, exec_lo
                                        ; implicit-def: $sgpr36
	s_delay_alu instid0(VALU_DEP_1) | instskip(NEXT) | instid1(VALU_DEP_1)
	v_and_b32_e32 v177, 0xff, v161
	v_cmpx_lt_i16_e64 0x7f, v177
	s_xor_b32 s37, exec_lo, s37
	s_cbranch_execnz .LBB2_2539
; %bb.2238:                             ;   in Loop: Header=BB2_2000 Depth=4
	s_or_saveexec_b32 s37, s37
	v_mov_b32_e32 v176, s36
	s_xor_b32 exec_lo, exec_lo, s37
	s_cbranch_execnz .LBB2_2542
.LBB2_2239:                             ;   in Loop: Header=BB2_2000 Depth=4
	s_or_b32 exec_lo, exec_lo, s37
	s_and_saveexec_b32 s36, s14
	s_cbranch_execz .LBB2_2241
.LBB2_2240:                             ;   in Loop: Header=BB2_2000 Depth=4
	v_bfe_u32 v176, v8, 16, 2
	v_lshlrev_b32_e32 v179, 8, v8
	s_delay_alu instid0(VALU_DEP_2) | instskip(NEXT) | instid1(VALU_DEP_1)
	v_clz_i32_u32_e32 v177, v176
	v_min_u32_e32 v177, 32, v177
	s_delay_alu instid0(VALU_DEP_1) | instskip(SKIP_1) | instid1(VALU_DEP_2)
	v_subrev_nc_u32_e32 v178, 29, v177
	v_sub_nc_u32_e32 v177, 30, v177
	v_lshlrev_b32_e32 v161, v178, v161
	v_bfe_u32 v178, v8, 18, 5
	s_delay_alu instid0(VALU_DEP_2) | instskip(NEXT) | instid1(VALU_DEP_2)
	v_and_b32_e32 v161, 3, v161
	v_cmp_eq_u32_e32 vcc_lo, 0, v178
	v_cndmask_b32_e32 v177, v178, v177, vcc_lo
	s_delay_alu instid0(VALU_DEP_3) | instskip(NEXT) | instid1(VALU_DEP_2)
	v_dual_cndmask_b32 v161, v176, v161 :: v_dual_and_b32 v176, 0x80000000, v179
	v_lshl_add_u32 v177, v177, 23, 0x37800000
	s_delay_alu instid0(VALU_DEP_2) | instskip(NEXT) | instid1(VALU_DEP_1)
	v_lshlrev_b32_e32 v161, 21, v161
	v_or3_b32 v176, v176, v177, v161
.LBB2_2241:                             ;   in Loop: Header=BB2_2000 Depth=4
	s_or_b32 exec_lo, exec_lo, s36
	s_delay_alu instid0(VALU_DEP_1) | instskip(NEXT) | instid1(VALU_DEP_1)
	v_add_f32_e32 v167, v167, v176
	v_and_b32_e32 v161, 0x7f800000, v167
	s_delay_alu instid0(VALU_DEP_1)
	v_cmp_ne_u32_e32 vcc_lo, 0x7f800000, v161
	v_mov_b32_e32 v161, 0x80
	s_and_saveexec_b32 s36, vcc_lo
	s_cbranch_execz .LBB2_2249
; %bb.2242:                             ;   in Loop: Header=BB2_2000 Depth=4
	v_mov_b32_e32 v161, 0
	s_mov_b32 s37, exec_lo
	v_cmpx_ne_u32_e32 0, v167
	s_cbranch_execz .LBB2_2248
; %bb.2243:                             ;   in Loop: Header=BB2_2000 Depth=4
	v_bfe_u32 v161, v167, 23, 8
	s_delay_alu instid0(VALU_DEP_1) | instskip(SKIP_1) | instid1(VALU_DEP_2)
	v_sub_nc_u32_e32 v177, 0x70, v161
	v_cmp_gt_u32_e32 vcc_lo, 0x71, v161
	v_dual_cndmask_b32 v177, 0, v177 :: v_dual_and_b32 v176, 0x7fffff, v167
	s_delay_alu instid0(VALU_DEP_1) | instskip(SKIP_2) | instid1(VALU_DEP_4)
	v_or_b32_e32 v178, 0x800000, v176
	v_cmp_eq_u32_e32 vcc_lo, 0, v161
	v_add_nc_u32_e32 v161, 0xffffff91, v161
	v_cndmask_b32_e64 v177, v177, 0x6f, vcc_lo
	s_delay_alu instid0(VALU_DEP_4) | instskip(NEXT) | instid1(VALU_DEP_3)
	v_cndmask_b32_e32 v176, v178, v176, vcc_lo
	v_cndmask_b32_e64 v161, v161, 0xffffff92, vcc_lo
	s_delay_alu instid0(VALU_DEP_3) | instskip(NEXT) | instid1(VALU_DEP_3)
	v_lshl_add_u32 v178, 0x200000, v177, -1
	v_lshrrev_b32_e32 v179, v177, v176
	v_lshlrev_b32_e64 v181, v177, 0x100000
	s_delay_alu instid0(VALU_DEP_4) | instskip(NEXT) | instid1(VALU_DEP_4)
	v_add_nc_u32_e32 v177, v177, v161
	v_and_b32_e32 v176, v178, v176
	s_delay_alu instid0(VALU_DEP_4) | instskip(NEXT) | instid1(VALU_DEP_2)
	v_bfe_u32 v180, v179, 21, 1
	v_cmp_eq_u32_e64 s14, v176, v181
	s_delay_alu instid0(VALU_DEP_2) | instskip(NEXT) | instid1(VALU_DEP_1)
	v_add_nc_u32_e32 v178, -1, v180
	v_cndmask_b32_e64 v176, 0, v178, s14
	v_lshrrev_b32_e32 v178, 23, v179
	s_mov_b32 s14, exec_lo
	s_delay_alu instid0(VALU_DEP_2) | instskip(NEXT) | instid1(VALU_DEP_2)
	v_add_nc_u32_e32 v176, v176, v179
	v_xor_b32_e32 v178, 1, v178
	s_delay_alu instid0(VALU_DEP_2) | instskip(NEXT) | instid1(VALU_DEP_1)
	v_and_b32_e32 v161, 0x1fffff, v176
	v_add_nc_u32_e32 v176, v161, v179
                                        ; implicit-def: $vgpr161
	s_delay_alu instid0(VALU_DEP_3)
	v_cmpx_ne_u32_e64 v177, v178
	s_xor_b32 s14, exec_lo, s14
; %bb.2244:                             ;   in Loop: Header=BB2_2000 Depth=4
	s_delay_alu instid0(VALU_DEP_2) | instskip(SKIP_2) | instid1(VALU_DEP_2)
	v_cmp_lt_u32_e32 vcc_lo, 0xffffff, v176
	v_sub_nc_u32_e32 v161, v177, v178
	v_cndmask_b32_e64 v177, 0, 1, vcc_lo
	v_add_co_ci_u32_e32 v161, vcc_lo, 0, v161, vcc_lo
	s_delay_alu instid0(VALU_DEP_2)
	v_lshrrev_b32_e32 v176, v177, v176
; %bb.2245:                             ;   in Loop: Header=BB2_2000 Depth=4
	s_and_not1_saveexec_b32 s14, s14
; %bb.2246:                             ;   in Loop: Header=BB2_2000 Depth=4
	s_delay_alu instid0(VALU_DEP_1)
	v_bfe_u32 v161, v176, 23, 1
; %bb.2247:                             ;   in Loop: Header=BB2_2000 Depth=4
	s_or_b32 exec_lo, exec_lo, s14
	v_lshrrev_b32_e32 v176, 21, v176
	s_delay_alu instid0(VALU_DEP_2) | instskip(SKIP_2) | instid1(VALU_DEP_2)
	v_cmp_gt_i32_e32 vcc_lo, 32, v161
	v_lshrrev_b32_e32 v167, 24, v167
	v_min_i32_e32 v177, 31, v161
	v_dual_cndmask_b32 v176, 3, v176 :: v_dual_and_b32 v167, 0x80, v167
	s_delay_alu instid0(VALU_DEP_2) | instskip(NEXT) | instid1(VALU_DEP_2)
	v_lshlrev_b32_e32 v177, 2, v177
	v_or_b32_e32 v161, v161, v176
	s_delay_alu instid0(VALU_DEP_1) | instskip(SKIP_1) | instid1(VALU_DEP_1)
	v_cmp_ne_u32_e32 vcc_lo, 0, v161
	v_and_b32_e32 v178, 3, v176
	v_or3_b32 v167, v177, v167, v178
	s_delay_alu instid0(VALU_DEP_1)
	v_cndmask_b32_e32 v161, 0, v167, vcc_lo
.LBB2_2248:                             ;   in Loop: Header=BB2_2000 Depth=4
	s_or_b32 exec_lo, exec_lo, s37
.LBB2_2249:                             ;   in Loop: Header=BB2_2000 Depth=4
	s_delay_alu instid0(SALU_CYCLE_1) | instskip(SKIP_3) | instid1(VALU_DEP_1)
	s_or_b32 exec_lo, exec_lo, s36
	v_and_b32_e32 v176, 0xff, v164
	s_mov_b32 s14, 0
	s_mov_b32 s37, exec_lo
                                        ; implicit-def: $sgpr36
	v_cmpx_lt_i16_e64 0x7f, v176
	s_xor_b32 s37, exec_lo, s37
	s_cbranch_execnz .LBB2_2543
; %bb.2250:                             ;   in Loop: Header=BB2_2000 Depth=4
	s_or_saveexec_b32 s37, s37
	v_mov_b32_e32 v167, s36
	s_xor_b32 exec_lo, exec_lo, s37
	s_cbranch_execnz .LBB2_2546
.LBB2_2251:                             ;   in Loop: Header=BB2_2000 Depth=4
	s_or_b32 exec_lo, exec_lo, s37
	s_and_saveexec_b32 s36, s14
	s_cbranch_execz .LBB2_2253
.LBB2_2252:                             ;   in Loop: Header=BB2_2000 Depth=4
	v_lshlrev_b32_e32 v164, 8, v164
	s_delay_alu instid0(VALU_DEP_1) | instskip(SKIP_1) | instid1(VALU_DEP_2)
	v_and_b32_e32 v167, 0xff00, v164
	v_bfe_u32 v164, v164, 10, 5
	v_bfe_u32 v177, v167, 8, 2
	s_delay_alu instid0(VALU_DEP_2) | instskip(NEXT) | instid1(VALU_DEP_2)
	v_cmp_eq_u32_e32 vcc_lo, 0, v164
	v_clz_i32_u32_e32 v178, v177
	s_delay_alu instid0(VALU_DEP_1) | instskip(NEXT) | instid1(VALU_DEP_1)
	v_min_u32_e32 v178, 32, v178
	v_subrev_nc_u32_e32 v179, 29, v178
	v_sub_nc_u32_e32 v178, 30, v178
	s_delay_alu instid0(VALU_DEP_2) | instskip(NEXT) | instid1(VALU_DEP_2)
	v_lshlrev_b32_e32 v176, v179, v176
	v_cndmask_b32_e32 v164, v164, v178, vcc_lo
	s_delay_alu instid0(VALU_DEP_2) | instskip(SKIP_1) | instid1(VALU_DEP_3)
	v_and_b32_e32 v176, 3, v176
	v_lshlrev_b32_e32 v167, 16, v167
	v_lshl_add_u32 v164, v164, 23, 0x37800000
	s_delay_alu instid0(VALU_DEP_2) | instskip(NEXT) | instid1(VALU_DEP_1)
	v_dual_cndmask_b32 v176, v177, v176 :: v_dual_and_b32 v167, 0x80000000, v167
	v_lshlrev_b32_e32 v176, 21, v176
	s_delay_alu instid0(VALU_DEP_1)
	v_or3_b32 v167, v167, v164, v176
.LBB2_2253:                             ;   in Loop: Header=BB2_2000 Depth=4
	s_or_b32 exec_lo, exec_lo, s36
	v_lshrrev_b32_e32 v164, 24, v8
	s_mov_b32 s14, 0
	s_mov_b32 s37, exec_lo
                                        ; implicit-def: $sgpr36
	s_delay_alu instid0(VALU_DEP_1)
	v_cmpx_lt_i16_e64 0x7f, v164
	s_xor_b32 s37, exec_lo, s37
	s_cbranch_execnz .LBB2_2547
; %bb.2254:                             ;   in Loop: Header=BB2_2000 Depth=4
	s_or_saveexec_b32 s37, s37
	v_mov_b32_e32 v176, s36
	s_xor_b32 exec_lo, exec_lo, s37
	s_cbranch_execnz .LBB2_2550
.LBB2_2255:                             ;   in Loop: Header=BB2_2000 Depth=4
	s_or_b32 exec_lo, exec_lo, s37
	s_and_saveexec_b32 s36, s14
	s_cbranch_execz .LBB2_2257
.LBB2_2256:                             ;   in Loop: Header=BB2_2000 Depth=4
	v_bfe_u32 v176, v8, 24, 2
	s_delay_alu instid0(VALU_DEP_1) | instskip(NEXT) | instid1(VALU_DEP_1)
	v_clz_i32_u32_e32 v177, v176
	v_min_u32_e32 v177, 32, v177
	s_delay_alu instid0(VALU_DEP_1) | instskip(SKIP_1) | instid1(VALU_DEP_2)
	v_subrev_nc_u32_e32 v178, 29, v177
	v_sub_nc_u32_e32 v177, 30, v177
	v_lshlrev_b32_e32 v164, v178, v164
	v_bfe_u32 v178, v8, 26, 5
	v_and_b32_e32 v8, 0x80000000, v8
	s_delay_alu instid0(VALU_DEP_2) | instskip(NEXT) | instid1(VALU_DEP_4)
	v_cmp_eq_u32_e32 vcc_lo, 0, v178
	v_dual_cndmask_b32 v177, v178, v177 :: v_dual_and_b32 v164, 3, v164
	s_delay_alu instid0(VALU_DEP_1) | instskip(NEXT) | instid1(VALU_DEP_2)
	v_cndmask_b32_e32 v164, v176, v164, vcc_lo
	v_lshl_add_u32 v176, v177, 23, 0x37800000
	s_delay_alu instid0(VALU_DEP_2) | instskip(NEXT) | instid1(VALU_DEP_1)
	v_lshlrev_b32_e32 v164, 21, v164
	v_or3_b32 v176, v8, v176, v164
.LBB2_2257:                             ;   in Loop: Header=BB2_2000 Depth=4
	s_or_b32 exec_lo, exec_lo, s36
	s_delay_alu instid0(VALU_DEP_1) | instskip(NEXT) | instid1(VALU_DEP_1)
	v_add_f32_e32 v164, v167, v176
	v_and_b32_e32 v8, 0x7f800000, v164
	s_delay_alu instid0(VALU_DEP_1)
	v_cmp_ne_u32_e32 vcc_lo, 0x7f800000, v8
	v_mov_b32_e32 v8, 0x80
	s_and_saveexec_b32 s36, vcc_lo
	s_cbranch_execz .LBB2_2265
; %bb.2258:                             ;   in Loop: Header=BB2_2000 Depth=4
	v_mov_b32_e32 v8, 0
	s_mov_b32 s37, exec_lo
	v_cmpx_ne_u32_e32 0, v164
	s_cbranch_execz .LBB2_2264
; %bb.2259:                             ;   in Loop: Header=BB2_2000 Depth=4
	v_bfe_u32 v8, v164, 23, 8
	v_and_b32_e32 v167, 0x7fffff, v164
	s_delay_alu instid0(VALU_DEP_2) | instskip(SKIP_1) | instid1(VALU_DEP_3)
	v_sub_nc_u32_e32 v176, 0x70, v8
	v_cmp_gt_u32_e32 vcc_lo, 0x71, v8
	v_or_b32_e32 v177, 0x800000, v167
	s_delay_alu instid0(VALU_DEP_3) | instskip(SKIP_1) | instid1(VALU_DEP_3)
	v_cndmask_b32_e32 v176, 0, v176, vcc_lo
	v_cmp_eq_u32_e32 vcc_lo, 0, v8
	v_dual_cndmask_b32 v167, v177, v167 :: v_dual_add_nc_u32 v8, 0xffffff91, v8
	s_delay_alu instid0(VALU_DEP_3) | instskip(NEXT) | instid1(VALU_DEP_2)
	v_cndmask_b32_e64 v176, v176, 0x6f, vcc_lo
	v_cndmask_b32_e64 v8, v8, 0xffffff92, vcc_lo
	s_delay_alu instid0(VALU_DEP_2) | instskip(SKIP_2) | instid1(VALU_DEP_4)
	v_lshrrev_b32_e32 v178, v176, v167
	v_lshl_add_u32 v177, 0x200000, v176, -1
	v_lshlrev_b32_e64 v180, v176, 0x100000
	v_add_nc_u32_e32 v176, v176, v8
	s_delay_alu instid0(VALU_DEP_4) | instskip(NEXT) | instid1(VALU_DEP_4)
	v_bfe_u32 v179, v178, 21, 1
	v_and_b32_e32 v167, v177, v167
	s_delay_alu instid0(VALU_DEP_2) | instskip(NEXT) | instid1(VALU_DEP_2)
	v_add_nc_u32_e32 v177, -1, v179
	v_cmp_eq_u32_e64 s14, v167, v180
	s_delay_alu instid0(VALU_DEP_1) | instskip(SKIP_2) | instid1(VALU_DEP_2)
	v_cndmask_b32_e64 v167, 0, v177, s14
	v_lshrrev_b32_e32 v177, 23, v178
	s_mov_b32 s14, exec_lo
	v_add_nc_u32_e32 v167, v167, v178
	s_delay_alu instid0(VALU_DEP_2) | instskip(NEXT) | instid1(VALU_DEP_2)
	v_xor_b32_e32 v177, 1, v177
	v_and_b32_e32 v8, 0x1fffff, v167
	s_delay_alu instid0(VALU_DEP_1) | instskip(NEXT) | instid1(VALU_DEP_3)
	v_add_nc_u32_e32 v167, v8, v178
                                        ; implicit-def: $vgpr8
	v_cmpx_ne_u32_e64 v176, v177
	s_xor_b32 s14, exec_lo, s14
; %bb.2260:                             ;   in Loop: Header=BB2_2000 Depth=4
	s_delay_alu instid0(VALU_DEP_2) | instskip(SKIP_2) | instid1(VALU_DEP_2)
	v_cmp_lt_u32_e32 vcc_lo, 0xffffff, v167
	v_sub_nc_u32_e32 v8, v176, v177
	v_cndmask_b32_e64 v176, 0, 1, vcc_lo
	v_add_co_ci_u32_e32 v8, vcc_lo, 0, v8, vcc_lo
	s_delay_alu instid0(VALU_DEP_2)
	v_lshrrev_b32_e32 v167, v176, v167
; %bb.2261:                             ;   in Loop: Header=BB2_2000 Depth=4
	s_and_not1_saveexec_b32 s14, s14
; %bb.2262:                             ;   in Loop: Header=BB2_2000 Depth=4
	s_delay_alu instid0(VALU_DEP_1)
	v_bfe_u32 v8, v167, 23, 1
; %bb.2263:                             ;   in Loop: Header=BB2_2000 Depth=4
	s_or_b32 exec_lo, exec_lo, s14
	v_lshrrev_b32_e32 v167, 21, v167
	s_delay_alu instid0(VALU_DEP_2) | instskip(SKIP_2) | instid1(VALU_DEP_2)
	v_cmp_gt_i32_e32 vcc_lo, 32, v8
	v_lshrrev_b32_e32 v164, 24, v164
	v_min_i32_e32 v176, 31, v8
	v_dual_cndmask_b32 v167, 3, v167 :: v_dual_and_b32 v164, 0x80, v164
	s_delay_alu instid0(VALU_DEP_2) | instskip(NEXT) | instid1(VALU_DEP_2)
	v_lshlrev_b32_e32 v176, 2, v176
	v_or_b32_e32 v8, v8, v167
	s_delay_alu instid0(VALU_DEP_1) | instskip(SKIP_1) | instid1(VALU_DEP_1)
	v_cmp_ne_u32_e32 vcc_lo, 0, v8
	v_and_b32_e32 v177, 3, v167
	v_or3_b32 v164, v176, v164, v177
	s_delay_alu instid0(VALU_DEP_1)
	v_cndmask_b32_e32 v8, 0, v164, vcc_lo
.LBB2_2264:                             ;   in Loop: Header=BB2_2000 Depth=4
	s_or_b32 exec_lo, exec_lo, s37
.LBB2_2265:                             ;   in Loop: Header=BB2_2000 Depth=4
	s_delay_alu instid0(SALU_CYCLE_1) | instskip(SKIP_3) | instid1(VALU_DEP_1)
	s_or_b32 exec_lo, exec_lo, s36
	v_or_b32_e32 v166, v166, v163
	s_mov_b32 s14, 0
	s_mov_b32 s37, exec_lo
                                        ; implicit-def: $sgpr36
	v_and_b32_e32 v164, 0xff, v166
	s_delay_alu instid0(VALU_DEP_1)
	v_cmpx_lt_i16_e64 0x7f, v164
	s_xor_b32 s37, exec_lo, s37
	s_cbranch_execnz .LBB2_2551
; %bb.2266:                             ;   in Loop: Header=BB2_2000 Depth=4
	s_or_saveexec_b32 s37, s37
	v_mov_b32_e32 v163, s36
	s_xor_b32 exec_lo, exec_lo, s37
	s_cbranch_execnz .LBB2_2554
.LBB2_2267:                             ;   in Loop: Header=BB2_2000 Depth=4
	s_or_b32 exec_lo, exec_lo, s37
	s_and_saveexec_b32 s36, s14
	s_cbranch_execz .LBB2_2269
.LBB2_2268:                             ;   in Loop: Header=BB2_2000 Depth=4
	v_bfe_u32 v176, v166, 2, 5
	v_lshlrev_b32_e32 v177, 24, v166
	s_delay_alu instid0(VALU_DEP_2) | instskip(SKIP_1) | instid1(VALU_DEP_1)
	v_cmp_eq_u32_e32 vcc_lo, 0, v176
	v_and_b32_e32 v163, 3, v166
	v_clz_i32_u32_e32 v164, v163
	s_delay_alu instid0(VALU_DEP_1) | instskip(NEXT) | instid1(VALU_DEP_1)
	v_min_u32_e32 v164, 32, v164
	v_subrev_nc_u32_e32 v167, 29, v164
	v_sub_nc_u32_e32 v164, 30, v164
	s_delay_alu instid0(VALU_DEP_1) | instskip(NEXT) | instid1(VALU_DEP_1)
	v_dual_cndmask_b32 v164, v176, v164 :: v_dual_lshlrev_b32 v167, v167, v166
	v_and_b32_e32 v167, 3, v167
	s_delay_alu instid0(VALU_DEP_2) | instskip(NEXT) | instid1(VALU_DEP_2)
	v_lshl_add_u32 v164, v164, 23, 0x37800000
	v_cndmask_b32_e32 v163, v163, v167, vcc_lo
	v_and_b32_e32 v167, 0x80000000, v177
	s_delay_alu instid0(VALU_DEP_2) | instskip(NEXT) | instid1(VALU_DEP_1)
	v_lshlrev_b32_e32 v163, 21, v163
	v_or3_b32 v163, v167, v164, v163
.LBB2_2269:                             ;   in Loop: Header=BB2_2000 Depth=4
	s_or_b32 exec_lo, exec_lo, s36
	v_and_b32_e32 v167, 0xff, v9
	s_mov_b32 s14, 0
	s_mov_b32 s37, exec_lo
                                        ; implicit-def: $sgpr36
	s_delay_alu instid0(VALU_DEP_1)
	v_cmpx_lt_i16_e64 0x7f, v167
	s_xor_b32 s37, exec_lo, s37
	s_cbranch_execnz .LBB2_2555
; %bb.2270:                             ;   in Loop: Header=BB2_2000 Depth=4
	s_or_saveexec_b32 s37, s37
	v_mov_b32_e32 v164, s36
	s_xor_b32 exec_lo, exec_lo, s37
	s_cbranch_execnz .LBB2_2558
.LBB2_2271:                             ;   in Loop: Header=BB2_2000 Depth=4
	s_or_b32 exec_lo, exec_lo, s37
	s_and_saveexec_b32 s36, s14
	s_cbranch_execz .LBB2_2273
.LBB2_2272:                             ;   in Loop: Header=BB2_2000 Depth=4
	v_bfe_u32 v177, v9, 2, 5
	v_lshlrev_b32_e32 v178, 24, v9
	s_delay_alu instid0(VALU_DEP_2) | instskip(SKIP_1) | instid1(VALU_DEP_1)
	v_cmp_eq_u32_e32 vcc_lo, 0, v177
	v_and_b32_e32 v164, 3, v9
	v_clz_i32_u32_e32 v167, v164
	s_delay_alu instid0(VALU_DEP_1) | instskip(NEXT) | instid1(VALU_DEP_1)
	v_min_u32_e32 v167, 32, v167
	v_subrev_nc_u32_e32 v176, 29, v167
	v_sub_nc_u32_e32 v167, 30, v167
	s_delay_alu instid0(VALU_DEP_1) | instskip(NEXT) | instid1(VALU_DEP_1)
	v_dual_cndmask_b32 v167, v177, v167 :: v_dual_lshlrev_b32 v176, v176, v9
	v_and_b32_e32 v176, 3, v176
	s_delay_alu instid0(VALU_DEP_2) | instskip(NEXT) | instid1(VALU_DEP_2)
	v_lshl_add_u32 v167, v167, 23, 0x37800000
	v_cndmask_b32_e32 v164, v164, v176, vcc_lo
	v_and_b32_e32 v176, 0x80000000, v178
	s_delay_alu instid0(VALU_DEP_2) | instskip(NEXT) | instid1(VALU_DEP_1)
	v_lshlrev_b32_e32 v164, 21, v164
	v_or3_b32 v164, v176, v167, v164
.LBB2_2273:                             ;   in Loop: Header=BB2_2000 Depth=4
	s_or_b32 exec_lo, exec_lo, s36
	s_delay_alu instid0(VALU_DEP_1) | instskip(NEXT) | instid1(VALU_DEP_1)
	v_add_f32_e32 v164, v163, v164
	v_and_b32_e32 v163, 0x7f800000, v164
	s_delay_alu instid0(VALU_DEP_1)
	v_cmp_ne_u32_e32 vcc_lo, 0x7f800000, v163
	v_mov_b32_e32 v163, 0x80
	s_and_saveexec_b32 s36, vcc_lo
	s_cbranch_execz .LBB2_2281
; %bb.2274:                             ;   in Loop: Header=BB2_2000 Depth=4
	v_mov_b32_e32 v163, 0
	s_mov_b32 s37, exec_lo
	v_cmpx_ne_u32_e32 0, v164
	s_cbranch_execz .LBB2_2280
; %bb.2275:                             ;   in Loop: Header=BB2_2000 Depth=4
	v_bfe_u32 v163, v164, 23, 8
	v_and_b32_e32 v167, 0x7fffff, v164
	s_delay_alu instid0(VALU_DEP_2) | instskip(SKIP_1) | instid1(VALU_DEP_3)
	v_sub_nc_u32_e32 v176, 0x70, v163
	v_cmp_gt_u32_e32 vcc_lo, 0x71, v163
	v_or_b32_e32 v177, 0x800000, v167
	s_delay_alu instid0(VALU_DEP_3) | instskip(SKIP_2) | instid1(VALU_DEP_4)
	v_cndmask_b32_e32 v176, 0, v176, vcc_lo
	v_cmp_eq_u32_e32 vcc_lo, 0, v163
	v_add_nc_u32_e32 v163, 0xffffff91, v163
	v_cndmask_b32_e32 v167, v177, v167, vcc_lo
	s_delay_alu instid0(VALU_DEP_4) | instskip(NEXT) | instid1(VALU_DEP_3)
	v_cndmask_b32_e64 v176, v176, 0x6f, vcc_lo
	v_cndmask_b32_e64 v163, v163, 0xffffff92, vcc_lo
	s_delay_alu instid0(VALU_DEP_2) | instskip(SKIP_2) | instid1(VALU_DEP_4)
	v_lshrrev_b32_e32 v178, v176, v167
	v_lshl_add_u32 v177, 0x200000, v176, -1
	v_lshlrev_b32_e64 v180, v176, 0x100000
	v_add_nc_u32_e32 v176, v176, v163
	s_delay_alu instid0(VALU_DEP_4) | instskip(NEXT) | instid1(VALU_DEP_4)
	v_bfe_u32 v179, v178, 21, 1
	v_and_b32_e32 v167, v177, v167
	s_delay_alu instid0(VALU_DEP_2) | instskip(NEXT) | instid1(VALU_DEP_2)
	v_add_nc_u32_e32 v177, -1, v179
	v_cmp_eq_u32_e64 s14, v167, v180
	s_delay_alu instid0(VALU_DEP_1) | instskip(SKIP_2) | instid1(VALU_DEP_2)
	v_cndmask_b32_e64 v167, 0, v177, s14
	v_lshrrev_b32_e32 v177, 23, v178
	s_mov_b32 s14, exec_lo
	v_add_nc_u32_e32 v167, v167, v178
	s_delay_alu instid0(VALU_DEP_2) | instskip(NEXT) | instid1(VALU_DEP_2)
	v_xor_b32_e32 v177, 1, v177
	v_and_b32_e32 v163, 0x1fffff, v167
	s_delay_alu instid0(VALU_DEP_1) | instskip(NEXT) | instid1(VALU_DEP_3)
	v_add_nc_u32_e32 v167, v163, v178
                                        ; implicit-def: $vgpr163
	v_cmpx_ne_u32_e64 v176, v177
	s_xor_b32 s14, exec_lo, s14
; %bb.2276:                             ;   in Loop: Header=BB2_2000 Depth=4
	s_delay_alu instid0(VALU_DEP_2) | instskip(SKIP_2) | instid1(VALU_DEP_2)
	v_cmp_lt_u32_e32 vcc_lo, 0xffffff, v167
	v_sub_nc_u32_e32 v163, v176, v177
	v_cndmask_b32_e64 v176, 0, 1, vcc_lo
	v_add_co_ci_u32_e32 v163, vcc_lo, 0, v163, vcc_lo
	s_delay_alu instid0(VALU_DEP_2)
	v_lshrrev_b32_e32 v167, v176, v167
; %bb.2277:                             ;   in Loop: Header=BB2_2000 Depth=4
	s_and_not1_saveexec_b32 s14, s14
; %bb.2278:                             ;   in Loop: Header=BB2_2000 Depth=4
	s_delay_alu instid0(VALU_DEP_1)
	v_bfe_u32 v163, v167, 23, 1
; %bb.2279:                             ;   in Loop: Header=BB2_2000 Depth=4
	s_or_b32 exec_lo, exec_lo, s14
	v_lshrrev_b32_e32 v167, 21, v167
	s_delay_alu instid0(VALU_DEP_2) | instskip(SKIP_2) | instid1(VALU_DEP_2)
	v_cmp_gt_i32_e32 vcc_lo, 32, v163
	v_lshrrev_b32_e32 v164, 24, v164
	v_min_i32_e32 v176, 31, v163
	v_dual_cndmask_b32 v167, 3, v167 :: v_dual_and_b32 v164, 0x80, v164
	s_delay_alu instid0(VALU_DEP_2) | instskip(NEXT) | instid1(VALU_DEP_2)
	v_lshlrev_b32_e32 v176, 2, v176
	v_and_b32_e32 v177, 3, v167
	v_or_b32_e32 v163, v163, v167
	s_delay_alu instid0(VALU_DEP_2) | instskip(NEXT) | instid1(VALU_DEP_2)
	v_or3_b32 v164, v176, v164, v177
	v_cmp_ne_u32_e32 vcc_lo, 0, v163
	s_delay_alu instid0(VALU_DEP_2)
	v_cndmask_b32_e32 v163, 0, v164, vcc_lo
.LBB2_2280:                             ;   in Loop: Header=BB2_2000 Depth=4
	s_or_b32 exec_lo, exec_lo, s37
.LBB2_2281:                             ;   in Loop: Header=BB2_2000 Depth=4
	s_delay_alu instid0(SALU_CYCLE_1) | instskip(SKIP_3) | instid1(VALU_DEP_1)
	s_or_b32 exec_lo, exec_lo, s36
	v_lshrrev_b16 v167, 8, v166
	s_mov_b32 s14, 0
	s_mov_b32 s37, exec_lo
                                        ; implicit-def: $sgpr36
	v_cmpx_lt_i16_e64 0x7f, v167
	s_xor_b32 s37, exec_lo, s37
	s_cbranch_execnz .LBB2_2559
; %bb.2282:                             ;   in Loop: Header=BB2_2000 Depth=4
	s_or_saveexec_b32 s37, s37
	v_mov_b32_e32 v164, s36
	s_xor_b32 exec_lo, exec_lo, s37
	s_cbranch_execnz .LBB2_2562
.LBB2_2283:                             ;   in Loop: Header=BB2_2000 Depth=4
	s_or_b32 exec_lo, exec_lo, s37
	s_and_saveexec_b32 s36, s14
	s_cbranch_execz .LBB2_2285
.LBB2_2284:                             ;   in Loop: Header=BB2_2000 Depth=4
	v_and_b32_e32 v164, 0xffff, v167
	s_delay_alu instid0(VALU_DEP_1) | instskip(NEXT) | instid1(VALU_DEP_1)
	v_and_b32_e32 v176, 3, v164
	v_clz_i32_u32_e32 v177, v176
	s_delay_alu instid0(VALU_DEP_1) | instskip(NEXT) | instid1(VALU_DEP_1)
	v_min_u32_e32 v177, 32, v177
	v_subrev_nc_u32_e32 v178, 29, v177
	v_sub_nc_u32_e32 v177, 30, v177
	s_delay_alu instid0(VALU_DEP_2) | instskip(SKIP_1) | instid1(VALU_DEP_2)
	v_lshlrev_b32_e32 v178, v178, v164
	v_bfe_u32 v164, v164, 2, 5
	v_and_b32_e32 v178, 3, v178
	s_delay_alu instid0(VALU_DEP_2) | instskip(SKIP_1) | instid1(VALU_DEP_1)
	v_cmp_eq_u32_e32 vcc_lo, 0, v164
	v_dual_cndmask_b32 v164, v164, v177 :: v_dual_lshlrev_b32 v167, 24, v167
	v_dual_cndmask_b32 v176, v176, v178 :: v_dual_and_b32 v167, 0x80000000, v167
	s_delay_alu instid0(VALU_DEP_2) | instskip(NEXT) | instid1(VALU_DEP_2)
	v_lshl_add_u32 v164, v164, 23, 0x37800000
	v_lshlrev_b32_e32 v176, 21, v176
	s_delay_alu instid0(VALU_DEP_1)
	v_or3_b32 v164, v167, v164, v176
.LBB2_2285:                             ;   in Loop: Header=BB2_2000 Depth=4
	s_or_b32 exec_lo, exec_lo, s36
	v_lshrrev_b16 v167, 8, v9
	s_mov_b32 s14, 0
	s_mov_b32 s37, exec_lo
                                        ; implicit-def: $sgpr36
	s_delay_alu instid0(VALU_DEP_1)
	v_cmpx_lt_i16_e64 0x7f, v167
	s_xor_b32 s37, exec_lo, s37
	s_cbranch_execnz .LBB2_2563
; %bb.2286:                             ;   in Loop: Header=BB2_2000 Depth=4
	s_or_saveexec_b32 s37, s37
	v_mov_b32_e32 v176, s36
	s_xor_b32 exec_lo, exec_lo, s37
	s_cbranch_execnz .LBB2_2566
.LBB2_2287:                             ;   in Loop: Header=BB2_2000 Depth=4
	s_or_b32 exec_lo, exec_lo, s37
	s_and_saveexec_b32 s36, s14
	s_cbranch_execz .LBB2_2289
.LBB2_2288:                             ;   in Loop: Header=BB2_2000 Depth=4
	v_and_b32_e32 v176, 0xffff, v167
	v_lshlrev_b32_e32 v167, 24, v167
	s_delay_alu instid0(VALU_DEP_2) | instskip(NEXT) | instid1(VALU_DEP_2)
	v_and_b32_e32 v177, 3, v176
	v_and_b32_e32 v167, 0x80000000, v167
	s_delay_alu instid0(VALU_DEP_2) | instskip(NEXT) | instid1(VALU_DEP_1)
	v_clz_i32_u32_e32 v178, v177
	v_min_u32_e32 v178, 32, v178
	s_delay_alu instid0(VALU_DEP_1) | instskip(SKIP_1) | instid1(VALU_DEP_2)
	v_subrev_nc_u32_e32 v179, 29, v178
	v_sub_nc_u32_e32 v178, 30, v178
	v_lshlrev_b32_e32 v179, v179, v176
	v_bfe_u32 v176, v176, 2, 5
	s_delay_alu instid0(VALU_DEP_2) | instskip(NEXT) | instid1(VALU_DEP_2)
	v_and_b32_e32 v179, 3, v179
	v_cmp_eq_u32_e32 vcc_lo, 0, v176
	s_delay_alu instid0(VALU_DEP_2) | instskip(NEXT) | instid1(VALU_DEP_1)
	v_dual_cndmask_b32 v176, v176, v178 :: v_dual_cndmask_b32 v177, v177, v179
	v_lshl_add_u32 v176, v176, 23, 0x37800000
	s_delay_alu instid0(VALU_DEP_2) | instskip(NEXT) | instid1(VALU_DEP_1)
	v_lshlrev_b32_e32 v177, 21, v177
	v_or3_b32 v176, v167, v176, v177
.LBB2_2289:                             ;   in Loop: Header=BB2_2000 Depth=4
	s_or_b32 exec_lo, exec_lo, s36
	s_delay_alu instid0(VALU_DEP_1) | instskip(NEXT) | instid1(VALU_DEP_1)
	v_add_f32_e32 v167, v164, v176
	v_and_b32_e32 v164, 0x7f800000, v167
	s_delay_alu instid0(VALU_DEP_1)
	v_cmp_ne_u32_e32 vcc_lo, 0x7f800000, v164
	v_mov_b32_e32 v164, 0x8000
	s_and_saveexec_b32 s36, vcc_lo
	s_cbranch_execz .LBB2_2297
; %bb.2290:                             ;   in Loop: Header=BB2_2000 Depth=4
	v_mov_b32_e32 v164, 0
	s_mov_b32 s37, exec_lo
	v_cmpx_ne_u32_e32 0, v167
	s_cbranch_execz .LBB2_2296
; %bb.2291:                             ;   in Loop: Header=BB2_2000 Depth=4
	v_bfe_u32 v164, v167, 23, 8
	s_delay_alu instid0(VALU_DEP_1) | instskip(SKIP_1) | instid1(VALU_DEP_2)
	v_sub_nc_u32_e32 v177, 0x70, v164
	v_cmp_gt_u32_e32 vcc_lo, 0x71, v164
	v_dual_cndmask_b32 v177, 0, v177 :: v_dual_and_b32 v176, 0x7fffff, v167
	s_delay_alu instid0(VALU_DEP_1) | instskip(SKIP_2) | instid1(VALU_DEP_4)
	v_or_b32_e32 v178, 0x800000, v176
	v_cmp_eq_u32_e32 vcc_lo, 0, v164
	v_add_nc_u32_e32 v164, 0xffffff91, v164
	v_cndmask_b32_e64 v177, v177, 0x6f, vcc_lo
	s_delay_alu instid0(VALU_DEP_4) | instskip(NEXT) | instid1(VALU_DEP_3)
	v_cndmask_b32_e32 v176, v178, v176, vcc_lo
	v_cndmask_b32_e64 v164, v164, 0xffffff92, vcc_lo
	s_delay_alu instid0(VALU_DEP_3) | instskip(NEXT) | instid1(VALU_DEP_3)
	v_lshl_add_u32 v178, 0x200000, v177, -1
	v_lshrrev_b32_e32 v179, v177, v176
	v_lshlrev_b32_e64 v181, v177, 0x100000
	s_delay_alu instid0(VALU_DEP_4) | instskip(NEXT) | instid1(VALU_DEP_4)
	v_add_nc_u32_e32 v177, v177, v164
	v_and_b32_e32 v176, v178, v176
	s_delay_alu instid0(VALU_DEP_4) | instskip(NEXT) | instid1(VALU_DEP_2)
	v_bfe_u32 v180, v179, 21, 1
	v_cmp_eq_u32_e64 s14, v176, v181
	s_delay_alu instid0(VALU_DEP_2) | instskip(NEXT) | instid1(VALU_DEP_1)
	v_add_nc_u32_e32 v178, -1, v180
	v_cndmask_b32_e64 v176, 0, v178, s14
	v_lshrrev_b32_e32 v178, 23, v179
	s_mov_b32 s14, exec_lo
	s_delay_alu instid0(VALU_DEP_2) | instskip(NEXT) | instid1(VALU_DEP_2)
	v_add_nc_u32_e32 v176, v176, v179
	v_xor_b32_e32 v178, 1, v178
	s_delay_alu instid0(VALU_DEP_2) | instskip(NEXT) | instid1(VALU_DEP_1)
	v_and_b32_e32 v164, 0x1fffff, v176
	v_add_nc_u32_e32 v176, v164, v179
                                        ; implicit-def: $vgpr164
	s_delay_alu instid0(VALU_DEP_3)
	v_cmpx_ne_u32_e64 v177, v178
	s_xor_b32 s14, exec_lo, s14
; %bb.2292:                             ;   in Loop: Header=BB2_2000 Depth=4
	s_delay_alu instid0(VALU_DEP_2) | instskip(SKIP_2) | instid1(VALU_DEP_2)
	v_cmp_lt_u32_e32 vcc_lo, 0xffffff, v176
	v_sub_nc_u32_e32 v164, v177, v178
	v_cndmask_b32_e64 v177, 0, 1, vcc_lo
	v_add_co_ci_u32_e32 v164, vcc_lo, 0, v164, vcc_lo
	s_delay_alu instid0(VALU_DEP_2)
	v_lshrrev_b32_e32 v176, v177, v176
; %bb.2293:                             ;   in Loop: Header=BB2_2000 Depth=4
	s_and_not1_saveexec_b32 s14, s14
; %bb.2294:                             ;   in Loop: Header=BB2_2000 Depth=4
	s_delay_alu instid0(VALU_DEP_1)
	v_bfe_u32 v164, v176, 23, 1
; %bb.2295:                             ;   in Loop: Header=BB2_2000 Depth=4
	s_or_b32 exec_lo, exec_lo, s14
	v_lshrrev_b32_e32 v176, 21, v176
	s_delay_alu instid0(VALU_DEP_2) | instskip(SKIP_2) | instid1(VALU_DEP_2)
	v_cmp_gt_i32_e32 vcc_lo, 32, v164
	v_min_i32_e32 v177, 31, v164
	v_lshrrev_b32_e32 v167, 24, v167
	v_dual_cndmask_b32 v176, 3, v176 :: v_dual_lshlrev_b32 v177, 2, v177
	s_delay_alu instid0(VALU_DEP_2) | instskip(NEXT) | instid1(VALU_DEP_2)
	v_and_b32_e32 v167, 0x80, v167
	v_or_b32_e32 v164, v164, v176
	v_and_b32_e32 v178, 3, v176
	s_delay_alu instid0(VALU_DEP_2) | instskip(SKIP_1) | instid1(VALU_DEP_1)
	v_cmp_ne_u32_e32 vcc_lo, 0, v164
	v_and_b32_e32 v177, 0xfc, v177
	v_or3_b32 v167, v167, v177, v178
	s_delay_alu instid0(VALU_DEP_1) | instskip(NEXT) | instid1(VALU_DEP_1)
	v_lshlrev_b32_e32 v167, 8, v167
	v_cndmask_b32_e32 v164, 0, v167, vcc_lo
.LBB2_2296:                             ;   in Loop: Header=BB2_2000 Depth=4
	s_or_b32 exec_lo, exec_lo, s37
.LBB2_2297:                             ;   in Loop: Header=BB2_2000 Depth=4
	s_delay_alu instid0(SALU_CYCLE_1) | instskip(SKIP_3) | instid1(VALU_DEP_1)
	s_or_b32 exec_lo, exec_lo, s36
	v_or_b32_e32 v165, v165, v162
	s_mov_b32 s14, 0
	s_mov_b32 s37, exec_lo
                                        ; implicit-def: $sgpr36
	v_and_b32_e32 v167, 0xff, v165
	s_delay_alu instid0(VALU_DEP_1)
	v_cmpx_lt_i16_e64 0x7f, v167
	s_xor_b32 s37, exec_lo, s37
	s_cbranch_execnz .LBB2_2567
; %bb.2298:                             ;   in Loop: Header=BB2_2000 Depth=4
	s_or_saveexec_b32 s37, s37
	v_mov_b32_e32 v162, s36
	s_xor_b32 exec_lo, exec_lo, s37
	s_cbranch_execnz .LBB2_2570
.LBB2_2299:                             ;   in Loop: Header=BB2_2000 Depth=4
	s_or_b32 exec_lo, exec_lo, s37
	v_lshl_or_b32 v165, v165, 16, v166
	s_and_saveexec_b32 s36, s14
	s_cbranch_execz .LBB2_2301
.LBB2_2300:                             ;   in Loop: Header=BB2_2000 Depth=4
	s_delay_alu instid0(VALU_DEP_1) | instskip(SKIP_1) | instid1(VALU_DEP_2)
	v_bfe_u32 v162, v165, 16, 2
	v_lshrrev_b32_e32 v167, 16, v165
	v_clz_i32_u32_e32 v166, v162
	s_delay_alu instid0(VALU_DEP_1) | instskip(NEXT) | instid1(VALU_DEP_1)
	v_min_u32_e32 v166, 32, v166
	v_subrev_nc_u32_e32 v176, 29, v166
	v_sub_nc_u32_e32 v166, 30, v166
	s_delay_alu instid0(VALU_DEP_2) | instskip(SKIP_1) | instid1(VALU_DEP_1)
	v_lshlrev_b32_e32 v167, v176, v167
	v_bfe_u32 v176, v165, 18, 5
	v_cmp_eq_u32_e32 vcc_lo, 0, v176
	s_delay_alu instid0(VALU_DEP_3) | instskip(NEXT) | instid1(VALU_DEP_1)
	v_dual_cndmask_b32 v166, v176, v166 :: v_dual_and_b32 v167, 3, v167
	v_dual_cndmask_b32 v162, v162, v167 :: v_dual_lshlrev_b32 v177, 8, v165
	s_delay_alu instid0(VALU_DEP_2) | instskip(NEXT) | instid1(VALU_DEP_2)
	v_lshl_add_u32 v166, v166, 23, 0x37800000
	v_and_b32_e32 v167, 0x80000000, v177
	s_delay_alu instid0(VALU_DEP_3) | instskip(NEXT) | instid1(VALU_DEP_1)
	v_lshlrev_b32_e32 v162, 21, v162
	v_or3_b32 v162, v167, v166, v162
.LBB2_2301:                             ;   in Loop: Header=BB2_2000 Depth=4
	s_or_b32 exec_lo, exec_lo, s36
	v_lshrrev_b32_e32 v166, 16, v9
	s_mov_b32 s14, 0
	s_mov_b32 s37, exec_lo
                                        ; implicit-def: $sgpr36
	s_delay_alu instid0(VALU_DEP_1) | instskip(NEXT) | instid1(VALU_DEP_1)
	v_and_b32_e32 v176, 0xff, v166
	v_cmpx_lt_i16_e64 0x7f, v176
	s_xor_b32 s37, exec_lo, s37
	s_cbranch_execnz .LBB2_2571
; %bb.2302:                             ;   in Loop: Header=BB2_2000 Depth=4
	s_or_saveexec_b32 s37, s37
	v_mov_b32_e32 v167, s36
	s_xor_b32 exec_lo, exec_lo, s37
	s_cbranch_execnz .LBB2_2574
.LBB2_2303:                             ;   in Loop: Header=BB2_2000 Depth=4
	s_or_b32 exec_lo, exec_lo, s37
	s_and_saveexec_b32 s36, s14
	s_cbranch_execz .LBB2_2305
.LBB2_2304:                             ;   in Loop: Header=BB2_2000 Depth=4
	v_bfe_u32 v167, v9, 16, 2
	v_lshlrev_b32_e32 v178, 8, v9
	s_delay_alu instid0(VALU_DEP_2) | instskip(NEXT) | instid1(VALU_DEP_1)
	v_clz_i32_u32_e32 v176, v167
	v_min_u32_e32 v176, 32, v176
	s_delay_alu instid0(VALU_DEP_1) | instskip(SKIP_1) | instid1(VALU_DEP_2)
	v_subrev_nc_u32_e32 v177, 29, v176
	v_sub_nc_u32_e32 v176, 30, v176
	v_lshlrev_b32_e32 v166, v177, v166
	v_bfe_u32 v177, v9, 18, 5
	s_delay_alu instid0(VALU_DEP_2) | instskip(NEXT) | instid1(VALU_DEP_2)
	v_and_b32_e32 v166, 3, v166
	v_cmp_eq_u32_e32 vcc_lo, 0, v177
	v_cndmask_b32_e32 v176, v177, v176, vcc_lo
	s_delay_alu instid0(VALU_DEP_3) | instskip(SKIP_1) | instid1(VALU_DEP_3)
	v_cndmask_b32_e32 v166, v167, v166, vcc_lo
	v_and_b32_e32 v167, 0x80000000, v178
	v_lshl_add_u32 v176, v176, 23, 0x37800000
	s_delay_alu instid0(VALU_DEP_3) | instskip(NEXT) | instid1(VALU_DEP_1)
	v_lshlrev_b32_e32 v166, 21, v166
	v_or3_b32 v167, v167, v176, v166
.LBB2_2305:                             ;   in Loop: Header=BB2_2000 Depth=4
	s_or_b32 exec_lo, exec_lo, s36
	s_delay_alu instid0(VALU_DEP_1) | instskip(NEXT) | instid1(VALU_DEP_1)
	v_add_f32_e32 v166, v162, v167
	v_and_b32_e32 v162, 0x7f800000, v166
	s_delay_alu instid0(VALU_DEP_1)
	v_cmp_ne_u32_e32 vcc_lo, 0x7f800000, v162
	v_mov_b32_e32 v162, 0x80
	s_and_saveexec_b32 s36, vcc_lo
	s_cbranch_execz .LBB2_2313
; %bb.2306:                             ;   in Loop: Header=BB2_2000 Depth=4
	v_mov_b32_e32 v162, 0
	s_mov_b32 s37, exec_lo
	v_cmpx_ne_u32_e32 0, v166
	s_cbranch_execz .LBB2_2312
; %bb.2307:                             ;   in Loop: Header=BB2_2000 Depth=4
	v_bfe_u32 v162, v166, 23, 8
	s_delay_alu instid0(VALU_DEP_1) | instskip(SKIP_1) | instid1(VALU_DEP_2)
	v_sub_nc_u32_e32 v176, 0x70, v162
	v_cmp_gt_u32_e32 vcc_lo, 0x71, v162
	v_dual_cndmask_b32 v176, 0, v176 :: v_dual_and_b32 v167, 0x7fffff, v166
	s_delay_alu instid0(VALU_DEP_1) | instskip(SKIP_2) | instid1(VALU_DEP_4)
	v_or_b32_e32 v177, 0x800000, v167
	v_cmp_eq_u32_e32 vcc_lo, 0, v162
	v_add_nc_u32_e32 v162, 0xffffff91, v162
	v_cndmask_b32_e64 v176, v176, 0x6f, vcc_lo
	s_delay_alu instid0(VALU_DEP_4) | instskip(NEXT) | instid1(VALU_DEP_3)
	v_cndmask_b32_e32 v167, v177, v167, vcc_lo
	v_cndmask_b32_e64 v162, v162, 0xffffff92, vcc_lo
	s_delay_alu instid0(VALU_DEP_3) | instskip(NEXT) | instid1(VALU_DEP_3)
	v_lshl_add_u32 v177, 0x200000, v176, -1
	v_lshrrev_b32_e32 v178, v176, v167
	v_lshlrev_b32_e64 v180, v176, 0x100000
	s_delay_alu instid0(VALU_DEP_4) | instskip(NEXT) | instid1(VALU_DEP_4)
	v_add_nc_u32_e32 v176, v176, v162
	v_and_b32_e32 v167, v177, v167
	s_delay_alu instid0(VALU_DEP_4) | instskip(NEXT) | instid1(VALU_DEP_2)
	v_bfe_u32 v179, v178, 21, 1
	v_cmp_eq_u32_e64 s14, v167, v180
	s_delay_alu instid0(VALU_DEP_2) | instskip(NEXT) | instid1(VALU_DEP_1)
	v_add_nc_u32_e32 v177, -1, v179
	v_cndmask_b32_e64 v167, 0, v177, s14
	v_lshrrev_b32_e32 v177, 23, v178
	s_mov_b32 s14, exec_lo
	s_delay_alu instid0(VALU_DEP_2) | instskip(NEXT) | instid1(VALU_DEP_2)
	v_add_nc_u32_e32 v167, v167, v178
	v_xor_b32_e32 v177, 1, v177
	s_delay_alu instid0(VALU_DEP_2) | instskip(NEXT) | instid1(VALU_DEP_1)
	v_and_b32_e32 v162, 0x1fffff, v167
	v_add_nc_u32_e32 v167, v162, v178
                                        ; implicit-def: $vgpr162
	s_delay_alu instid0(VALU_DEP_3)
	v_cmpx_ne_u32_e64 v176, v177
	s_xor_b32 s14, exec_lo, s14
; %bb.2308:                             ;   in Loop: Header=BB2_2000 Depth=4
	s_delay_alu instid0(VALU_DEP_2) | instskip(SKIP_2) | instid1(VALU_DEP_2)
	v_cmp_lt_u32_e32 vcc_lo, 0xffffff, v167
	v_sub_nc_u32_e32 v162, v176, v177
	v_cndmask_b32_e64 v176, 0, 1, vcc_lo
	v_add_co_ci_u32_e32 v162, vcc_lo, 0, v162, vcc_lo
	s_delay_alu instid0(VALU_DEP_2)
	v_lshrrev_b32_e32 v167, v176, v167
; %bb.2309:                             ;   in Loop: Header=BB2_2000 Depth=4
	s_and_not1_saveexec_b32 s14, s14
; %bb.2310:                             ;   in Loop: Header=BB2_2000 Depth=4
	s_delay_alu instid0(VALU_DEP_1)
	v_bfe_u32 v162, v167, 23, 1
; %bb.2311:                             ;   in Loop: Header=BB2_2000 Depth=4
	s_or_b32 exec_lo, exec_lo, s14
	v_lshrrev_b32_e32 v167, 21, v167
	s_delay_alu instid0(VALU_DEP_2) | instskip(SKIP_2) | instid1(VALU_DEP_2)
	v_cmp_gt_i32_e32 vcc_lo, 32, v162
	v_min_i32_e32 v176, 31, v162
	v_lshrrev_b32_e32 v166, 24, v166
	v_dual_cndmask_b32 v167, 3, v167 :: v_dual_lshlrev_b32 v176, 2, v176
	s_delay_alu instid0(VALU_DEP_2) | instskip(NEXT) | instid1(VALU_DEP_2)
	v_and_b32_e32 v166, 0x80, v166
	v_or_b32_e32 v162, v162, v167
	s_delay_alu instid0(VALU_DEP_3) | instskip(NEXT) | instid1(VALU_DEP_2)
	v_and_b32_e32 v176, 0xfc, v176
	v_cmp_ne_u32_e32 vcc_lo, 0, v162
	v_and_b32_e32 v177, 3, v167
	s_delay_alu instid0(VALU_DEP_1) | instskip(NEXT) | instid1(VALU_DEP_1)
	v_or3_b32 v166, v176, v166, v177
	v_cndmask_b32_e32 v162, 0, v166, vcc_lo
.LBB2_2312:                             ;   in Loop: Header=BB2_2000 Depth=4
	s_or_b32 exec_lo, exec_lo, s37
.LBB2_2313:                             ;   in Loop: Header=BB2_2000 Depth=4
	s_delay_alu instid0(SALU_CYCLE_1) | instskip(SKIP_3) | instid1(VALU_DEP_1)
	s_or_b32 exec_lo, exec_lo, s36
	v_lshrrev_b32_e32 v167, 24, v165
	s_mov_b32 s14, 0
	s_mov_b32 s37, exec_lo
                                        ; implicit-def: $sgpr36
	v_cmpx_lt_i16_e64 0x7f, v167
	s_xor_b32 s37, exec_lo, s37
	s_cbranch_execnz .LBB2_2575
; %bb.2314:                             ;   in Loop: Header=BB2_2000 Depth=4
	s_or_saveexec_b32 s37, s37
	v_mov_b32_e32 v166, s36
	s_xor_b32 exec_lo, exec_lo, s37
	s_cbranch_execnz .LBB2_2578
.LBB2_2315:                             ;   in Loop: Header=BB2_2000 Depth=4
	s_or_b32 exec_lo, exec_lo, s37
	s_and_saveexec_b32 s36, s14
	s_cbranch_execz .LBB2_2317
.LBB2_2316:                             ;   in Loop: Header=BB2_2000 Depth=4
	v_bfe_u32 v166, v165, 24, 2
	s_delay_alu instid0(VALU_DEP_1) | instskip(NEXT) | instid1(VALU_DEP_1)
	v_clz_i32_u32_e32 v176, v166
	v_min_u32_e32 v176, 32, v176
	s_delay_alu instid0(VALU_DEP_1) | instskip(SKIP_1) | instid1(VALU_DEP_2)
	v_subrev_nc_u32_e32 v177, 29, v176
	v_sub_nc_u32_e32 v176, 30, v176
	v_lshlrev_b32_e32 v167, v177, v167
	v_bfe_u32 v177, v165, 26, 5
	v_and_b32_e32 v165, 0x80000000, v165
	s_delay_alu instid0(VALU_DEP_2) | instskip(NEXT) | instid1(VALU_DEP_4)
	v_cmp_eq_u32_e32 vcc_lo, 0, v177
	v_dual_cndmask_b32 v176, v177, v176 :: v_dual_and_b32 v167, 3, v167
	s_delay_alu instid0(VALU_DEP_1) | instskip(NEXT) | instid1(VALU_DEP_2)
	v_cndmask_b32_e32 v166, v166, v167, vcc_lo
	v_lshl_add_u32 v167, v176, 23, 0x37800000
	s_delay_alu instid0(VALU_DEP_2) | instskip(NEXT) | instid1(VALU_DEP_1)
	v_lshlrev_b32_e32 v166, 21, v166
	v_or3_b32 v166, v165, v167, v166
.LBB2_2317:                             ;   in Loop: Header=BB2_2000 Depth=4
	s_or_b32 exec_lo, exec_lo, s36
	v_lshrrev_b32_e32 v165, 24, v9
	s_mov_b32 s14, 0
	s_mov_b32 s37, exec_lo
                                        ; implicit-def: $sgpr36
	s_delay_alu instid0(VALU_DEP_1)
	v_cmpx_lt_i16_e64 0x7f, v165
	s_xor_b32 s37, exec_lo, s37
	s_cbranch_execnz .LBB2_2579
; %bb.2318:                             ;   in Loop: Header=BB2_2000 Depth=4
	s_or_saveexec_b32 s37, s37
	v_mov_b32_e32 v167, s36
	s_xor_b32 exec_lo, exec_lo, s37
	s_cbranch_execnz .LBB2_2582
.LBB2_2319:                             ;   in Loop: Header=BB2_2000 Depth=4
	s_or_b32 exec_lo, exec_lo, s37
	s_and_saveexec_b32 s36, s14
	s_cbranch_execz .LBB2_2321
.LBB2_2320:                             ;   in Loop: Header=BB2_2000 Depth=4
	v_bfe_u32 v167, v9, 24, 2
	s_delay_alu instid0(VALU_DEP_1) | instskip(NEXT) | instid1(VALU_DEP_1)
	v_clz_i32_u32_e32 v176, v167
	v_min_u32_e32 v176, 32, v176
	s_delay_alu instid0(VALU_DEP_1) | instskip(SKIP_1) | instid1(VALU_DEP_2)
	v_subrev_nc_u32_e32 v177, 29, v176
	v_sub_nc_u32_e32 v176, 30, v176
	v_lshlrev_b32_e32 v165, v177, v165
	v_bfe_u32 v177, v9, 26, 5
	v_and_b32_e32 v9, 0x80000000, v9
	s_delay_alu instid0(VALU_DEP_2) | instskip(NEXT) | instid1(VALU_DEP_4)
	v_cmp_eq_u32_e32 vcc_lo, 0, v177
	v_dual_cndmask_b32 v176, v177, v176 :: v_dual_and_b32 v165, 3, v165
	s_delay_alu instid0(VALU_DEP_1) | instskip(NEXT) | instid1(VALU_DEP_2)
	v_cndmask_b32_e32 v165, v167, v165, vcc_lo
	v_lshl_add_u32 v167, v176, 23, 0x37800000
	s_delay_alu instid0(VALU_DEP_2) | instskip(NEXT) | instid1(VALU_DEP_1)
	v_lshlrev_b32_e32 v165, 21, v165
	v_or3_b32 v167, v9, v167, v165
.LBB2_2321:                             ;   in Loop: Header=BB2_2000 Depth=4
	s_or_b32 exec_lo, exec_lo, s36
	s_delay_alu instid0(VALU_DEP_1) | instskip(NEXT) | instid1(VALU_DEP_1)
	v_add_f32_e32 v165, v166, v167
	v_and_b32_e32 v9, 0x7f800000, v165
	s_delay_alu instid0(VALU_DEP_1)
	v_cmp_ne_u32_e32 vcc_lo, 0x7f800000, v9
	v_mov_b32_e32 v9, 0x8000
	s_and_saveexec_b32 s36, vcc_lo
	s_cbranch_execz .LBB2_2329
; %bb.2322:                             ;   in Loop: Header=BB2_2000 Depth=4
	v_mov_b32_e32 v9, 0
	s_mov_b32 s37, exec_lo
	v_cmpx_ne_u32_e32 0, v165
	s_cbranch_execz .LBB2_2328
; %bb.2323:                             ;   in Loop: Header=BB2_2000 Depth=4
	v_bfe_u32 v9, v165, 23, 8
	s_delay_alu instid0(VALU_DEP_1) | instskip(SKIP_1) | instid1(VALU_DEP_2)
	v_sub_nc_u32_e32 v167, 0x70, v9
	v_cmp_gt_u32_e32 vcc_lo, 0x71, v9
	v_dual_cndmask_b32 v167, 0, v167 :: v_dual_and_b32 v166, 0x7fffff, v165
	s_delay_alu instid0(VALU_DEP_1) | instskip(SKIP_2) | instid1(VALU_DEP_4)
	v_or_b32_e32 v176, 0x800000, v166
	v_cmp_eq_u32_e32 vcc_lo, 0, v9
	v_add_nc_u32_e32 v9, 0xffffff91, v9
	v_cndmask_b32_e64 v167, v167, 0x6f, vcc_lo
	s_delay_alu instid0(VALU_DEP_4) | instskip(NEXT) | instid1(VALU_DEP_3)
	v_cndmask_b32_e32 v166, v176, v166, vcc_lo
	v_cndmask_b32_e64 v9, v9, 0xffffff92, vcc_lo
	s_delay_alu instid0(VALU_DEP_3) | instskip(NEXT) | instid1(VALU_DEP_3)
	v_lshl_add_u32 v176, 0x200000, v167, -1
	v_lshrrev_b32_e32 v177, v167, v166
	v_lshlrev_b32_e64 v179, v167, 0x100000
	s_delay_alu instid0(VALU_DEP_4) | instskip(NEXT) | instid1(VALU_DEP_4)
	v_add_nc_u32_e32 v167, v167, v9
	v_and_b32_e32 v166, v176, v166
	s_delay_alu instid0(VALU_DEP_4) | instskip(NEXT) | instid1(VALU_DEP_2)
	v_bfe_u32 v178, v177, 21, 1
	v_cmp_eq_u32_e64 s14, v166, v179
	s_delay_alu instid0(VALU_DEP_2) | instskip(NEXT) | instid1(VALU_DEP_1)
	v_add_nc_u32_e32 v176, -1, v178
	v_cndmask_b32_e64 v166, 0, v176, s14
	v_lshrrev_b32_e32 v176, 23, v177
	s_mov_b32 s14, exec_lo
	s_delay_alu instid0(VALU_DEP_2) | instskip(NEXT) | instid1(VALU_DEP_2)
	v_add_nc_u32_e32 v166, v166, v177
	v_xor_b32_e32 v176, 1, v176
	s_delay_alu instid0(VALU_DEP_2) | instskip(NEXT) | instid1(VALU_DEP_1)
	v_and_b32_e32 v9, 0x1fffff, v166
	v_add_nc_u32_e32 v166, v9, v177
                                        ; implicit-def: $vgpr9
	s_delay_alu instid0(VALU_DEP_3)
	v_cmpx_ne_u32_e64 v167, v176
	s_xor_b32 s14, exec_lo, s14
; %bb.2324:                             ;   in Loop: Header=BB2_2000 Depth=4
	s_delay_alu instid0(VALU_DEP_2) | instskip(SKIP_2) | instid1(VALU_DEP_2)
	v_cmp_lt_u32_e32 vcc_lo, 0xffffff, v166
	v_sub_nc_u32_e32 v9, v167, v176
	v_cndmask_b32_e64 v167, 0, 1, vcc_lo
	v_add_co_ci_u32_e32 v9, vcc_lo, 0, v9, vcc_lo
	s_delay_alu instid0(VALU_DEP_2)
	v_lshrrev_b32_e32 v166, v167, v166
; %bb.2325:                             ;   in Loop: Header=BB2_2000 Depth=4
	s_and_not1_saveexec_b32 s14, s14
; %bb.2326:                             ;   in Loop: Header=BB2_2000 Depth=4
	s_delay_alu instid0(VALU_DEP_1)
	v_bfe_u32 v9, v166, 23, 1
; %bb.2327:                             ;   in Loop: Header=BB2_2000 Depth=4
	s_or_b32 exec_lo, exec_lo, s14
	v_lshrrev_b32_e32 v166, 21, v166
	s_delay_alu instid0(VALU_DEP_2) | instskip(SKIP_2) | instid1(VALU_DEP_2)
	v_cmp_gt_i32_e32 vcc_lo, 32, v9
	v_min_i32_e32 v167, 31, v9
	v_lshrrev_b32_e32 v165, 24, v165
	v_dual_cndmask_b32 v166, 3, v166 :: v_dual_lshlrev_b32 v167, 2, v167
	s_delay_alu instid0(VALU_DEP_2) | instskip(NEXT) | instid1(VALU_DEP_2)
	v_and_b32_e32 v165, 0x80, v165
	v_or_b32_e32 v9, v9, v166
	s_delay_alu instid0(VALU_DEP_3) | instskip(NEXT) | instid1(VALU_DEP_2)
	v_and_b32_e32 v167, 0xfc, v167
	v_cmp_ne_u32_e32 vcc_lo, 0, v9
	v_and_b32_e32 v176, 3, v166
	s_delay_alu instid0(VALU_DEP_1) | instskip(NEXT) | instid1(VALU_DEP_1)
	v_or3_b32 v165, v165, v167, v176
	v_lshlrev_b32_e32 v165, 8, v165
	s_delay_alu instid0(VALU_DEP_1)
	v_cndmask_b32_e32 v9, 0, v165, vcc_lo
.LBB2_2328:                             ;   in Loop: Header=BB2_2000 Depth=4
	s_or_b32 exec_lo, exec_lo, s37
.LBB2_2329:                             ;   in Loop: Header=BB2_2000 Depth=4
	s_delay_alu instid0(SALU_CYCLE_1) | instskip(SKIP_3) | instid1(VALU_DEP_1)
	s_or_b32 exec_lo, exec_lo, s36
	v_and_b32_e32 v166, 0xff, v160
	s_mov_b32 s14, 0
	s_mov_b32 s37, exec_lo
                                        ; implicit-def: $sgpr36
	v_cmpx_lt_i16_e64 0x7f, v166
	s_xor_b32 s37, exec_lo, s37
	s_cbranch_execnz .LBB2_2583
; %bb.2330:                             ;   in Loop: Header=BB2_2000 Depth=4
	s_or_saveexec_b32 s37, s37
	v_mov_b32_e32 v165, s36
	s_xor_b32 exec_lo, exec_lo, s37
	s_cbranch_execnz .LBB2_2586
.LBB2_2331:                             ;   in Loop: Header=BB2_2000 Depth=4
	s_or_b32 exec_lo, exec_lo, s37
	s_and_saveexec_b32 s36, s14
	s_cbranch_execz .LBB2_2333
.LBB2_2332:                             ;   in Loop: Header=BB2_2000 Depth=4
	v_bfe_u32 v176, v160, 2, 5
	s_delay_alu instid0(VALU_DEP_1) | instskip(SKIP_1) | instid1(VALU_DEP_1)
	v_cmp_eq_u32_e32 vcc_lo, 0, v176
	v_and_b32_e32 v165, 3, v160
	v_clz_i32_u32_e32 v166, v165
	s_delay_alu instid0(VALU_DEP_1) | instskip(NEXT) | instid1(VALU_DEP_1)
	v_min_u32_e32 v166, 32, v166
	v_subrev_nc_u32_e32 v167, 29, v166
	v_sub_nc_u32_e32 v166, 30, v166
	s_delay_alu instid0(VALU_DEP_1) | instskip(NEXT) | instid1(VALU_DEP_1)
	v_dual_cndmask_b32 v166, v176, v166 :: v_dual_lshlrev_b32 v167, v167, v160
	v_and_b32_e32 v167, 3, v167
	v_lshlrev_b32_e32 v160, 24, v160
	s_delay_alu instid0(VALU_DEP_3) | instskip(NEXT) | instid1(VALU_DEP_2)
	v_lshl_add_u32 v166, v166, 23, 0x37800000
	v_dual_cndmask_b32 v165, v165, v167 :: v_dual_and_b32 v160, 0x80000000, v160
	s_delay_alu instid0(VALU_DEP_1) | instskip(NEXT) | instid1(VALU_DEP_1)
	v_lshlrev_b32_e32 v165, 21, v165
	v_or3_b32 v165, v160, v166, v165
.LBB2_2333:                             ;   in Loop: Header=BB2_2000 Depth=4
	s_or_b32 exec_lo, exec_lo, s36
	v_and_b32_e32 v166, 0xff, v10
	s_mov_b32 s14, 0
	s_mov_b32 s37, exec_lo
                                        ; implicit-def: $sgpr36
	s_delay_alu instid0(VALU_DEP_1)
	v_cmpx_lt_i16_e64 0x7f, v166
	s_xor_b32 s37, exec_lo, s37
	s_cbranch_execnz .LBB2_2587
; %bb.2334:                             ;   in Loop: Header=BB2_2000 Depth=4
	s_or_saveexec_b32 s37, s37
	v_mov_b32_e32 v160, s36
	s_xor_b32 exec_lo, exec_lo, s37
	s_cbranch_execnz .LBB2_2590
.LBB2_2335:                             ;   in Loop: Header=BB2_2000 Depth=4
	s_or_b32 exec_lo, exec_lo, s37
	s_and_saveexec_b32 s36, s14
	s_cbranch_execz .LBB2_2337
.LBB2_2336:                             ;   in Loop: Header=BB2_2000 Depth=4
	v_and_b32_e32 v160, 3, v10
	v_bfe_u32 v176, v10, 2, 5
	s_delay_alu instid0(VALU_DEP_2) | instskip(NEXT) | instid1(VALU_DEP_2)
	v_clz_i32_u32_e32 v166, v160
	v_cmp_eq_u32_e32 vcc_lo, 0, v176
	s_delay_alu instid0(VALU_DEP_2) | instskip(NEXT) | instid1(VALU_DEP_1)
	v_min_u32_e32 v166, 32, v166
	v_subrev_nc_u32_e32 v167, 29, v166
	v_sub_nc_u32_e32 v166, 30, v166
	s_delay_alu instid0(VALU_DEP_2) | instskip(NEXT) | instid1(VALU_DEP_1)
	v_lshlrev_b32_e32 v167, v167, v10
	v_dual_cndmask_b32 v166, v176, v166 :: v_dual_and_b32 v167, 3, v167
	v_lshlrev_b32_e32 v177, 24, v10
	s_delay_alu instid0(VALU_DEP_2) | instskip(NEXT) | instid1(VALU_DEP_2)
	v_lshl_add_u32 v166, v166, 23, 0x37800000
	v_dual_cndmask_b32 v160, v160, v167 :: v_dual_and_b32 v167, 0x80000000, v177
	s_delay_alu instid0(VALU_DEP_1) | instskip(NEXT) | instid1(VALU_DEP_1)
	v_lshlrev_b32_e32 v160, 21, v160
	v_or3_b32 v160, v167, v166, v160
.LBB2_2337:                             ;   in Loop: Header=BB2_2000 Depth=4
	s_or_b32 exec_lo, exec_lo, s36
	s_delay_alu instid0(VALU_DEP_1) | instskip(NEXT) | instid1(VALU_DEP_1)
	v_add_f32_e32 v165, v165, v160
	v_and_b32_e32 v160, 0x7f800000, v165
	s_delay_alu instid0(VALU_DEP_1)
	v_cmp_ne_u32_e32 vcc_lo, 0x7f800000, v160
	v_mov_b32_e32 v160, 0x80
	s_and_saveexec_b32 s36, vcc_lo
	s_cbranch_execz .LBB2_2345
; %bb.2338:                             ;   in Loop: Header=BB2_2000 Depth=4
	v_mov_b32_e32 v160, 0
	s_mov_b32 s37, exec_lo
	v_cmpx_ne_u32_e32 0, v165
	s_cbranch_execz .LBB2_2344
; %bb.2339:                             ;   in Loop: Header=BB2_2000 Depth=4
	v_bfe_u32 v160, v165, 23, 8
	s_delay_alu instid0(VALU_DEP_1) | instskip(SKIP_1) | instid1(VALU_DEP_2)
	v_sub_nc_u32_e32 v167, 0x70, v160
	v_cmp_gt_u32_e32 vcc_lo, 0x71, v160
	v_dual_cndmask_b32 v167, 0, v167 :: v_dual_and_b32 v166, 0x7fffff, v165
	s_delay_alu instid0(VALU_DEP_1) | instskip(SKIP_2) | instid1(VALU_DEP_4)
	v_or_b32_e32 v176, 0x800000, v166
	v_cmp_eq_u32_e32 vcc_lo, 0, v160
	v_add_nc_u32_e32 v160, 0xffffff91, v160
	v_cndmask_b32_e64 v167, v167, 0x6f, vcc_lo
	s_delay_alu instid0(VALU_DEP_2) | instskip(SKIP_1) | instid1(VALU_DEP_3)
	v_cndmask_b32_e64 v160, v160, 0xffffff92, vcc_lo
	v_cndmask_b32_e32 v166, v176, v166, vcc_lo
	v_lshl_add_u32 v176, 0x200000, v167, -1
	v_lshlrev_b32_e64 v179, v167, 0x100000
	s_delay_alu instid0(VALU_DEP_3) | instskip(SKIP_1) | instid1(VALU_DEP_4)
	v_lshrrev_b32_e32 v177, v167, v166
	v_add_nc_u32_e32 v167, v167, v160
	v_and_b32_e32 v166, v176, v166
	s_delay_alu instid0(VALU_DEP_3) | instskip(NEXT) | instid1(VALU_DEP_2)
	v_bfe_u32 v178, v177, 21, 1
	v_cmp_eq_u32_e64 s14, v166, v179
	s_delay_alu instid0(VALU_DEP_2) | instskip(NEXT) | instid1(VALU_DEP_1)
	v_add_nc_u32_e32 v176, -1, v178
	v_cndmask_b32_e64 v166, 0, v176, s14
	v_lshrrev_b32_e32 v176, 23, v177
	s_mov_b32 s14, exec_lo
	s_delay_alu instid0(VALU_DEP_2) | instskip(NEXT) | instid1(VALU_DEP_2)
	v_add_nc_u32_e32 v166, v166, v177
	v_xor_b32_e32 v176, 1, v176
	s_delay_alu instid0(VALU_DEP_2) | instskip(NEXT) | instid1(VALU_DEP_1)
	v_and_b32_e32 v160, 0x1fffff, v166
	v_add_nc_u32_e32 v166, v160, v177
                                        ; implicit-def: $vgpr160
	s_delay_alu instid0(VALU_DEP_3)
	v_cmpx_ne_u32_e64 v167, v176
	s_xor_b32 s14, exec_lo, s14
; %bb.2340:                             ;   in Loop: Header=BB2_2000 Depth=4
	s_delay_alu instid0(VALU_DEP_2) | instskip(SKIP_2) | instid1(VALU_DEP_2)
	v_cmp_lt_u32_e32 vcc_lo, 0xffffff, v166
	v_sub_nc_u32_e32 v160, v167, v176
	v_cndmask_b32_e64 v167, 0, 1, vcc_lo
	v_add_co_ci_u32_e32 v160, vcc_lo, 0, v160, vcc_lo
	s_delay_alu instid0(VALU_DEP_2)
	v_lshrrev_b32_e32 v166, v167, v166
; %bb.2341:                             ;   in Loop: Header=BB2_2000 Depth=4
	s_and_not1_saveexec_b32 s14, s14
; %bb.2342:                             ;   in Loop: Header=BB2_2000 Depth=4
	s_delay_alu instid0(VALU_DEP_1)
	v_bfe_u32 v160, v166, 23, 1
; %bb.2343:                             ;   in Loop: Header=BB2_2000 Depth=4
	s_or_b32 exec_lo, exec_lo, s14
	v_lshrrev_b32_e32 v166, 21, v166
	s_delay_alu instid0(VALU_DEP_2) | instskip(SKIP_2) | instid1(VALU_DEP_2)
	v_cmp_gt_i32_e32 vcc_lo, 32, v160
	v_lshrrev_b32_e32 v165, 24, v165
	v_min_i32_e32 v167, 31, v160
	v_dual_cndmask_b32 v166, 3, v166 :: v_dual_and_b32 v165, 0x80, v165
	s_delay_alu instid0(VALU_DEP_1) | instskip(SKIP_1) | instid1(VALU_DEP_2)
	v_or_b32_e32 v160, v160, v166
	v_and_b32_e32 v176, 3, v166
	v_cmp_ne_u32_e32 vcc_lo, 0, v160
	v_lshlrev_b32_e32 v167, 2, v167
	s_delay_alu instid0(VALU_DEP_1) | instskip(NEXT) | instid1(VALU_DEP_1)
	v_or3_b32 v165, v167, v165, v176
	v_cndmask_b32_e32 v160, 0, v165, vcc_lo
.LBB2_2344:                             ;   in Loop: Header=BB2_2000 Depth=4
	s_or_b32 exec_lo, exec_lo, s37
.LBB2_2345:                             ;   in Loop: Header=BB2_2000 Depth=4
	s_delay_alu instid0(SALU_CYCLE_1) | instskip(SKIP_3) | instid1(VALU_DEP_1)
	s_or_b32 exec_lo, exec_lo, s36
	v_and_b32_e32 v166, 0xff, v150
	s_mov_b32 s14, 0
	s_mov_b32 s37, exec_lo
                                        ; implicit-def: $sgpr36
	v_cmpx_lt_i16_e64 0x7f, v166
	s_xor_b32 s37, exec_lo, s37
	s_cbranch_execnz .LBB2_2591
; %bb.2346:                             ;   in Loop: Header=BB2_2000 Depth=4
	s_or_saveexec_b32 s37, s37
	v_mov_b32_e32 v165, s36
	s_xor_b32 exec_lo, exec_lo, s37
	s_cbranch_execnz .LBB2_2594
.LBB2_2347:                             ;   in Loop: Header=BB2_2000 Depth=4
	s_or_b32 exec_lo, exec_lo, s37
	s_and_saveexec_b32 s36, s14
	s_cbranch_execz .LBB2_2349
.LBB2_2348:                             ;   in Loop: Header=BB2_2000 Depth=4
	v_and_b32_e32 v165, 3, v150
	v_bfe_u32 v176, v150, 2, 5
	s_delay_alu instid0(VALU_DEP_2) | instskip(NEXT) | instid1(VALU_DEP_2)
	v_clz_i32_u32_e32 v166, v165
	v_cmp_eq_u32_e32 vcc_lo, 0, v176
	s_delay_alu instid0(VALU_DEP_2) | instskip(NEXT) | instid1(VALU_DEP_1)
	v_min_u32_e32 v166, 32, v166
	v_subrev_nc_u32_e32 v167, 29, v166
	v_sub_nc_u32_e32 v166, 30, v166
	s_delay_alu instid0(VALU_DEP_2) | instskip(NEXT) | instid1(VALU_DEP_1)
	v_lshlrev_b32_e32 v167, v167, v150
	v_dual_cndmask_b32 v166, v176, v166 :: v_dual_and_b32 v167, 3, v167
	v_lshlrev_b32_e32 v150, 24, v150
	s_delay_alu instid0(VALU_DEP_2) | instskip(NEXT) | instid1(VALU_DEP_2)
	v_lshl_add_u32 v166, v166, 23, 0x37800000
	v_dual_cndmask_b32 v165, v165, v167 :: v_dual_and_b32 v150, 0x80000000, v150
	s_delay_alu instid0(VALU_DEP_1) | instskip(NEXT) | instid1(VALU_DEP_1)
	v_lshlrev_b32_e32 v165, 21, v165
	v_or3_b32 v165, v150, v166, v165
.LBB2_2349:                             ;   in Loop: Header=BB2_2000 Depth=4
	s_or_b32 exec_lo, exec_lo, s36
	v_lshrrev_b16 v150, 8, v10
	s_mov_b32 s14, 0
	s_mov_b32 s37, exec_lo
                                        ; implicit-def: $sgpr36
	s_delay_alu instid0(VALU_DEP_1)
	v_cmpx_lt_i16_e64 0x7f, v150
	s_xor_b32 s37, exec_lo, s37
	s_cbranch_execnz .LBB2_2595
; %bb.2350:                             ;   in Loop: Header=BB2_2000 Depth=4
	s_or_saveexec_b32 s37, s37
	v_mov_b32_e32 v166, s36
	s_xor_b32 exec_lo, exec_lo, s37
	s_cbranch_execnz .LBB2_2598
.LBB2_2351:                             ;   in Loop: Header=BB2_2000 Depth=4
	s_or_b32 exec_lo, exec_lo, s37
	s_and_saveexec_b32 s36, s14
	s_cbranch_execz .LBB2_2353
.LBB2_2352:                             ;   in Loop: Header=BB2_2000 Depth=4
	v_and_b32_e32 v166, 0xffff, v150
	v_lshlrev_b32_e32 v150, 24, v150
	s_delay_alu instid0(VALU_DEP_2) | instskip(NEXT) | instid1(VALU_DEP_2)
	v_and_b32_e32 v167, 3, v166
	v_and_b32_e32 v150, 0x80000000, v150
	s_delay_alu instid0(VALU_DEP_2) | instskip(NEXT) | instid1(VALU_DEP_1)
	v_clz_i32_u32_e32 v176, v167
	v_min_u32_e32 v176, 32, v176
	s_delay_alu instid0(VALU_DEP_1) | instskip(SKIP_1) | instid1(VALU_DEP_2)
	v_subrev_nc_u32_e32 v177, 29, v176
	v_sub_nc_u32_e32 v176, 30, v176
	v_lshlrev_b32_e32 v177, v177, v166
	v_bfe_u32 v166, v166, 2, 5
	s_delay_alu instid0(VALU_DEP_2) | instskip(NEXT) | instid1(VALU_DEP_2)
	v_and_b32_e32 v177, 3, v177
	v_cmp_eq_u32_e32 vcc_lo, 0, v166
	s_delay_alu instid0(VALU_DEP_2) | instskip(NEXT) | instid1(VALU_DEP_1)
	v_dual_cndmask_b32 v166, v166, v176 :: v_dual_cndmask_b32 v167, v167, v177
	v_lshl_add_u32 v166, v166, 23, 0x37800000
	s_delay_alu instid0(VALU_DEP_2) | instskip(NEXT) | instid1(VALU_DEP_1)
	v_lshlrev_b32_e32 v167, 21, v167
	v_or3_b32 v166, v150, v166, v167
.LBB2_2353:                             ;   in Loop: Header=BB2_2000 Depth=4
	s_or_b32 exec_lo, exec_lo, s36
	s_delay_alu instid0(VALU_DEP_1) | instskip(NEXT) | instid1(VALU_DEP_1)
	v_add_f32_e32 v165, v165, v166
	v_and_b32_e32 v150, 0x7f800000, v165
	s_delay_alu instid0(VALU_DEP_1)
	v_cmp_ne_u32_e32 vcc_lo, 0x7f800000, v150
	v_mov_b32_e32 v150, 0x80
	s_and_saveexec_b32 s36, vcc_lo
	s_cbranch_execz .LBB2_2361
; %bb.2354:                             ;   in Loop: Header=BB2_2000 Depth=4
	v_mov_b32_e32 v150, 0
	s_mov_b32 s37, exec_lo
	v_cmpx_ne_u32_e32 0, v165
	s_cbranch_execz .LBB2_2360
; %bb.2355:                             ;   in Loop: Header=BB2_2000 Depth=4
	v_bfe_u32 v150, v165, 23, 8
	s_delay_alu instid0(VALU_DEP_1) | instskip(SKIP_1) | instid1(VALU_DEP_2)
	v_sub_nc_u32_e32 v167, 0x70, v150
	v_cmp_gt_u32_e32 vcc_lo, 0x71, v150
	v_dual_cndmask_b32 v167, 0, v167 :: v_dual_and_b32 v166, 0x7fffff, v165
	s_delay_alu instid0(VALU_DEP_1) | instskip(SKIP_2) | instid1(VALU_DEP_4)
	v_or_b32_e32 v176, 0x800000, v166
	v_cmp_eq_u32_e32 vcc_lo, 0, v150
	v_add_nc_u32_e32 v150, 0xffffff91, v150
	v_cndmask_b32_e64 v167, v167, 0x6f, vcc_lo
	s_delay_alu instid0(VALU_DEP_4) | instskip(NEXT) | instid1(VALU_DEP_3)
	v_cndmask_b32_e32 v166, v176, v166, vcc_lo
	v_cndmask_b32_e64 v150, v150, 0xffffff92, vcc_lo
	s_delay_alu instid0(VALU_DEP_3) | instskip(NEXT) | instid1(VALU_DEP_3)
	v_lshl_add_u32 v176, 0x200000, v167, -1
	v_lshrrev_b32_e32 v177, v167, v166
	v_lshlrev_b32_e64 v179, v167, 0x100000
	s_delay_alu instid0(VALU_DEP_4) | instskip(NEXT) | instid1(VALU_DEP_4)
	v_add_nc_u32_e32 v167, v167, v150
	v_and_b32_e32 v166, v176, v166
	s_delay_alu instid0(VALU_DEP_4) | instskip(NEXT) | instid1(VALU_DEP_2)
	v_bfe_u32 v178, v177, 21, 1
	v_cmp_eq_u32_e64 s14, v166, v179
	s_delay_alu instid0(VALU_DEP_2) | instskip(NEXT) | instid1(VALU_DEP_1)
	v_add_nc_u32_e32 v176, -1, v178
	v_cndmask_b32_e64 v166, 0, v176, s14
	v_lshrrev_b32_e32 v176, 23, v177
	s_mov_b32 s14, exec_lo
	s_delay_alu instid0(VALU_DEP_2) | instskip(NEXT) | instid1(VALU_DEP_2)
	v_add_nc_u32_e32 v166, v166, v177
	v_xor_b32_e32 v176, 1, v176
	s_delay_alu instid0(VALU_DEP_2) | instskip(NEXT) | instid1(VALU_DEP_1)
	v_and_b32_e32 v150, 0x1fffff, v166
	v_add_nc_u32_e32 v166, v150, v177
                                        ; implicit-def: $vgpr150
	s_delay_alu instid0(VALU_DEP_3)
	v_cmpx_ne_u32_e64 v167, v176
	s_xor_b32 s14, exec_lo, s14
; %bb.2356:                             ;   in Loop: Header=BB2_2000 Depth=4
	s_delay_alu instid0(VALU_DEP_2) | instskip(SKIP_2) | instid1(VALU_DEP_2)
	v_cmp_lt_u32_e32 vcc_lo, 0xffffff, v166
	v_sub_nc_u32_e32 v150, v167, v176
	v_cndmask_b32_e64 v167, 0, 1, vcc_lo
	v_add_co_ci_u32_e32 v150, vcc_lo, 0, v150, vcc_lo
	s_delay_alu instid0(VALU_DEP_2)
	v_lshrrev_b32_e32 v166, v167, v166
; %bb.2357:                             ;   in Loop: Header=BB2_2000 Depth=4
	s_and_not1_saveexec_b32 s14, s14
; %bb.2358:                             ;   in Loop: Header=BB2_2000 Depth=4
	s_delay_alu instid0(VALU_DEP_1)
	v_bfe_u32 v150, v166, 23, 1
; %bb.2359:                             ;   in Loop: Header=BB2_2000 Depth=4
	s_or_b32 exec_lo, exec_lo, s14
	v_lshrrev_b32_e32 v166, 21, v166
	s_delay_alu instid0(VALU_DEP_2) | instskip(SKIP_2) | instid1(VALU_DEP_2)
	v_cmp_gt_i32_e32 vcc_lo, 32, v150
	v_lshrrev_b32_e32 v165, 24, v165
	v_min_i32_e32 v167, 31, v150
	v_dual_cndmask_b32 v166, 3, v166 :: v_dual_and_b32 v165, 0x80, v165
	s_delay_alu instid0(VALU_DEP_1) | instskip(SKIP_1) | instid1(VALU_DEP_2)
	v_or_b32_e32 v150, v150, v166
	v_and_b32_e32 v176, 3, v166
	v_cmp_ne_u32_e32 vcc_lo, 0, v150
	v_lshlrev_b32_e32 v167, 2, v167
	s_delay_alu instid0(VALU_DEP_1) | instskip(NEXT) | instid1(VALU_DEP_1)
	v_or3_b32 v165, v167, v165, v176
	v_cndmask_b32_e32 v150, 0, v165, vcc_lo
.LBB2_2360:                             ;   in Loop: Header=BB2_2000 Depth=4
	s_or_b32 exec_lo, exec_lo, s37
.LBB2_2361:                             ;   in Loop: Header=BB2_2000 Depth=4
	s_delay_alu instid0(SALU_CYCLE_1) | instskip(SKIP_3) | instid1(VALU_DEP_1)
	s_or_b32 exec_lo, exec_lo, s36
	v_and_b32_e32 v166, 0xff, v149
	s_mov_b32 s14, 0
	s_mov_b32 s37, exec_lo
                                        ; implicit-def: $sgpr36
	v_cmpx_lt_i16_e64 0x7f, v166
	s_xor_b32 s37, exec_lo, s37
	s_cbranch_execnz .LBB2_2599
; %bb.2362:                             ;   in Loop: Header=BB2_2000 Depth=4
	s_or_saveexec_b32 s37, s37
	v_mov_b32_e32 v165, s36
	s_xor_b32 exec_lo, exec_lo, s37
	s_cbranch_execnz .LBB2_2602
.LBB2_2363:                             ;   in Loop: Header=BB2_2000 Depth=4
	s_or_b32 exec_lo, exec_lo, s37
	s_and_saveexec_b32 s36, s14
	s_cbranch_execz .LBB2_2365
.LBB2_2364:                             ;   in Loop: Header=BB2_2000 Depth=4
	v_bfe_u32 v176, v149, 2, 5
	s_delay_alu instid0(VALU_DEP_1) | instskip(SKIP_1) | instid1(VALU_DEP_1)
	v_cmp_eq_u32_e32 vcc_lo, 0, v176
	v_and_b32_e32 v165, 3, v149
	v_clz_i32_u32_e32 v166, v165
	s_delay_alu instid0(VALU_DEP_1) | instskip(NEXT) | instid1(VALU_DEP_1)
	v_min_u32_e32 v166, 32, v166
	v_subrev_nc_u32_e32 v167, 29, v166
	v_sub_nc_u32_e32 v166, 30, v166
	s_delay_alu instid0(VALU_DEP_1) | instskip(SKIP_1) | instid1(VALU_DEP_2)
	v_dual_cndmask_b32 v166, v176, v166 :: v_dual_lshlrev_b32 v167, v167, v149
	v_lshlrev_b32_e32 v149, 24, v149
	v_and_b32_e32 v167, 3, v167
	s_delay_alu instid0(VALU_DEP_3) | instskip(NEXT) | instid1(VALU_DEP_3)
	v_lshl_add_u32 v166, v166, 23, 0x37800000
	v_and_b32_e32 v149, 0x80000000, v149
	s_delay_alu instid0(VALU_DEP_3) | instskip(NEXT) | instid1(VALU_DEP_1)
	v_cndmask_b32_e32 v165, v165, v167, vcc_lo
	v_lshlrev_b32_e32 v165, 21, v165
	s_delay_alu instid0(VALU_DEP_1)
	v_or3_b32 v165, v149, v166, v165
.LBB2_2365:                             ;   in Loop: Header=BB2_2000 Depth=4
	s_or_b32 exec_lo, exec_lo, s36
	v_lshrrev_b32_e32 v149, 16, v10
	s_mov_b32 s14, 0
	s_mov_b32 s37, exec_lo
                                        ; implicit-def: $sgpr36
	s_delay_alu instid0(VALU_DEP_1) | instskip(NEXT) | instid1(VALU_DEP_1)
	v_and_b32_e32 v167, 0xff, v149
	v_cmpx_lt_i16_e64 0x7f, v167
	s_xor_b32 s37, exec_lo, s37
	s_cbranch_execnz .LBB2_2603
; %bb.2366:                             ;   in Loop: Header=BB2_2000 Depth=4
	s_or_saveexec_b32 s37, s37
	v_mov_b32_e32 v166, s36
	s_xor_b32 exec_lo, exec_lo, s37
	s_cbranch_execnz .LBB2_2606
.LBB2_2367:                             ;   in Loop: Header=BB2_2000 Depth=4
	s_or_b32 exec_lo, exec_lo, s37
	s_and_saveexec_b32 s36, s14
	s_cbranch_execz .LBB2_2369
.LBB2_2368:                             ;   in Loop: Header=BB2_2000 Depth=4
	v_bfe_u32 v166, v10, 16, 2
	v_lshlrev_b32_e32 v177, 8, v10
	s_delay_alu instid0(VALU_DEP_2) | instskip(NEXT) | instid1(VALU_DEP_1)
	v_clz_i32_u32_e32 v167, v166
	v_min_u32_e32 v167, 32, v167
	s_delay_alu instid0(VALU_DEP_1) | instskip(SKIP_1) | instid1(VALU_DEP_2)
	v_subrev_nc_u32_e32 v176, 29, v167
	v_sub_nc_u32_e32 v167, 30, v167
	v_lshlrev_b32_e32 v149, v176, v149
	v_bfe_u32 v176, v10, 18, 5
	s_delay_alu instid0(VALU_DEP_2) | instskip(NEXT) | instid1(VALU_DEP_2)
	v_and_b32_e32 v149, 3, v149
	v_cmp_eq_u32_e32 vcc_lo, 0, v176
	v_cndmask_b32_e32 v167, v176, v167, vcc_lo
	s_delay_alu instid0(VALU_DEP_3) | instskip(SKIP_1) | instid1(VALU_DEP_3)
	v_cndmask_b32_e32 v149, v166, v149, vcc_lo
	v_and_b32_e32 v166, 0x80000000, v177
	v_lshl_add_u32 v167, v167, 23, 0x37800000
	s_delay_alu instid0(VALU_DEP_3) | instskip(NEXT) | instid1(VALU_DEP_1)
	v_lshlrev_b32_e32 v149, 21, v149
	v_or3_b32 v166, v166, v167, v149
.LBB2_2369:                             ;   in Loop: Header=BB2_2000 Depth=4
	s_or_b32 exec_lo, exec_lo, s36
	s_delay_alu instid0(VALU_DEP_1) | instskip(NEXT) | instid1(VALU_DEP_1)
	v_add_f32_e32 v165, v165, v166
	v_and_b32_e32 v149, 0x7f800000, v165
	s_delay_alu instid0(VALU_DEP_1)
	v_cmp_ne_u32_e32 vcc_lo, 0x7f800000, v149
	v_mov_b32_e32 v149, 0x80
	s_and_saveexec_b32 s36, vcc_lo
	s_cbranch_execz .LBB2_2377
; %bb.2370:                             ;   in Loop: Header=BB2_2000 Depth=4
	v_mov_b32_e32 v149, 0
	s_mov_b32 s37, exec_lo
	v_cmpx_ne_u32_e32 0, v165
	s_cbranch_execz .LBB2_2376
; %bb.2371:                             ;   in Loop: Header=BB2_2000 Depth=4
	v_bfe_u32 v149, v165, 23, 8
	s_delay_alu instid0(VALU_DEP_1) | instskip(SKIP_1) | instid1(VALU_DEP_2)
	v_sub_nc_u32_e32 v167, 0x70, v149
	v_cmp_gt_u32_e32 vcc_lo, 0x71, v149
	v_dual_cndmask_b32 v167, 0, v167 :: v_dual_and_b32 v166, 0x7fffff, v165
	s_delay_alu instid0(VALU_DEP_1) | instskip(SKIP_2) | instid1(VALU_DEP_4)
	v_or_b32_e32 v176, 0x800000, v166
	v_cmp_eq_u32_e32 vcc_lo, 0, v149
	v_add_nc_u32_e32 v149, 0xffffff91, v149
	v_cndmask_b32_e64 v167, v167, 0x6f, vcc_lo
	s_delay_alu instid0(VALU_DEP_4) | instskip(NEXT) | instid1(VALU_DEP_3)
	v_cndmask_b32_e32 v166, v176, v166, vcc_lo
	v_cndmask_b32_e64 v149, v149, 0xffffff92, vcc_lo
	s_delay_alu instid0(VALU_DEP_3) | instskip(NEXT) | instid1(VALU_DEP_3)
	v_lshl_add_u32 v176, 0x200000, v167, -1
	v_lshrrev_b32_e32 v177, v167, v166
	v_lshlrev_b32_e64 v179, v167, 0x100000
	s_delay_alu instid0(VALU_DEP_4) | instskip(NEXT) | instid1(VALU_DEP_4)
	v_add_nc_u32_e32 v167, v167, v149
	v_and_b32_e32 v166, v176, v166
	s_delay_alu instid0(VALU_DEP_4) | instskip(NEXT) | instid1(VALU_DEP_2)
	v_bfe_u32 v178, v177, 21, 1
	v_cmp_eq_u32_e64 s14, v166, v179
	s_delay_alu instid0(VALU_DEP_2) | instskip(NEXT) | instid1(VALU_DEP_1)
	v_add_nc_u32_e32 v176, -1, v178
	v_cndmask_b32_e64 v166, 0, v176, s14
	v_lshrrev_b32_e32 v176, 23, v177
	s_mov_b32 s14, exec_lo
	s_delay_alu instid0(VALU_DEP_2) | instskip(NEXT) | instid1(VALU_DEP_2)
	v_add_nc_u32_e32 v166, v166, v177
	v_xor_b32_e32 v176, 1, v176
	s_delay_alu instid0(VALU_DEP_2) | instskip(NEXT) | instid1(VALU_DEP_1)
	v_and_b32_e32 v149, 0x1fffff, v166
	v_add_nc_u32_e32 v166, v149, v177
                                        ; implicit-def: $vgpr149
	s_delay_alu instid0(VALU_DEP_3)
	v_cmpx_ne_u32_e64 v167, v176
	s_xor_b32 s14, exec_lo, s14
; %bb.2372:                             ;   in Loop: Header=BB2_2000 Depth=4
	s_delay_alu instid0(VALU_DEP_2) | instskip(SKIP_2) | instid1(VALU_DEP_2)
	v_cmp_lt_u32_e32 vcc_lo, 0xffffff, v166
	v_sub_nc_u32_e32 v149, v167, v176
	v_cndmask_b32_e64 v167, 0, 1, vcc_lo
	v_add_co_ci_u32_e32 v149, vcc_lo, 0, v149, vcc_lo
	s_delay_alu instid0(VALU_DEP_2)
	v_lshrrev_b32_e32 v166, v167, v166
; %bb.2373:                             ;   in Loop: Header=BB2_2000 Depth=4
	s_and_not1_saveexec_b32 s14, s14
; %bb.2374:                             ;   in Loop: Header=BB2_2000 Depth=4
	s_delay_alu instid0(VALU_DEP_1)
	v_bfe_u32 v149, v166, 23, 1
; %bb.2375:                             ;   in Loop: Header=BB2_2000 Depth=4
	s_or_b32 exec_lo, exec_lo, s14
	v_lshrrev_b32_e32 v166, 21, v166
	s_delay_alu instid0(VALU_DEP_2) | instskip(SKIP_2) | instid1(VALU_DEP_2)
	v_cmp_gt_i32_e32 vcc_lo, 32, v149
	v_lshrrev_b32_e32 v165, 24, v165
	v_min_i32_e32 v167, 31, v149
	v_dual_cndmask_b32 v166, 3, v166 :: v_dual_and_b32 v165, 0x80, v165
	s_delay_alu instid0(VALU_DEP_2) | instskip(NEXT) | instid1(VALU_DEP_2)
	v_lshlrev_b32_e32 v167, 2, v167
	v_or_b32_e32 v149, v149, v166
	s_delay_alu instid0(VALU_DEP_1) | instskip(SKIP_1) | instid1(VALU_DEP_1)
	v_cmp_ne_u32_e32 vcc_lo, 0, v149
	v_and_b32_e32 v176, 3, v166
	v_or3_b32 v165, v167, v165, v176
	s_delay_alu instid0(VALU_DEP_1)
	v_cndmask_b32_e32 v149, 0, v165, vcc_lo
.LBB2_2376:                             ;   in Loop: Header=BB2_2000 Depth=4
	s_or_b32 exec_lo, exec_lo, s37
.LBB2_2377:                             ;   in Loop: Header=BB2_2000 Depth=4
	s_delay_alu instid0(SALU_CYCLE_1) | instskip(SKIP_3) | instid1(VALU_DEP_1)
	s_or_b32 exec_lo, exec_lo, s36
	v_and_b32_e32 v166, 0xff, v146
	s_mov_b32 s14, 0
	s_mov_b32 s37, exec_lo
                                        ; implicit-def: $sgpr36
	v_cmpx_lt_i16_e64 0x7f, v166
	s_xor_b32 s37, exec_lo, s37
	s_cbranch_execnz .LBB2_2607
; %bb.2378:                             ;   in Loop: Header=BB2_2000 Depth=4
	s_or_saveexec_b32 s37, s37
	v_mov_b32_e32 v165, s36
	s_xor_b32 exec_lo, exec_lo, s37
	s_cbranch_execnz .LBB2_2610
.LBB2_2379:                             ;   in Loop: Header=BB2_2000 Depth=4
	s_or_b32 exec_lo, exec_lo, s37
	s_and_saveexec_b32 s36, s14
	s_cbranch_execz .LBB2_2381
.LBB2_2380:                             ;   in Loop: Header=BB2_2000 Depth=4
	v_lshlrev_b32_e32 v146, 8, v146
	s_delay_alu instid0(VALU_DEP_1) | instskip(SKIP_1) | instid1(VALU_DEP_2)
	v_and_b32_e32 v165, 0xff00, v146
	v_bfe_u32 v146, v146, 10, 5
	v_bfe_u32 v167, v165, 8, 2
	s_delay_alu instid0(VALU_DEP_2) | instskip(NEXT) | instid1(VALU_DEP_2)
	v_cmp_eq_u32_e32 vcc_lo, 0, v146
	v_clz_i32_u32_e32 v176, v167
	s_delay_alu instid0(VALU_DEP_1) | instskip(NEXT) | instid1(VALU_DEP_1)
	v_min_u32_e32 v176, 32, v176
	v_subrev_nc_u32_e32 v177, 29, v176
	v_sub_nc_u32_e32 v176, 30, v176
	s_delay_alu instid0(VALU_DEP_2) | instskip(NEXT) | instid1(VALU_DEP_2)
	v_lshlrev_b32_e32 v166, v177, v166
	v_cndmask_b32_e32 v146, v146, v176, vcc_lo
	s_delay_alu instid0(VALU_DEP_2) | instskip(SKIP_1) | instid1(VALU_DEP_3)
	v_and_b32_e32 v166, 3, v166
	v_lshlrev_b32_e32 v165, 16, v165
	v_lshl_add_u32 v146, v146, 23, 0x37800000
	s_delay_alu instid0(VALU_DEP_2) | instskip(NEXT) | instid1(VALU_DEP_1)
	v_dual_cndmask_b32 v166, v167, v166 :: v_dual_and_b32 v165, 0x80000000, v165
	v_lshlrev_b32_e32 v166, 21, v166
	s_delay_alu instid0(VALU_DEP_1)
	v_or3_b32 v165, v165, v146, v166
.LBB2_2381:                             ;   in Loop: Header=BB2_2000 Depth=4
	s_or_b32 exec_lo, exec_lo, s36
	v_lshrrev_b32_e32 v146, 24, v10
	s_mov_b32 s14, 0
	s_mov_b32 s37, exec_lo
                                        ; implicit-def: $sgpr36
	s_delay_alu instid0(VALU_DEP_1)
	v_cmpx_lt_i16_e64 0x7f, v146
	s_xor_b32 s37, exec_lo, s37
	s_cbranch_execnz .LBB2_2611
; %bb.2382:                             ;   in Loop: Header=BB2_2000 Depth=4
	s_or_saveexec_b32 s37, s37
	v_mov_b32_e32 v166, s36
	s_xor_b32 exec_lo, exec_lo, s37
	s_cbranch_execnz .LBB2_2614
.LBB2_2383:                             ;   in Loop: Header=BB2_2000 Depth=4
	s_or_b32 exec_lo, exec_lo, s37
	s_and_saveexec_b32 s36, s14
	s_cbranch_execz .LBB2_2385
.LBB2_2384:                             ;   in Loop: Header=BB2_2000 Depth=4
	v_bfe_u32 v166, v10, 24, 2
	s_delay_alu instid0(VALU_DEP_1) | instskip(NEXT) | instid1(VALU_DEP_1)
	v_clz_i32_u32_e32 v167, v166
	v_min_u32_e32 v167, 32, v167
	s_delay_alu instid0(VALU_DEP_1) | instskip(SKIP_1) | instid1(VALU_DEP_2)
	v_subrev_nc_u32_e32 v176, 29, v167
	v_sub_nc_u32_e32 v167, 30, v167
	v_lshlrev_b32_e32 v146, v176, v146
	v_bfe_u32 v176, v10, 26, 5
	v_and_b32_e32 v10, 0x80000000, v10
	s_delay_alu instid0(VALU_DEP_2) | instskip(NEXT) | instid1(VALU_DEP_4)
	v_cmp_eq_u32_e32 vcc_lo, 0, v176
	v_dual_cndmask_b32 v167, v176, v167 :: v_dual_and_b32 v146, 3, v146
	s_delay_alu instid0(VALU_DEP_1) | instskip(NEXT) | instid1(VALU_DEP_2)
	v_cndmask_b32_e32 v146, v166, v146, vcc_lo
	v_lshl_add_u32 v166, v167, 23, 0x37800000
	s_delay_alu instid0(VALU_DEP_2) | instskip(NEXT) | instid1(VALU_DEP_1)
	v_lshlrev_b32_e32 v146, 21, v146
	v_or3_b32 v166, v10, v166, v146
.LBB2_2385:                             ;   in Loop: Header=BB2_2000 Depth=4
	s_or_b32 exec_lo, exec_lo, s36
	s_delay_alu instid0(VALU_DEP_1) | instskip(NEXT) | instid1(VALU_DEP_1)
	v_add_f32_e32 v146, v165, v166
	v_and_b32_e32 v10, 0x7f800000, v146
	s_delay_alu instid0(VALU_DEP_1)
	v_cmp_ne_u32_e32 vcc_lo, 0x7f800000, v10
	v_mov_b32_e32 v10, 0x80
	s_and_saveexec_b32 s36, vcc_lo
	s_cbranch_execz .LBB2_2393
; %bb.2386:                             ;   in Loop: Header=BB2_2000 Depth=4
	v_mov_b32_e32 v10, 0
	s_mov_b32 s37, exec_lo
	v_cmpx_ne_u32_e32 0, v146
	s_cbranch_execz .LBB2_2392
; %bb.2387:                             ;   in Loop: Header=BB2_2000 Depth=4
	v_bfe_u32 v10, v146, 23, 8
	v_and_b32_e32 v165, 0x7fffff, v146
	s_delay_alu instid0(VALU_DEP_2) | instskip(SKIP_1) | instid1(VALU_DEP_3)
	v_sub_nc_u32_e32 v166, 0x70, v10
	v_cmp_gt_u32_e32 vcc_lo, 0x71, v10
	v_or_b32_e32 v167, 0x800000, v165
	s_delay_alu instid0(VALU_DEP_3) | instskip(SKIP_1) | instid1(VALU_DEP_3)
	v_cndmask_b32_e32 v166, 0, v166, vcc_lo
	v_cmp_eq_u32_e32 vcc_lo, 0, v10
	v_dual_cndmask_b32 v165, v167, v165 :: v_dual_add_nc_u32 v10, 0xffffff91, v10
	s_delay_alu instid0(VALU_DEP_3) | instskip(NEXT) | instid1(VALU_DEP_2)
	v_cndmask_b32_e64 v166, v166, 0x6f, vcc_lo
	v_cndmask_b32_e64 v10, v10, 0xffffff92, vcc_lo
	s_delay_alu instid0(VALU_DEP_2) | instskip(SKIP_2) | instid1(VALU_DEP_4)
	v_lshrrev_b32_e32 v176, v166, v165
	v_lshl_add_u32 v167, 0x200000, v166, -1
	v_lshlrev_b32_e64 v178, v166, 0x100000
	v_add_nc_u32_e32 v166, v166, v10
	s_delay_alu instid0(VALU_DEP_4) | instskip(NEXT) | instid1(VALU_DEP_4)
	v_bfe_u32 v177, v176, 21, 1
	v_and_b32_e32 v165, v167, v165
	s_delay_alu instid0(VALU_DEP_2) | instskip(NEXT) | instid1(VALU_DEP_2)
	v_add_nc_u32_e32 v167, -1, v177
	v_cmp_eq_u32_e64 s14, v165, v178
	s_delay_alu instid0(VALU_DEP_1) | instskip(SKIP_2) | instid1(VALU_DEP_2)
	v_cndmask_b32_e64 v165, 0, v167, s14
	v_lshrrev_b32_e32 v167, 23, v176
	s_mov_b32 s14, exec_lo
	v_add_nc_u32_e32 v165, v165, v176
	s_delay_alu instid0(VALU_DEP_2) | instskip(NEXT) | instid1(VALU_DEP_2)
	v_xor_b32_e32 v167, 1, v167
	v_and_b32_e32 v10, 0x1fffff, v165
	s_delay_alu instid0(VALU_DEP_1) | instskip(NEXT) | instid1(VALU_DEP_3)
	v_add_nc_u32_e32 v165, v10, v176
                                        ; implicit-def: $vgpr10
	v_cmpx_ne_u32_e64 v166, v167
	s_xor_b32 s14, exec_lo, s14
; %bb.2388:                             ;   in Loop: Header=BB2_2000 Depth=4
	s_delay_alu instid0(VALU_DEP_2) | instskip(SKIP_2) | instid1(VALU_DEP_2)
	v_cmp_lt_u32_e32 vcc_lo, 0xffffff, v165
	v_sub_nc_u32_e32 v10, v166, v167
	v_cndmask_b32_e64 v166, 0, 1, vcc_lo
	v_add_co_ci_u32_e32 v10, vcc_lo, 0, v10, vcc_lo
	s_delay_alu instid0(VALU_DEP_2)
	v_lshrrev_b32_e32 v165, v166, v165
; %bb.2389:                             ;   in Loop: Header=BB2_2000 Depth=4
	s_and_not1_saveexec_b32 s14, s14
; %bb.2390:                             ;   in Loop: Header=BB2_2000 Depth=4
	s_delay_alu instid0(VALU_DEP_1)
	v_bfe_u32 v10, v165, 23, 1
; %bb.2391:                             ;   in Loop: Header=BB2_2000 Depth=4
	s_or_b32 exec_lo, exec_lo, s14
	v_lshrrev_b32_e32 v165, 21, v165
	s_delay_alu instid0(VALU_DEP_2) | instskip(SKIP_2) | instid1(VALU_DEP_2)
	v_cmp_gt_i32_e32 vcc_lo, 32, v10
	v_lshrrev_b32_e32 v146, 24, v146
	v_min_i32_e32 v166, 31, v10
	v_dual_cndmask_b32 v165, 3, v165 :: v_dual_and_b32 v146, 0x80, v146
	s_delay_alu instid0(VALU_DEP_2) | instskip(NEXT) | instid1(VALU_DEP_2)
	v_lshlrev_b32_e32 v166, 2, v166
	v_or_b32_e32 v10, v10, v165
	s_delay_alu instid0(VALU_DEP_1) | instskip(SKIP_1) | instid1(VALU_DEP_1)
	v_cmp_ne_u32_e32 vcc_lo, 0, v10
	v_and_b32_e32 v167, 3, v165
	v_or3_b32 v146, v166, v146, v167
	s_delay_alu instid0(VALU_DEP_1)
	v_cndmask_b32_e32 v10, 0, v146, vcc_lo
.LBB2_2392:                             ;   in Loop: Header=BB2_2000 Depth=4
	s_or_b32 exec_lo, exec_lo, s37
.LBB2_2393:                             ;   in Loop: Header=BB2_2000 Depth=4
	s_delay_alu instid0(SALU_CYCLE_1) | instskip(SKIP_3) | instid1(VALU_DEP_1)
	s_or_b32 exec_lo, exec_lo, s36
	v_or_b32_e32 v146, v151, v145
	s_mov_b32 s14, 0
	s_mov_b32 s37, exec_lo
                                        ; implicit-def: $sgpr36
	v_and_b32_e32 v151, 0xff, v146
	s_delay_alu instid0(VALU_DEP_1)
	v_cmpx_lt_i16_e64 0x7f, v151
	s_xor_b32 s37, exec_lo, s37
	s_cbranch_execnz .LBB2_2615
; %bb.2394:                             ;   in Loop: Header=BB2_2000 Depth=4
	s_or_saveexec_b32 s37, s37
	v_mov_b32_e32 v145, s36
	s_xor_b32 exec_lo, exec_lo, s37
	s_cbranch_execnz .LBB2_2618
.LBB2_2395:                             ;   in Loop: Header=BB2_2000 Depth=4
	s_or_b32 exec_lo, exec_lo, s37
	s_and_saveexec_b32 s36, s14
	s_cbranch_execz .LBB2_2397
.LBB2_2396:                             ;   in Loop: Header=BB2_2000 Depth=4
	v_and_b32_e32 v145, 3, v146
	v_bfe_u32 v166, v146, 2, 5
	v_lshlrev_b32_e32 v167, 24, v146
	s_delay_alu instid0(VALU_DEP_3) | instskip(NEXT) | instid1(VALU_DEP_3)
	v_clz_i32_u32_e32 v151, v145
	v_cmp_eq_u32_e32 vcc_lo, 0, v166
	s_delay_alu instid0(VALU_DEP_2) | instskip(NEXT) | instid1(VALU_DEP_1)
	v_min_u32_e32 v151, 32, v151
	v_subrev_nc_u32_e32 v165, 29, v151
	v_sub_nc_u32_e32 v151, 30, v151
	s_delay_alu instid0(VALU_DEP_2) | instskip(NEXT) | instid1(VALU_DEP_2)
	v_lshlrev_b32_e32 v165, v165, v146
	v_cndmask_b32_e32 v151, v166, v151, vcc_lo
	s_delay_alu instid0(VALU_DEP_2) | instskip(NEXT) | instid1(VALU_DEP_2)
	v_and_b32_e32 v165, 3, v165
	v_lshl_add_u32 v151, v151, 23, 0x37800000
	s_delay_alu instid0(VALU_DEP_2) | instskip(SKIP_1) | instid1(VALU_DEP_2)
	v_cndmask_b32_e32 v145, v145, v165, vcc_lo
	v_and_b32_e32 v165, 0x80000000, v167
	v_lshlrev_b32_e32 v145, 21, v145
	s_delay_alu instid0(VALU_DEP_1)
	v_or3_b32 v145, v165, v151, v145
.LBB2_2397:                             ;   in Loop: Header=BB2_2000 Depth=4
	s_or_b32 exec_lo, exec_lo, s36
	v_and_b32_e32 v165, 0xff, v11
	s_mov_b32 s14, 0
	s_mov_b32 s37, exec_lo
                                        ; implicit-def: $sgpr36
	s_delay_alu instid0(VALU_DEP_1)
	v_cmpx_lt_i16_e64 0x7f, v165
	s_xor_b32 s37, exec_lo, s37
	s_cbranch_execnz .LBB2_2619
; %bb.2398:                             ;   in Loop: Header=BB2_2000 Depth=4
	s_or_saveexec_b32 s37, s37
	v_mov_b32_e32 v151, s36
	s_xor_b32 exec_lo, exec_lo, s37
	s_cbranch_execnz .LBB2_2622
.LBB2_2399:                             ;   in Loop: Header=BB2_2000 Depth=4
	s_or_b32 exec_lo, exec_lo, s37
	s_and_saveexec_b32 s36, s14
	s_cbranch_execz .LBB2_2401
.LBB2_2400:                             ;   in Loop: Header=BB2_2000 Depth=4
	v_and_b32_e32 v151, 3, v11
	v_bfe_u32 v167, v11, 2, 5
	s_delay_alu instid0(VALU_DEP_2) | instskip(NEXT) | instid1(VALU_DEP_2)
	v_clz_i32_u32_e32 v165, v151
	v_cmp_eq_u32_e32 vcc_lo, 0, v167
	s_delay_alu instid0(VALU_DEP_2) | instskip(NEXT) | instid1(VALU_DEP_1)
	v_min_u32_e32 v165, 32, v165
	v_subrev_nc_u32_e32 v166, 29, v165
	v_sub_nc_u32_e32 v165, 30, v165
	s_delay_alu instid0(VALU_DEP_1) | instskip(NEXT) | instid1(VALU_DEP_1)
	v_dual_cndmask_b32 v165, v167, v165 :: v_dual_lshlrev_b32 v166, v166, v11
	v_and_b32_e32 v166, 3, v166
	v_lshlrev_b32_e32 v176, 24, v11
	s_delay_alu instid0(VALU_DEP_3) | instskip(NEXT) | instid1(VALU_DEP_2)
	v_lshl_add_u32 v165, v165, 23, 0x37800000
	v_dual_cndmask_b32 v151, v151, v166 :: v_dual_and_b32 v166, 0x80000000, v176
	s_delay_alu instid0(VALU_DEP_1) | instskip(NEXT) | instid1(VALU_DEP_1)
	v_lshlrev_b32_e32 v151, 21, v151
	v_or3_b32 v151, v166, v165, v151
.LBB2_2401:                             ;   in Loop: Header=BB2_2000 Depth=4
	s_or_b32 exec_lo, exec_lo, s36
	s_delay_alu instid0(VALU_DEP_1) | instskip(NEXT) | instid1(VALU_DEP_1)
	v_add_f32_e32 v151, v145, v151
	v_and_b32_e32 v145, 0x7f800000, v151
	s_delay_alu instid0(VALU_DEP_1)
	v_cmp_ne_u32_e32 vcc_lo, 0x7f800000, v145
	v_mov_b32_e32 v145, 0x80
	s_and_saveexec_b32 s36, vcc_lo
	s_cbranch_execz .LBB2_2409
; %bb.2402:                             ;   in Loop: Header=BB2_2000 Depth=4
	v_mov_b32_e32 v145, 0
	s_mov_b32 s37, exec_lo
	v_cmpx_ne_u32_e32 0, v151
	s_cbranch_execz .LBB2_2408
; %bb.2403:                             ;   in Loop: Header=BB2_2000 Depth=4
	v_bfe_u32 v145, v151, 23, 8
	s_delay_alu instid0(VALU_DEP_1) | instskip(SKIP_1) | instid1(VALU_DEP_2)
	v_sub_nc_u32_e32 v166, 0x70, v145
	v_cmp_gt_u32_e32 vcc_lo, 0x71, v145
	v_dual_cndmask_b32 v166, 0, v166 :: v_dual_and_b32 v165, 0x7fffff, v151
	s_delay_alu instid0(VALU_DEP_1) | instskip(SKIP_2) | instid1(VALU_DEP_4)
	v_or_b32_e32 v167, 0x800000, v165
	v_cmp_eq_u32_e32 vcc_lo, 0, v145
	v_add_nc_u32_e32 v145, 0xffffff91, v145
	v_cndmask_b32_e64 v166, v166, 0x6f, vcc_lo
	s_delay_alu instid0(VALU_DEP_4) | instskip(NEXT) | instid1(VALU_DEP_3)
	v_cndmask_b32_e32 v165, v167, v165, vcc_lo
	v_cndmask_b32_e64 v145, v145, 0xffffff92, vcc_lo
	s_delay_alu instid0(VALU_DEP_3) | instskip(NEXT) | instid1(VALU_DEP_3)
	v_lshl_add_u32 v167, 0x200000, v166, -1
	v_lshrrev_b32_e32 v176, v166, v165
	v_lshlrev_b32_e64 v178, v166, 0x100000
	s_delay_alu instid0(VALU_DEP_4) | instskip(NEXT) | instid1(VALU_DEP_4)
	v_add_nc_u32_e32 v166, v166, v145
	v_and_b32_e32 v165, v167, v165
	s_delay_alu instid0(VALU_DEP_4) | instskip(NEXT) | instid1(VALU_DEP_2)
	v_bfe_u32 v177, v176, 21, 1
	v_cmp_eq_u32_e64 s14, v165, v178
	s_delay_alu instid0(VALU_DEP_2) | instskip(NEXT) | instid1(VALU_DEP_1)
	v_add_nc_u32_e32 v167, -1, v177
	v_cndmask_b32_e64 v165, 0, v167, s14
	v_lshrrev_b32_e32 v167, 23, v176
	s_mov_b32 s14, exec_lo
	s_delay_alu instid0(VALU_DEP_2) | instskip(NEXT) | instid1(VALU_DEP_2)
	v_add_nc_u32_e32 v165, v165, v176
	v_xor_b32_e32 v167, 1, v167
	s_delay_alu instid0(VALU_DEP_2) | instskip(NEXT) | instid1(VALU_DEP_1)
	v_and_b32_e32 v145, 0x1fffff, v165
	v_add_nc_u32_e32 v165, v145, v176
                                        ; implicit-def: $vgpr145
	s_delay_alu instid0(VALU_DEP_3)
	v_cmpx_ne_u32_e64 v166, v167
	s_xor_b32 s14, exec_lo, s14
; %bb.2404:                             ;   in Loop: Header=BB2_2000 Depth=4
	s_delay_alu instid0(VALU_DEP_2) | instskip(SKIP_2) | instid1(VALU_DEP_2)
	v_cmp_lt_u32_e32 vcc_lo, 0xffffff, v165
	v_sub_nc_u32_e32 v145, v166, v167
	v_cndmask_b32_e64 v166, 0, 1, vcc_lo
	v_add_co_ci_u32_e32 v145, vcc_lo, 0, v145, vcc_lo
	s_delay_alu instid0(VALU_DEP_2)
	v_lshrrev_b32_e32 v165, v166, v165
; %bb.2405:                             ;   in Loop: Header=BB2_2000 Depth=4
	s_and_not1_saveexec_b32 s14, s14
; %bb.2406:                             ;   in Loop: Header=BB2_2000 Depth=4
	s_delay_alu instid0(VALU_DEP_1)
	v_bfe_u32 v145, v165, 23, 1
; %bb.2407:                             ;   in Loop: Header=BB2_2000 Depth=4
	s_or_b32 exec_lo, exec_lo, s14
	v_lshrrev_b32_e32 v165, 21, v165
	s_delay_alu instid0(VALU_DEP_2) | instskip(SKIP_2) | instid1(VALU_DEP_4)
	v_cmp_gt_i32_e32 vcc_lo, 32, v145
	v_lshrrev_b32_e32 v151, 24, v151
	v_min_i32_e32 v166, 31, v145
	v_cndmask_b32_e32 v165, 3, v165, vcc_lo
	s_delay_alu instid0(VALU_DEP_3) | instskip(NEXT) | instid1(VALU_DEP_3)
	v_and_b32_e32 v151, 0x80, v151
	v_lshlrev_b32_e32 v166, 2, v166
	s_delay_alu instid0(VALU_DEP_3) | instskip(SKIP_1) | instid1(VALU_DEP_2)
	v_and_b32_e32 v167, 3, v165
	v_or_b32_e32 v145, v145, v165
	v_or3_b32 v151, v166, v151, v167
	s_delay_alu instid0(VALU_DEP_2) | instskip(NEXT) | instid1(VALU_DEP_2)
	v_cmp_ne_u32_e32 vcc_lo, 0, v145
	v_cndmask_b32_e32 v145, 0, v151, vcc_lo
.LBB2_2408:                             ;   in Loop: Header=BB2_2000 Depth=4
	s_or_b32 exec_lo, exec_lo, s37
.LBB2_2409:                             ;   in Loop: Header=BB2_2000 Depth=4
	s_delay_alu instid0(SALU_CYCLE_1) | instskip(SKIP_3) | instid1(VALU_DEP_1)
	s_or_b32 exec_lo, exec_lo, s36
	v_lshrrev_b16 v165, 8, v146
	s_mov_b32 s14, 0
	s_mov_b32 s37, exec_lo
                                        ; implicit-def: $sgpr36
	v_cmpx_lt_i16_e64 0x7f, v165
	s_xor_b32 s37, exec_lo, s37
	s_cbranch_execnz .LBB2_2623
; %bb.2410:                             ;   in Loop: Header=BB2_2000 Depth=4
	s_or_saveexec_b32 s37, s37
	v_mov_b32_e32 v151, s36
	s_xor_b32 exec_lo, exec_lo, s37
	s_cbranch_execnz .LBB2_2626
.LBB2_2411:                             ;   in Loop: Header=BB2_2000 Depth=4
	s_or_b32 exec_lo, exec_lo, s37
	s_and_saveexec_b32 s36, s14
	s_cbranch_execz .LBB2_2413
.LBB2_2412:                             ;   in Loop: Header=BB2_2000 Depth=4
	v_and_b32_e32 v151, 0xffff, v165
	v_lshlrev_b32_e32 v165, 24, v165
	s_delay_alu instid0(VALU_DEP_2) | instskip(NEXT) | instid1(VALU_DEP_2)
	v_and_b32_e32 v166, 3, v151
	v_and_b32_e32 v165, 0x80000000, v165
	s_delay_alu instid0(VALU_DEP_2) | instskip(NEXT) | instid1(VALU_DEP_1)
	v_clz_i32_u32_e32 v167, v166
	v_min_u32_e32 v167, 32, v167
	s_delay_alu instid0(VALU_DEP_1) | instskip(SKIP_1) | instid1(VALU_DEP_2)
	v_subrev_nc_u32_e32 v176, 29, v167
	v_sub_nc_u32_e32 v167, 30, v167
	v_lshlrev_b32_e32 v176, v176, v151
	v_bfe_u32 v151, v151, 2, 5
	s_delay_alu instid0(VALU_DEP_1) | instskip(NEXT) | instid1(VALU_DEP_3)
	v_cmp_eq_u32_e32 vcc_lo, 0, v151
	v_dual_cndmask_b32 v151, v151, v167 :: v_dual_and_b32 v176, 3, v176
	s_delay_alu instid0(VALU_DEP_1) | instskip(NEXT) | instid1(VALU_DEP_2)
	v_cndmask_b32_e32 v166, v166, v176, vcc_lo
	v_lshl_add_u32 v151, v151, 23, 0x37800000
	s_delay_alu instid0(VALU_DEP_2) | instskip(NEXT) | instid1(VALU_DEP_1)
	v_lshlrev_b32_e32 v166, 21, v166
	v_or3_b32 v151, v165, v151, v166
.LBB2_2413:                             ;   in Loop: Header=BB2_2000 Depth=4
	s_or_b32 exec_lo, exec_lo, s36
	v_lshrrev_b16 v165, 8, v11
	s_mov_b32 s14, 0
	s_mov_b32 s37, exec_lo
                                        ; implicit-def: $sgpr36
	s_delay_alu instid0(VALU_DEP_1)
	v_cmpx_lt_i16_e64 0x7f, v165
	s_xor_b32 s37, exec_lo, s37
	s_cbranch_execnz .LBB2_2627
; %bb.2414:                             ;   in Loop: Header=BB2_2000 Depth=4
	s_or_saveexec_b32 s37, s37
	v_mov_b32_e32 v166, s36
	s_xor_b32 exec_lo, exec_lo, s37
	s_cbranch_execnz .LBB2_2630
.LBB2_2415:                             ;   in Loop: Header=BB2_2000 Depth=4
	s_or_b32 exec_lo, exec_lo, s37
	s_and_saveexec_b32 s36, s14
	s_cbranch_execz .LBB2_2417
.LBB2_2416:                             ;   in Loop: Header=BB2_2000 Depth=4
	v_and_b32_e32 v166, 0xffff, v165
	v_lshlrev_b32_e32 v165, 24, v165
	s_delay_alu instid0(VALU_DEP_2) | instskip(NEXT) | instid1(VALU_DEP_2)
	v_and_b32_e32 v167, 3, v166
	v_and_b32_e32 v165, 0x80000000, v165
	s_delay_alu instid0(VALU_DEP_2) | instskip(NEXT) | instid1(VALU_DEP_1)
	v_clz_i32_u32_e32 v176, v167
	v_min_u32_e32 v176, 32, v176
	s_delay_alu instid0(VALU_DEP_1) | instskip(SKIP_1) | instid1(VALU_DEP_2)
	v_subrev_nc_u32_e32 v177, 29, v176
	v_sub_nc_u32_e32 v176, 30, v176
	v_lshlrev_b32_e32 v177, v177, v166
	v_bfe_u32 v166, v166, 2, 5
	s_delay_alu instid0(VALU_DEP_2) | instskip(NEXT) | instid1(VALU_DEP_2)
	v_and_b32_e32 v177, 3, v177
	v_cmp_eq_u32_e32 vcc_lo, 0, v166
	s_delay_alu instid0(VALU_DEP_2) | instskip(NEXT) | instid1(VALU_DEP_1)
	v_dual_cndmask_b32 v166, v166, v176 :: v_dual_cndmask_b32 v167, v167, v177
	v_lshl_add_u32 v166, v166, 23, 0x37800000
	s_delay_alu instid0(VALU_DEP_2) | instskip(NEXT) | instid1(VALU_DEP_1)
	v_lshlrev_b32_e32 v167, 21, v167
	v_or3_b32 v166, v165, v166, v167
.LBB2_2417:                             ;   in Loop: Header=BB2_2000 Depth=4
	s_or_b32 exec_lo, exec_lo, s36
	s_delay_alu instid0(VALU_DEP_1) | instskip(NEXT) | instid1(VALU_DEP_1)
	v_add_f32_e32 v165, v151, v166
	v_and_b32_e32 v151, 0x7f800000, v165
	s_delay_alu instid0(VALU_DEP_1)
	v_cmp_ne_u32_e32 vcc_lo, 0x7f800000, v151
	v_mov_b32_e32 v151, 0x8000
	s_and_saveexec_b32 s36, vcc_lo
	s_cbranch_execz .LBB2_2425
; %bb.2418:                             ;   in Loop: Header=BB2_2000 Depth=4
	v_mov_b32_e32 v151, 0
	s_mov_b32 s37, exec_lo
	v_cmpx_ne_u32_e32 0, v165
	s_cbranch_execz .LBB2_2424
; %bb.2419:                             ;   in Loop: Header=BB2_2000 Depth=4
	v_bfe_u32 v151, v165, 23, 8
	s_delay_alu instid0(VALU_DEP_1) | instskip(SKIP_1) | instid1(VALU_DEP_2)
	v_sub_nc_u32_e32 v167, 0x70, v151
	v_cmp_gt_u32_e32 vcc_lo, 0x71, v151
	v_dual_cndmask_b32 v167, 0, v167 :: v_dual_and_b32 v166, 0x7fffff, v165
	s_delay_alu instid0(VALU_DEP_1) | instskip(SKIP_2) | instid1(VALU_DEP_4)
	v_or_b32_e32 v176, 0x800000, v166
	v_cmp_eq_u32_e32 vcc_lo, 0, v151
	v_add_nc_u32_e32 v151, 0xffffff91, v151
	v_cndmask_b32_e64 v167, v167, 0x6f, vcc_lo
	s_delay_alu instid0(VALU_DEP_4) | instskip(NEXT) | instid1(VALU_DEP_3)
	v_cndmask_b32_e32 v166, v176, v166, vcc_lo
	v_cndmask_b32_e64 v151, v151, 0xffffff92, vcc_lo
	s_delay_alu instid0(VALU_DEP_3) | instskip(NEXT) | instid1(VALU_DEP_3)
	v_lshl_add_u32 v176, 0x200000, v167, -1
	v_lshrrev_b32_e32 v177, v167, v166
	v_lshlrev_b32_e64 v179, v167, 0x100000
	s_delay_alu instid0(VALU_DEP_4) | instskip(NEXT) | instid1(VALU_DEP_4)
	v_add_nc_u32_e32 v167, v167, v151
	v_and_b32_e32 v166, v176, v166
	s_delay_alu instid0(VALU_DEP_4) | instskip(NEXT) | instid1(VALU_DEP_2)
	v_bfe_u32 v178, v177, 21, 1
	v_cmp_eq_u32_e64 s14, v166, v179
	s_delay_alu instid0(VALU_DEP_2) | instskip(NEXT) | instid1(VALU_DEP_1)
	v_add_nc_u32_e32 v176, -1, v178
	v_cndmask_b32_e64 v166, 0, v176, s14
	v_lshrrev_b32_e32 v176, 23, v177
	s_mov_b32 s14, exec_lo
	s_delay_alu instid0(VALU_DEP_2) | instskip(NEXT) | instid1(VALU_DEP_2)
	v_add_nc_u32_e32 v166, v166, v177
	v_xor_b32_e32 v176, 1, v176
	s_delay_alu instid0(VALU_DEP_2) | instskip(NEXT) | instid1(VALU_DEP_1)
	v_and_b32_e32 v151, 0x1fffff, v166
	v_add_nc_u32_e32 v166, v151, v177
                                        ; implicit-def: $vgpr151
	s_delay_alu instid0(VALU_DEP_3)
	v_cmpx_ne_u32_e64 v167, v176
	s_xor_b32 s14, exec_lo, s14
; %bb.2420:                             ;   in Loop: Header=BB2_2000 Depth=4
	s_delay_alu instid0(VALU_DEP_2) | instskip(SKIP_2) | instid1(VALU_DEP_2)
	v_cmp_lt_u32_e32 vcc_lo, 0xffffff, v166
	v_sub_nc_u32_e32 v151, v167, v176
	v_cndmask_b32_e64 v167, 0, 1, vcc_lo
	v_add_co_ci_u32_e32 v151, vcc_lo, 0, v151, vcc_lo
	s_delay_alu instid0(VALU_DEP_2)
	v_lshrrev_b32_e32 v166, v167, v166
; %bb.2421:                             ;   in Loop: Header=BB2_2000 Depth=4
	s_and_not1_saveexec_b32 s14, s14
; %bb.2422:                             ;   in Loop: Header=BB2_2000 Depth=4
	s_delay_alu instid0(VALU_DEP_1)
	v_bfe_u32 v151, v166, 23, 1
; %bb.2423:                             ;   in Loop: Header=BB2_2000 Depth=4
	s_or_b32 exec_lo, exec_lo, s14
	v_lshrrev_b32_e32 v166, 21, v166
	s_delay_alu instid0(VALU_DEP_2) | instskip(SKIP_2) | instid1(VALU_DEP_2)
	v_cmp_gt_i32_e32 vcc_lo, 32, v151
	v_min_i32_e32 v167, 31, v151
	v_lshrrev_b32_e32 v165, 24, v165
	v_dual_cndmask_b32 v166, 3, v166 :: v_dual_lshlrev_b32 v167, 2, v167
	s_delay_alu instid0(VALU_DEP_2) | instskip(NEXT) | instid1(VALU_DEP_2)
	v_and_b32_e32 v165, 0x80, v165
	v_or_b32_e32 v151, v151, v166
	s_delay_alu instid0(VALU_DEP_3) | instskip(NEXT) | instid1(VALU_DEP_2)
	v_and_b32_e32 v167, 0xfc, v167
	v_cmp_ne_u32_e32 vcc_lo, 0, v151
	v_and_b32_e32 v176, 3, v166
	s_delay_alu instid0(VALU_DEP_1) | instskip(NEXT) | instid1(VALU_DEP_1)
	v_or3_b32 v165, v165, v167, v176
	v_lshlrev_b32_e32 v165, 8, v165
	s_delay_alu instid0(VALU_DEP_1)
	v_cndmask_b32_e32 v151, 0, v165, vcc_lo
.LBB2_2424:                             ;   in Loop: Header=BB2_2000 Depth=4
	s_or_b32 exec_lo, exec_lo, s37
.LBB2_2425:                             ;   in Loop: Header=BB2_2000 Depth=4
	s_delay_alu instid0(SALU_CYCLE_1) | instskip(SKIP_3) | instid1(VALU_DEP_1)
	s_or_b32 exec_lo, exec_lo, s36
	v_or_b32_e32 v148, v148, v144
	s_mov_b32 s14, 0
	s_mov_b32 s37, exec_lo
                                        ; implicit-def: $sgpr36
	v_and_b32_e32 v165, 0xff, v148
	s_delay_alu instid0(VALU_DEP_1)
	v_cmpx_lt_i16_e64 0x7f, v165
	s_xor_b32 s37, exec_lo, s37
	s_cbranch_execnz .LBB2_2631
; %bb.2426:                             ;   in Loop: Header=BB2_2000 Depth=4
	s_or_saveexec_b32 s37, s37
	v_mov_b32_e32 v144, s36
	s_xor_b32 exec_lo, exec_lo, s37
	s_cbranch_execnz .LBB2_2634
.LBB2_2427:                             ;   in Loop: Header=BB2_2000 Depth=4
	s_or_b32 exec_lo, exec_lo, s37
	v_lshl_or_b32 v146, v148, 16, v146
	s_and_saveexec_b32 s36, s14
	s_cbranch_execz .LBB2_2429
.LBB2_2428:                             ;   in Loop: Header=BB2_2000 Depth=4
	s_delay_alu instid0(VALU_DEP_1) | instskip(SKIP_1) | instid1(VALU_DEP_2)
	v_bfe_u32 v144, v146, 16, 2
	v_lshrrev_b32_e32 v165, 16, v146
	v_clz_i32_u32_e32 v148, v144
	s_delay_alu instid0(VALU_DEP_1) | instskip(NEXT) | instid1(VALU_DEP_1)
	v_min_u32_e32 v148, 32, v148
	v_subrev_nc_u32_e32 v166, 29, v148
	v_sub_nc_u32_e32 v148, 30, v148
	s_delay_alu instid0(VALU_DEP_2) | instskip(SKIP_1) | instid1(VALU_DEP_1)
	v_lshlrev_b32_e32 v165, v166, v165
	v_bfe_u32 v166, v146, 18, 5
	v_cmp_eq_u32_e32 vcc_lo, 0, v166
	s_delay_alu instid0(VALU_DEP_3) | instskip(NEXT) | instid1(VALU_DEP_1)
	v_dual_cndmask_b32 v148, v166, v148 :: v_dual_and_b32 v165, 3, v165
	v_dual_cndmask_b32 v144, v144, v165 :: v_dual_lshlrev_b32 v167, 8, v146
	s_delay_alu instid0(VALU_DEP_2) | instskip(NEXT) | instid1(VALU_DEP_2)
	v_lshl_add_u32 v148, v148, 23, 0x37800000
	v_and_b32_e32 v165, 0x80000000, v167
	s_delay_alu instid0(VALU_DEP_3) | instskip(NEXT) | instid1(VALU_DEP_1)
	v_lshlrev_b32_e32 v144, 21, v144
	v_or3_b32 v144, v165, v148, v144
.LBB2_2429:                             ;   in Loop: Header=BB2_2000 Depth=4
	s_or_b32 exec_lo, exec_lo, s36
	v_lshrrev_b32_e32 v148, 16, v11
	s_mov_b32 s14, 0
	s_mov_b32 s37, exec_lo
                                        ; implicit-def: $sgpr36
	s_delay_alu instid0(VALU_DEP_1) | instskip(NEXT) | instid1(VALU_DEP_1)
	v_and_b32_e32 v166, 0xff, v148
	v_cmpx_lt_i16_e64 0x7f, v166
	s_xor_b32 s37, exec_lo, s37
	s_cbranch_execnz .LBB2_2635
; %bb.2430:                             ;   in Loop: Header=BB2_2000 Depth=4
	s_or_saveexec_b32 s37, s37
	v_mov_b32_e32 v165, s36
	s_xor_b32 exec_lo, exec_lo, s37
	s_cbranch_execnz .LBB2_2638
.LBB2_2431:                             ;   in Loop: Header=BB2_2000 Depth=4
	s_or_b32 exec_lo, exec_lo, s37
	s_and_saveexec_b32 s36, s14
	s_cbranch_execz .LBB2_2433
.LBB2_2432:                             ;   in Loop: Header=BB2_2000 Depth=4
	v_bfe_u32 v165, v11, 16, 2
	v_lshlrev_b32_e32 v176, 8, v11
	s_delay_alu instid0(VALU_DEP_2) | instskip(NEXT) | instid1(VALU_DEP_1)
	v_clz_i32_u32_e32 v166, v165
	v_min_u32_e32 v166, 32, v166
	s_delay_alu instid0(VALU_DEP_1) | instskip(SKIP_1) | instid1(VALU_DEP_2)
	v_subrev_nc_u32_e32 v167, 29, v166
	v_sub_nc_u32_e32 v166, 30, v166
	v_lshlrev_b32_e32 v148, v167, v148
	v_bfe_u32 v167, v11, 18, 5
	s_delay_alu instid0(VALU_DEP_2) | instskip(NEXT) | instid1(VALU_DEP_2)
	v_and_b32_e32 v148, 3, v148
	v_cmp_eq_u32_e32 vcc_lo, 0, v167
	v_cndmask_b32_e32 v166, v167, v166, vcc_lo
	s_delay_alu instid0(VALU_DEP_3) | instskip(SKIP_1) | instid1(VALU_DEP_3)
	v_cndmask_b32_e32 v148, v165, v148, vcc_lo
	v_and_b32_e32 v165, 0x80000000, v176
	v_lshl_add_u32 v166, v166, 23, 0x37800000
	s_delay_alu instid0(VALU_DEP_3) | instskip(NEXT) | instid1(VALU_DEP_1)
	v_lshlrev_b32_e32 v148, 21, v148
	v_or3_b32 v165, v165, v166, v148
.LBB2_2433:                             ;   in Loop: Header=BB2_2000 Depth=4
	s_or_b32 exec_lo, exec_lo, s36
	s_delay_alu instid0(VALU_DEP_1) | instskip(NEXT) | instid1(VALU_DEP_1)
	v_add_f32_e32 v148, v144, v165
	v_and_b32_e32 v144, 0x7f800000, v148
	s_delay_alu instid0(VALU_DEP_1)
	v_cmp_ne_u32_e32 vcc_lo, 0x7f800000, v144
	v_mov_b32_e32 v144, 0x80
	s_and_saveexec_b32 s36, vcc_lo
	s_cbranch_execz .LBB2_2441
; %bb.2434:                             ;   in Loop: Header=BB2_2000 Depth=4
	v_mov_b32_e32 v144, 0
	s_mov_b32 s37, exec_lo
	v_cmpx_ne_u32_e32 0, v148
	s_cbranch_execz .LBB2_2440
; %bb.2435:                             ;   in Loop: Header=BB2_2000 Depth=4
	v_bfe_u32 v144, v148, 23, 8
	s_delay_alu instid0(VALU_DEP_1) | instskip(SKIP_1) | instid1(VALU_DEP_2)
	v_sub_nc_u32_e32 v166, 0x70, v144
	v_cmp_gt_u32_e32 vcc_lo, 0x71, v144
	v_dual_cndmask_b32 v166, 0, v166 :: v_dual_and_b32 v165, 0x7fffff, v148
	s_delay_alu instid0(VALU_DEP_1) | instskip(SKIP_2) | instid1(VALU_DEP_4)
	v_or_b32_e32 v167, 0x800000, v165
	v_cmp_eq_u32_e32 vcc_lo, 0, v144
	v_add_nc_u32_e32 v144, 0xffffff91, v144
	v_cndmask_b32_e64 v166, v166, 0x6f, vcc_lo
	s_delay_alu instid0(VALU_DEP_4) | instskip(NEXT) | instid1(VALU_DEP_3)
	v_cndmask_b32_e32 v165, v167, v165, vcc_lo
	v_cndmask_b32_e64 v144, v144, 0xffffff92, vcc_lo
	s_delay_alu instid0(VALU_DEP_3) | instskip(NEXT) | instid1(VALU_DEP_3)
	v_lshl_add_u32 v167, 0x200000, v166, -1
	v_lshrrev_b32_e32 v176, v166, v165
	v_lshlrev_b32_e64 v178, v166, 0x100000
	s_delay_alu instid0(VALU_DEP_4) | instskip(NEXT) | instid1(VALU_DEP_4)
	v_add_nc_u32_e32 v166, v166, v144
	v_and_b32_e32 v165, v167, v165
	s_delay_alu instid0(VALU_DEP_4) | instskip(NEXT) | instid1(VALU_DEP_2)
	v_bfe_u32 v177, v176, 21, 1
	v_cmp_eq_u32_e64 s14, v165, v178
	s_delay_alu instid0(VALU_DEP_2) | instskip(NEXT) | instid1(VALU_DEP_1)
	v_add_nc_u32_e32 v167, -1, v177
	v_cndmask_b32_e64 v165, 0, v167, s14
	v_lshrrev_b32_e32 v167, 23, v176
	s_mov_b32 s14, exec_lo
	s_delay_alu instid0(VALU_DEP_2) | instskip(NEXT) | instid1(VALU_DEP_2)
	v_add_nc_u32_e32 v165, v165, v176
	v_xor_b32_e32 v167, 1, v167
	s_delay_alu instid0(VALU_DEP_2) | instskip(NEXT) | instid1(VALU_DEP_1)
	v_and_b32_e32 v144, 0x1fffff, v165
	v_add_nc_u32_e32 v165, v144, v176
                                        ; implicit-def: $vgpr144
	s_delay_alu instid0(VALU_DEP_3)
	v_cmpx_ne_u32_e64 v166, v167
	s_xor_b32 s14, exec_lo, s14
; %bb.2436:                             ;   in Loop: Header=BB2_2000 Depth=4
	s_delay_alu instid0(VALU_DEP_2) | instskip(SKIP_2) | instid1(VALU_DEP_2)
	v_cmp_lt_u32_e32 vcc_lo, 0xffffff, v165
	v_sub_nc_u32_e32 v144, v166, v167
	v_cndmask_b32_e64 v166, 0, 1, vcc_lo
	v_add_co_ci_u32_e32 v144, vcc_lo, 0, v144, vcc_lo
	s_delay_alu instid0(VALU_DEP_2)
	v_lshrrev_b32_e32 v165, v166, v165
; %bb.2437:                             ;   in Loop: Header=BB2_2000 Depth=4
	s_and_not1_saveexec_b32 s14, s14
; %bb.2438:                             ;   in Loop: Header=BB2_2000 Depth=4
	s_delay_alu instid0(VALU_DEP_1)
	v_bfe_u32 v144, v165, 23, 1
; %bb.2439:                             ;   in Loop: Header=BB2_2000 Depth=4
	s_or_b32 exec_lo, exec_lo, s14
	v_lshrrev_b32_e32 v165, 21, v165
	s_delay_alu instid0(VALU_DEP_2) | instskip(SKIP_2) | instid1(VALU_DEP_2)
	v_cmp_gt_i32_e32 vcc_lo, 32, v144
	v_min_i32_e32 v166, 31, v144
	v_lshrrev_b32_e32 v148, 24, v148
	v_dual_cndmask_b32 v165, 3, v165 :: v_dual_lshlrev_b32 v166, 2, v166
	s_delay_alu instid0(VALU_DEP_2) | instskip(NEXT) | instid1(VALU_DEP_2)
	v_and_b32_e32 v148, 0x80, v148
	v_or_b32_e32 v144, v144, v165
	s_delay_alu instid0(VALU_DEP_3) | instskip(NEXT) | instid1(VALU_DEP_2)
	v_and_b32_e32 v166, 0xfc, v166
	v_cmp_ne_u32_e32 vcc_lo, 0, v144
	v_and_b32_e32 v167, 3, v165
	s_delay_alu instid0(VALU_DEP_1) | instskip(NEXT) | instid1(VALU_DEP_1)
	v_or3_b32 v148, v166, v148, v167
	v_cndmask_b32_e32 v144, 0, v148, vcc_lo
.LBB2_2440:                             ;   in Loop: Header=BB2_2000 Depth=4
	s_or_b32 exec_lo, exec_lo, s37
.LBB2_2441:                             ;   in Loop: Header=BB2_2000 Depth=4
	s_delay_alu instid0(SALU_CYCLE_1) | instskip(SKIP_3) | instid1(VALU_DEP_1)
	s_or_b32 exec_lo, exec_lo, s36
	v_lshrrev_b32_e32 v165, 24, v146
	s_mov_b32 s14, 0
	s_mov_b32 s37, exec_lo
                                        ; implicit-def: $sgpr36
	v_cmpx_lt_i16_e64 0x7f, v165
	s_xor_b32 s37, exec_lo, s37
	s_cbranch_execnz .LBB2_2639
; %bb.2442:                             ;   in Loop: Header=BB2_2000 Depth=4
	s_or_saveexec_b32 s37, s37
	v_mov_b32_e32 v148, s36
	s_xor_b32 exec_lo, exec_lo, s37
	s_cbranch_execnz .LBB2_2642
.LBB2_2443:                             ;   in Loop: Header=BB2_2000 Depth=4
	s_or_b32 exec_lo, exec_lo, s37
	s_and_saveexec_b32 s36, s14
	s_cbranch_execz .LBB2_2445
.LBB2_2444:                             ;   in Loop: Header=BB2_2000 Depth=4
	v_bfe_u32 v148, v146, 24, 2
	s_delay_alu instid0(VALU_DEP_1) | instskip(NEXT) | instid1(VALU_DEP_1)
	v_clz_i32_u32_e32 v166, v148
	v_min_u32_e32 v166, 32, v166
	s_delay_alu instid0(VALU_DEP_1) | instskip(SKIP_1) | instid1(VALU_DEP_2)
	v_subrev_nc_u32_e32 v167, 29, v166
	v_sub_nc_u32_e32 v166, 30, v166
	v_lshlrev_b32_e32 v165, v167, v165
	v_bfe_u32 v167, v146, 26, 5
	v_and_b32_e32 v146, 0x80000000, v146
	s_delay_alu instid0(VALU_DEP_2) | instskip(NEXT) | instid1(VALU_DEP_4)
	v_cmp_eq_u32_e32 vcc_lo, 0, v167
	v_dual_cndmask_b32 v166, v167, v166 :: v_dual_and_b32 v165, 3, v165
	s_delay_alu instid0(VALU_DEP_1) | instskip(NEXT) | instid1(VALU_DEP_2)
	v_cndmask_b32_e32 v148, v148, v165, vcc_lo
	v_lshl_add_u32 v165, v166, 23, 0x37800000
	s_delay_alu instid0(VALU_DEP_2) | instskip(NEXT) | instid1(VALU_DEP_1)
	v_lshlrev_b32_e32 v148, 21, v148
	v_or3_b32 v148, v146, v165, v148
.LBB2_2445:                             ;   in Loop: Header=BB2_2000 Depth=4
	s_or_b32 exec_lo, exec_lo, s36
	v_lshrrev_b32_e32 v146, 24, v11
	s_mov_b32 s14, 0
	s_mov_b32 s37, exec_lo
                                        ; implicit-def: $sgpr36
	s_delay_alu instid0(VALU_DEP_1)
	v_cmpx_lt_i16_e64 0x7f, v146
	s_xor_b32 s37, exec_lo, s37
	s_cbranch_execnz .LBB2_2643
; %bb.2446:                             ;   in Loop: Header=BB2_2000 Depth=4
	s_or_saveexec_b32 s37, s37
	v_mov_b32_e32 v165, s36
	s_xor_b32 exec_lo, exec_lo, s37
	s_cbranch_execnz .LBB2_2646
.LBB2_2447:                             ;   in Loop: Header=BB2_2000 Depth=4
	s_or_b32 exec_lo, exec_lo, s37
	s_and_saveexec_b32 s36, s14
	s_cbranch_execz .LBB2_2449
.LBB2_2448:                             ;   in Loop: Header=BB2_2000 Depth=4
	v_bfe_u32 v165, v11, 24, 2
	s_delay_alu instid0(VALU_DEP_1) | instskip(NEXT) | instid1(VALU_DEP_1)
	v_clz_i32_u32_e32 v166, v165
	v_min_u32_e32 v166, 32, v166
	s_delay_alu instid0(VALU_DEP_1) | instskip(SKIP_1) | instid1(VALU_DEP_2)
	v_subrev_nc_u32_e32 v167, 29, v166
	v_sub_nc_u32_e32 v166, 30, v166
	v_lshlrev_b32_e32 v146, v167, v146
	v_bfe_u32 v167, v11, 26, 5
	v_and_b32_e32 v11, 0x80000000, v11
	s_delay_alu instid0(VALU_DEP_3) | instskip(NEXT) | instid1(VALU_DEP_3)
	v_and_b32_e32 v146, 3, v146
	v_cmp_eq_u32_e32 vcc_lo, 0, v167
	v_cndmask_b32_e32 v166, v167, v166, vcc_lo
	s_delay_alu instid0(VALU_DEP_3) | instskip(NEXT) | instid1(VALU_DEP_2)
	v_cndmask_b32_e32 v146, v165, v146, vcc_lo
	v_lshl_add_u32 v165, v166, 23, 0x37800000
	s_delay_alu instid0(VALU_DEP_2) | instskip(NEXT) | instid1(VALU_DEP_1)
	v_lshlrev_b32_e32 v146, 21, v146
	v_or3_b32 v165, v11, v165, v146
.LBB2_2449:                             ;   in Loop: Header=BB2_2000 Depth=4
	s_or_b32 exec_lo, exec_lo, s36
	s_delay_alu instid0(VALU_DEP_1) | instskip(NEXT) | instid1(VALU_DEP_1)
	v_add_f32_e32 v11, v148, v165
	v_and_b32_e32 v146, 0x7f800000, v11
	s_delay_alu instid0(VALU_DEP_1)
	v_cmp_ne_u32_e32 vcc_lo, 0x7f800000, v146
	v_mov_b32_e32 v146, 0x8000
	s_and_saveexec_b32 s36, vcc_lo
	s_cbranch_execz .LBB2_1999
; %bb.2450:                             ;   in Loop: Header=BB2_2000 Depth=4
	v_mov_b32_e32 v146, 0
	s_mov_b32 s37, exec_lo
	v_cmpx_ne_u32_e32 0, v11
	s_cbranch_execz .LBB2_1998
; %bb.2451:                             ;   in Loop: Header=BB2_2000 Depth=4
	v_bfe_u32 v146, v11, 23, 8
	s_delay_alu instid0(VALU_DEP_1) | instskip(SKIP_1) | instid1(VALU_DEP_2)
	v_sub_nc_u32_e32 v165, 0x70, v146
	v_cmp_gt_u32_e32 vcc_lo, 0x71, v146
	v_dual_cndmask_b32 v165, 0, v165 :: v_dual_and_b32 v148, 0x7fffff, v11
	s_delay_alu instid0(VALU_DEP_1) | instskip(SKIP_2) | instid1(VALU_DEP_4)
	v_or_b32_e32 v166, 0x800000, v148
	v_cmp_eq_u32_e32 vcc_lo, 0, v146
	v_add_nc_u32_e32 v146, 0xffffff91, v146
	v_cndmask_b32_e64 v165, v165, 0x6f, vcc_lo
	s_delay_alu instid0(VALU_DEP_2) | instskip(SKIP_1) | instid1(VALU_DEP_3)
	v_cndmask_b32_e64 v146, v146, 0xffffff92, vcc_lo
	v_cndmask_b32_e32 v148, v166, v148, vcc_lo
	v_lshl_add_u32 v166, 0x200000, v165, -1
	v_lshlrev_b32_e64 v177, v165, 0x100000
	s_delay_alu instid0(VALU_DEP_3) | instskip(SKIP_1) | instid1(VALU_DEP_4)
	v_lshrrev_b32_e32 v167, v165, v148
	v_add_nc_u32_e32 v165, v165, v146
	v_and_b32_e32 v148, v166, v148
	s_delay_alu instid0(VALU_DEP_3) | instskip(NEXT) | instid1(VALU_DEP_2)
	v_bfe_u32 v176, v167, 21, 1
	v_cmp_eq_u32_e64 s14, v148, v177
	s_delay_alu instid0(VALU_DEP_2) | instskip(NEXT) | instid1(VALU_DEP_1)
	v_add_nc_u32_e32 v166, -1, v176
	v_cndmask_b32_e64 v148, 0, v166, s14
	v_lshrrev_b32_e32 v166, 23, v167
	s_mov_b32 s14, exec_lo
	s_delay_alu instid0(VALU_DEP_2) | instskip(NEXT) | instid1(VALU_DEP_2)
	v_add_nc_u32_e32 v148, v148, v167
	v_xor_b32_e32 v166, 1, v166
	s_delay_alu instid0(VALU_DEP_2) | instskip(NEXT) | instid1(VALU_DEP_1)
	v_and_b32_e32 v146, 0x1fffff, v148
	v_add_nc_u32_e32 v148, v146, v167
                                        ; implicit-def: $vgpr146
	s_delay_alu instid0(VALU_DEP_3)
	v_cmpx_ne_u32_e64 v165, v166
	s_xor_b32 s14, exec_lo, s14
; %bb.2452:                             ;   in Loop: Header=BB2_2000 Depth=4
	s_delay_alu instid0(VALU_DEP_2) | instskip(SKIP_2) | instid1(VALU_DEP_2)
	v_cmp_lt_u32_e32 vcc_lo, 0xffffff, v148
	v_sub_nc_u32_e32 v146, v165, v166
	v_cndmask_b32_e64 v165, 0, 1, vcc_lo
	v_add_co_ci_u32_e32 v146, vcc_lo, 0, v146, vcc_lo
	s_delay_alu instid0(VALU_DEP_2)
	v_lshrrev_b32_e32 v148, v165, v148
; %bb.2453:                             ;   in Loop: Header=BB2_2000 Depth=4
	s_and_not1_saveexec_b32 s14, s14
	s_cbranch_execz .LBB2_1997
; %bb.2454:                             ;   in Loop: Header=BB2_2000 Depth=4
	s_delay_alu instid0(VALU_DEP_1)
	v_bfe_u32 v146, v148, 23, 1
	s_branch .LBB2_1997
.LBB2_2455:                             ;   in Loop: Header=BB2_2000 Depth=4
	s_mov_b32 s14, -1
	s_mov_b32 s39, exec_lo
                                        ; implicit-def: $sgpr37
	v_cmpx_eq_u16_e64 0x80, v144
; %bb.2456:                             ;   in Loop: Header=BB2_2000 Depth=4
	s_mov_b32 s37, 0x7f800001
	s_xor_b32 s14, exec_lo, -1
; %bb.2457:                             ;   in Loop: Header=BB2_2000 Depth=4
	s_or_b32 exec_lo, exec_lo, s39
	s_delay_alu instid0(SALU_CYCLE_1)
	s_and_b32 s14, s14, exec_lo
                                        ; implicit-def: $vgpr144
	s_or_saveexec_b32 s38, s38
	v_mov_b32_e32 v135, s37
	s_xor_b32 exec_lo, exec_lo, s38
	s_cbranch_execz .LBB2_2011
.LBB2_2458:                             ;   in Loop: Header=BB2_2000 Depth=4
	v_cmp_ne_u16_e64 vcc_lo, 0, v144
	v_mov_b32_e32 v135, 0
	s_and_not1_b32 s14, s14, exec_lo
	s_delay_alu instid0(VALU_DEP_2) | instskip(NEXT) | instid1(SALU_CYCLE_1)
	s_and_b32 vcc_lo, vcc_lo, exec_lo
	s_or_b32 s14, s14, vcc_lo
	s_or_b32 exec_lo, exec_lo, s38
	s_and_saveexec_b32 s37, s14
	s_cbranch_execnz .LBB2_2012
	s_branch .LBB2_2013
.LBB2_2459:                             ;   in Loop: Header=BB2_2000 Depth=4
	s_mov_b32 s14, -1
	s_mov_b32 s39, exec_lo
                                        ; implicit-def: $sgpr37
	v_cmpx_eq_u16_e64 0x80, v144
; %bb.2460:                             ;   in Loop: Header=BB2_2000 Depth=4
	s_mov_b32 s37, 0x7f800001
	s_xor_b32 s14, exec_lo, -1
; %bb.2461:                             ;   in Loop: Header=BB2_2000 Depth=4
	s_or_b32 exec_lo, exec_lo, s39
	s_delay_alu instid0(SALU_CYCLE_1)
	s_and_b32 s14, s14, exec_lo
	s_or_saveexec_b32 s38, s38
	v_mov_b32_e32 v145, s37
	s_xor_b32 exec_lo, exec_lo, s38
	s_cbranch_execz .LBB2_2023
.LBB2_2462:                             ;   in Loop: Header=BB2_2000 Depth=4
	v_cmp_ne_u16_e64 vcc_lo, 0, v144
	v_mov_b32_e32 v145, 0
	s_and_not1_b32 s14, s14, exec_lo
	s_delay_alu instid0(VALU_DEP_2) | instskip(NEXT) | instid1(SALU_CYCLE_1)
	s_and_b32 vcc_lo, vcc_lo, exec_lo
	s_or_b32 s14, s14, vcc_lo
	s_or_b32 exec_lo, exec_lo, s38
	s_and_saveexec_b32 s37, s14
	s_cbranch_execnz .LBB2_2024
	s_branch .LBB2_2025
.LBB2_2463:                             ;   in Loop: Header=BB2_2000 Depth=4
	s_mov_b32 s14, -1
	s_mov_b32 s39, exec_lo
                                        ; implicit-def: $sgpr37
	v_cmpx_eq_u16_e64 0x80, v146
; %bb.2464:                             ;   in Loop: Header=BB2_2000 Depth=4
	s_mov_b32 s37, 0x7f800001
	s_xor_b32 s14, exec_lo, -1
; %bb.2465:                             ;   in Loop: Header=BB2_2000 Depth=4
	s_or_b32 exec_lo, exec_lo, s39
	s_delay_alu instid0(SALU_CYCLE_1)
	s_and_b32 s14, s14, exec_lo
                                        ; implicit-def: $vgpr146
	s_or_saveexec_b32 s38, s38
	v_mov_b32_e32 v145, s37
	s_xor_b32 exec_lo, exec_lo, s38
	s_cbranch_execz .LBB2_2035
.LBB2_2466:                             ;   in Loop: Header=BB2_2000 Depth=4
	v_cmp_ne_u16_e64 vcc_lo, 0, v146
	v_mov_b32_e32 v145, 0
	s_and_not1_b32 s14, s14, exec_lo
	s_delay_alu instid0(VALU_DEP_2) | instskip(NEXT) | instid1(SALU_CYCLE_1)
	s_and_b32 vcc_lo, vcc_lo, exec_lo
	s_or_b32 s14, s14, vcc_lo
	s_or_b32 exec_lo, exec_lo, s38
	s_and_saveexec_b32 s37, s14
	s_cbranch_execnz .LBB2_2036
	s_branch .LBB2_2037
.LBB2_2467:                             ;   in Loop: Header=BB2_2000 Depth=4
	s_mov_b32 s14, -1
	s_mov_b32 s39, exec_lo
                                        ; implicit-def: $sgpr37
	v_cmpx_eq_u16_e64 0x80, v144
; %bb.2468:                             ;   in Loop: Header=BB2_2000 Depth=4
	s_mov_b32 s37, 0x7f800001
	s_xor_b32 s14, exec_lo, -1
; %bb.2469:                             ;   in Loop: Header=BB2_2000 Depth=4
	s_or_b32 exec_lo, exec_lo, s39
	s_delay_alu instid0(SALU_CYCLE_1)
	s_and_b32 s14, s14, exec_lo
	s_or_saveexec_b32 s38, s38
	v_mov_b32_e32 v145, s37
	s_xor_b32 exec_lo, exec_lo, s38
	s_cbranch_execz .LBB2_2047
.LBB2_2470:                             ;   in Loop: Header=BB2_2000 Depth=4
	v_cmp_ne_u16_e64 vcc_lo, 0, v144
	v_mov_b32_e32 v145, 0
	s_and_not1_b32 s14, s14, exec_lo
	s_delay_alu instid0(VALU_DEP_2) | instskip(NEXT) | instid1(SALU_CYCLE_1)
	s_and_b32 vcc_lo, vcc_lo, exec_lo
	s_or_b32 s14, s14, vcc_lo
	s_or_b32 exec_lo, exec_lo, s38
	s_and_saveexec_b32 s37, s14
	s_cbranch_execnz .LBB2_2048
	s_branch .LBB2_2049
.LBB2_2471:                             ;   in Loop: Header=BB2_2000 Depth=4
	s_mov_b32 s14, -1
	s_mov_b32 s39, exec_lo
                                        ; implicit-def: $sgpr37
	v_cmpx_eq_u16_e64 0x80, v144
; %bb.2472:                             ;   in Loop: Header=BB2_2000 Depth=4
	s_mov_b32 s37, 0x7f800001
	s_xor_b32 s14, exec_lo, -1
; %bb.2473:                             ;   in Loop: Header=BB2_2000 Depth=4
	s_or_b32 exec_lo, exec_lo, s39
	s_delay_alu instid0(SALU_CYCLE_1)
	s_and_b32 s14, s14, exec_lo
                                        ; implicit-def: $vgpr144
	s_or_saveexec_b32 s38, s38
	v_mov_b32_e32 v8, s37
	s_xor_b32 exec_lo, exec_lo, s38
	s_cbranch_execz .LBB2_2059
.LBB2_2474:                             ;   in Loop: Header=BB2_2000 Depth=4
	v_cmp_ne_u16_e64 vcc_lo, 0, v144
	v_mov_b32_e32 v8, 0
	s_and_not1_b32 s14, s14, exec_lo
	s_delay_alu instid0(VALU_DEP_2) | instskip(NEXT) | instid1(SALU_CYCLE_1)
	s_and_b32 vcc_lo, vcc_lo, exec_lo
	s_or_b32 s14, s14, vcc_lo
	s_or_b32 exec_lo, exec_lo, s38
	s_and_saveexec_b32 s37, s14
	s_cbranch_execnz .LBB2_2060
	s_branch .LBB2_2061
.LBB2_2475:                             ;   in Loop: Header=BB2_2000 Depth=4
	s_mov_b32 s14, -1
	s_mov_b32 s39, exec_lo
                                        ; implicit-def: $sgpr37
	v_cmpx_eq_u16_e32 0x80, v8
; %bb.2476:                             ;   in Loop: Header=BB2_2000 Depth=4
	s_mov_b32 s37, 0x7f800001
	s_xor_b32 s14, exec_lo, -1
; %bb.2477:                             ;   in Loop: Header=BB2_2000 Depth=4
	s_or_b32 exec_lo, exec_lo, s39
	s_delay_alu instid0(SALU_CYCLE_1)
	s_and_b32 s14, s14, exec_lo
	s_or_saveexec_b32 s38, s38
	v_mov_b32_e32 v144, s37
	s_xor_b32 exec_lo, exec_lo, s38
	s_cbranch_execz .LBB2_2071
.LBB2_2478:                             ;   in Loop: Header=BB2_2000 Depth=4
	v_cmp_ne_u16_e32 vcc_lo, 0, v8
	v_mov_b32_e32 v144, 0
	s_and_not1_b32 s14, s14, exec_lo
	s_and_b32 vcc_lo, vcc_lo, exec_lo
	s_delay_alu instid0(SALU_CYCLE_1)
	s_or_b32 s14, s14, vcc_lo
	s_or_b32 exec_lo, exec_lo, s38
	s_and_saveexec_b32 s37, s14
	s_cbranch_execnz .LBB2_2072
	s_branch .LBB2_2073
.LBB2_2479:                             ;   in Loop: Header=BB2_2000 Depth=4
	s_mov_b32 s14, -1
	s_mov_b32 s39, exec_lo
                                        ; implicit-def: $sgpr37
	v_cmpx_eq_u16_e64 0x80, v145
; %bb.2480:                             ;   in Loop: Header=BB2_2000 Depth=4
	s_mov_b32 s37, 0x7f800001
	s_xor_b32 s14, exec_lo, -1
; %bb.2481:                             ;   in Loop: Header=BB2_2000 Depth=4
	s_or_b32 exec_lo, exec_lo, s39
	s_delay_alu instid0(SALU_CYCLE_1)
	s_and_b32 s14, s14, exec_lo
                                        ; implicit-def: $vgpr145
	s_or_saveexec_b32 s38, s38
	v_mov_b32_e32 v144, s37
	s_xor_b32 exec_lo, exec_lo, s38
	s_cbranch_execz .LBB2_2083
.LBB2_2482:                             ;   in Loop: Header=BB2_2000 Depth=4
	v_cmp_ne_u16_e64 vcc_lo, 0, v145
	v_mov_b32_e32 v144, 0
	s_and_not1_b32 s14, s14, exec_lo
	s_delay_alu instid0(VALU_DEP_2) | instskip(NEXT) | instid1(SALU_CYCLE_1)
	s_and_b32 vcc_lo, vcc_lo, exec_lo
	s_or_b32 s14, s14, vcc_lo
	s_or_b32 exec_lo, exec_lo, s38
	s_and_saveexec_b32 s37, s14
	s_cbranch_execnz .LBB2_2084
	s_branch .LBB2_2085
.LBB2_2483:                             ;   in Loop: Header=BB2_2000 Depth=4
	s_mov_b32 s14, -1
	s_mov_b32 s39, exec_lo
                                        ; implicit-def: $sgpr37
	v_cmpx_eq_u16_e32 0x80, v8
; %bb.2484:                             ;   in Loop: Header=BB2_2000 Depth=4
	s_mov_b32 s37, 0x7f800001
	s_xor_b32 s14, exec_lo, -1
; %bb.2485:                             ;   in Loop: Header=BB2_2000 Depth=4
	s_or_b32 exec_lo, exec_lo, s39
	s_delay_alu instid0(SALU_CYCLE_1)
	s_and_b32 s14, s14, exec_lo
	s_or_saveexec_b32 s38, s38
	v_mov_b32_e32 v144, s37
	s_xor_b32 exec_lo, exec_lo, s38
	s_cbranch_execz .LBB2_2095
.LBB2_2486:                             ;   in Loop: Header=BB2_2000 Depth=4
	v_cmp_ne_u16_e32 vcc_lo, 0, v8
	v_mov_b32_e32 v144, 0
	s_and_not1_b32 s14, s14, exec_lo
	s_and_b32 vcc_lo, vcc_lo, exec_lo
	s_delay_alu instid0(SALU_CYCLE_1)
	s_or_b32 s14, s14, vcc_lo
	s_or_b32 exec_lo, exec_lo, s38
	s_and_saveexec_b32 s37, s14
	s_cbranch_execnz .LBB2_2096
	s_branch .LBB2_2097
.LBB2_2487:                             ;   in Loop: Header=BB2_2000 Depth=4
	s_mov_b32 s14, -1
	s_mov_b32 s39, exec_lo
                                        ; implicit-def: $sgpr37
	v_cmpx_eq_u16_e32 0x80, v9
; %bb.2488:                             ;   in Loop: Header=BB2_2000 Depth=4
	s_mov_b32 s37, 0x7f800001
	s_xor_b32 s14, exec_lo, -1
; %bb.2489:                             ;   in Loop: Header=BB2_2000 Depth=4
	s_or_b32 exec_lo, exec_lo, s39
	s_delay_alu instid0(SALU_CYCLE_1)
	s_and_b32 s14, s14, exec_lo
                                        ; implicit-def: $vgpr9
	s_or_saveexec_b32 s38, s38
	v_mov_b32_e32 v8, s37
	s_xor_b32 exec_lo, exec_lo, s38
	s_cbranch_execz .LBB2_2107
.LBB2_2490:                             ;   in Loop: Header=BB2_2000 Depth=4
	v_cmp_ne_u16_e32 vcc_lo, 0, v9
	v_mov_b32_e32 v8, 0
	s_and_not1_b32 s14, s14, exec_lo
	s_and_b32 vcc_lo, vcc_lo, exec_lo
	s_delay_alu instid0(SALU_CYCLE_1)
	s_or_b32 s14, s14, vcc_lo
	s_or_b32 exec_lo, exec_lo, s38
	s_and_saveexec_b32 s37, s14
	s_cbranch_execnz .LBB2_2108
	s_branch .LBB2_2109
.LBB2_2491:                             ;   in Loop: Header=BB2_2000 Depth=4
	s_mov_b32 s14, -1
	s_mov_b32 s39, exec_lo
                                        ; implicit-def: $sgpr37
	v_cmpx_eq_u16_e32 0x80, v8
; %bb.2492:                             ;   in Loop: Header=BB2_2000 Depth=4
	s_mov_b32 s37, 0x7f800001
	s_xor_b32 s14, exec_lo, -1
; %bb.2493:                             ;   in Loop: Header=BB2_2000 Depth=4
	s_or_b32 exec_lo, exec_lo, s39
	s_delay_alu instid0(SALU_CYCLE_1)
	s_and_b32 s14, s14, exec_lo
	s_or_saveexec_b32 s38, s38
	v_mov_b32_e32 v9, s37
	s_xor_b32 exec_lo, exec_lo, s38
	s_cbranch_execz .LBB2_2119
.LBB2_2494:                             ;   in Loop: Header=BB2_2000 Depth=4
	v_cmp_ne_u16_e32 vcc_lo, 0, v8
	v_mov_b32_e32 v9, 0
	s_and_not1_b32 s14, s14, exec_lo
	s_and_b32 vcc_lo, vcc_lo, exec_lo
	s_delay_alu instid0(SALU_CYCLE_1)
	s_or_b32 s14, s14, vcc_lo
	s_or_b32 exec_lo, exec_lo, s38
	s_and_saveexec_b32 s37, s14
	s_cbranch_execnz .LBB2_2120
	s_branch .LBB2_2121
.LBB2_2495:                             ;   in Loop: Header=BB2_2000 Depth=4
	s_mov_b32 s14, -1
	s_mov_b32 s39, exec_lo
                                        ; implicit-def: $sgpr37
	v_cmpx_eq_u16_e64 0x80, v144
; %bb.2496:                             ;   in Loop: Header=BB2_2000 Depth=4
	s_mov_b32 s37, 0x7f800001
	s_xor_b32 s14, exec_lo, -1
; %bb.2497:                             ;   in Loop: Header=BB2_2000 Depth=4
	s_or_b32 exec_lo, exec_lo, s39
	s_delay_alu instid0(SALU_CYCLE_1)
	s_and_b32 s14, s14, exec_lo
                                        ; implicit-def: $vgpr144
	s_or_saveexec_b32 s38, s38
	v_mov_b32_e32 v9, s37
	s_xor_b32 exec_lo, exec_lo, s38
	s_cbranch_execz .LBB2_2131
.LBB2_2498:                             ;   in Loop: Header=BB2_2000 Depth=4
	v_cmp_ne_u16_e64 vcc_lo, 0, v144
	v_mov_b32_e32 v9, 0
	s_and_not1_b32 s14, s14, exec_lo
	s_delay_alu instid0(VALU_DEP_2) | instskip(NEXT) | instid1(SALU_CYCLE_1)
	s_and_b32 vcc_lo, vcc_lo, exec_lo
	s_or_b32 s14, s14, vcc_lo
	s_or_b32 exec_lo, exec_lo, s38
	s_and_saveexec_b32 s37, s14
	s_cbranch_execnz .LBB2_2132
	s_branch .LBB2_2133
.LBB2_2499:                             ;   in Loop: Header=BB2_2000 Depth=4
	s_mov_b32 s14, -1
	s_mov_b32 s39, exec_lo
                                        ; implicit-def: $sgpr37
	v_cmpx_eq_u16_e32 0x80, v8
; %bb.2500:                             ;   in Loop: Header=BB2_2000 Depth=4
	s_mov_b32 s37, 0x7f800001
	s_xor_b32 s14, exec_lo, -1
; %bb.2501:                             ;   in Loop: Header=BB2_2000 Depth=4
	s_or_b32 exec_lo, exec_lo, s39
	s_delay_alu instid0(SALU_CYCLE_1)
	s_and_b32 s14, s14, exec_lo
	s_or_saveexec_b32 s38, s38
	v_mov_b32_e32 v9, s37
	s_xor_b32 exec_lo, exec_lo, s38
	s_cbranch_execz .LBB2_2143
.LBB2_2502:                             ;   in Loop: Header=BB2_2000 Depth=4
	v_cmp_ne_u16_e32 vcc_lo, 0, v8
	v_mov_b32_e32 v9, 0
	s_and_not1_b32 s14, s14, exec_lo
	s_and_b32 vcc_lo, vcc_lo, exec_lo
	s_delay_alu instid0(SALU_CYCLE_1)
	s_or_b32 s14, s14, vcc_lo
	s_or_b32 exec_lo, exec_lo, s38
	s_and_saveexec_b32 s37, s14
	s_cbranch_execnz .LBB2_2144
	s_branch .LBB2_2145
.LBB2_2503:                             ;   in Loop: Header=BB2_2000 Depth=4
	s_mov_b32 s14, -1
	s_mov_b32 s39, exec_lo
                                        ; implicit-def: $sgpr37
	v_cmpx_eq_u16_e32 0x80, v9
; %bb.2504:                             ;   in Loop: Header=BB2_2000 Depth=4
	s_mov_b32 s37, 0x7f800001
	s_xor_b32 s14, exec_lo, -1
; %bb.2505:                             ;   in Loop: Header=BB2_2000 Depth=4
	s_or_b32 exec_lo, exec_lo, s39
	s_delay_alu instid0(SALU_CYCLE_1)
	s_and_b32 s14, s14, exec_lo
                                        ; implicit-def: $vgpr9
	s_or_saveexec_b32 s38, s38
	v_mov_b32_e32 v8, s37
	s_xor_b32 exec_lo, exec_lo, s38
	s_cbranch_execz .LBB2_2155
.LBB2_2506:                             ;   in Loop: Header=BB2_2000 Depth=4
	v_cmp_ne_u16_e32 vcc_lo, 0, v9
	v_mov_b32_e32 v8, 0
	s_and_not1_b32 s14, s14, exec_lo
	s_and_b32 vcc_lo, vcc_lo, exec_lo
	s_delay_alu instid0(SALU_CYCLE_1)
	s_or_b32 s14, s14, vcc_lo
	s_or_b32 exec_lo, exec_lo, s38
	s_and_saveexec_b32 s37, s14
	s_cbranch_execnz .LBB2_2156
	s_branch .LBB2_2157
.LBB2_2507:                             ;   in Loop: Header=BB2_2000 Depth=4
	s_mov_b32 s14, -1
	s_mov_b32 s39, exec_lo
                                        ; implicit-def: $sgpr37
	v_cmpx_eq_u16_e32 0x80, v8
; %bb.2508:                             ;   in Loop: Header=BB2_2000 Depth=4
	s_mov_b32 s37, 0x7f800001
	s_xor_b32 s14, exec_lo, -1
; %bb.2509:                             ;   in Loop: Header=BB2_2000 Depth=4
	s_or_b32 exec_lo, exec_lo, s39
	s_delay_alu instid0(SALU_CYCLE_1)
	s_and_b32 s14, s14, exec_lo
	s_or_saveexec_b32 s38, s38
	v_mov_b32_e32 v9, s37
	s_xor_b32 exec_lo, exec_lo, s38
	s_cbranch_execz .LBB2_2167
.LBB2_2510:                             ;   in Loop: Header=BB2_2000 Depth=4
	v_cmp_ne_u16_e32 vcc_lo, 0, v8
	v_mov_b32_e32 v9, 0
	s_and_not1_b32 s14, s14, exec_lo
	s_and_b32 vcc_lo, vcc_lo, exec_lo
	s_delay_alu instid0(SALU_CYCLE_1)
	s_or_b32 s14, s14, vcc_lo
	s_or_b32 exec_lo, exec_lo, s38
	s_and_saveexec_b32 s37, s14
	s_cbranch_execnz .LBB2_2168
	s_branch .LBB2_2169
.LBB2_2511:                             ;   in Loop: Header=BB2_2000 Depth=4
	s_mov_b32 s14, -1
	s_mov_b32 s39, exec_lo
                                        ; implicit-def: $sgpr37
	v_cmpx_eq_u16_e32 0x80, v10
; %bb.2512:                             ;   in Loop: Header=BB2_2000 Depth=4
	s_mov_b32 s37, 0x7f800001
	s_xor_b32 s14, exec_lo, -1
; %bb.2513:                             ;   in Loop: Header=BB2_2000 Depth=4
	s_or_b32 exec_lo, exec_lo, s39
	s_delay_alu instid0(SALU_CYCLE_1)
	s_and_b32 s14, s14, exec_lo
                                        ; implicit-def: $vgpr10
	s_or_saveexec_b32 s38, s38
	v_mov_b32_e32 v9, s37
	s_xor_b32 exec_lo, exec_lo, s38
	s_cbranch_execz .LBB2_2179
.LBB2_2514:                             ;   in Loop: Header=BB2_2000 Depth=4
	v_cmp_ne_u16_e32 vcc_lo, 0, v10
	v_mov_b32_e32 v9, 0
	s_and_not1_b32 s14, s14, exec_lo
	s_and_b32 vcc_lo, vcc_lo, exec_lo
	s_delay_alu instid0(SALU_CYCLE_1)
	s_or_b32 s14, s14, vcc_lo
	s_or_b32 exec_lo, exec_lo, s38
	s_and_saveexec_b32 s37, s14
	s_cbranch_execnz .LBB2_2180
	s_branch .LBB2_2181
.LBB2_2515:                             ;   in Loop: Header=BB2_2000 Depth=4
	s_mov_b32 s14, -1
	s_mov_b32 s39, exec_lo
                                        ; implicit-def: $sgpr37
	v_cmpx_eq_u16_e32 0x80, v8
; %bb.2516:                             ;   in Loop: Header=BB2_2000 Depth=4
	s_mov_b32 s37, 0x7f800001
	s_xor_b32 s14, exec_lo, -1
; %bb.2517:                             ;   in Loop: Header=BB2_2000 Depth=4
	s_or_b32 exec_lo, exec_lo, s39
	s_delay_alu instid0(SALU_CYCLE_1)
	s_and_b32 s14, s14, exec_lo
	s_or_saveexec_b32 s38, s38
	v_mov_b32_e32 v9, s37
	s_xor_b32 exec_lo, exec_lo, s38
	s_cbranch_execz .LBB2_2191
.LBB2_2518:                             ;   in Loop: Header=BB2_2000 Depth=4
	v_cmp_ne_u16_e32 vcc_lo, 0, v8
	v_mov_b32_e32 v9, 0
	s_and_not1_b32 s14, s14, exec_lo
	s_and_b32 vcc_lo, vcc_lo, exec_lo
	s_delay_alu instid0(SALU_CYCLE_1)
	s_or_b32 s14, s14, vcc_lo
	s_or_b32 exec_lo, exec_lo, s38
	s_and_saveexec_b32 s37, s14
	s_cbranch_execnz .LBB2_2192
	s_branch .LBB2_2193
.LBB2_2519:                             ;   in Loop: Header=BB2_2000 Depth=4
	s_mov_b32 s14, -1
	s_mov_b32 s38, exec_lo
                                        ; implicit-def: $sgpr36
	v_cmpx_eq_u16_e64 0x80, v176
; %bb.2520:                             ;   in Loop: Header=BB2_2000 Depth=4
	s_mov_b32 s36, 0x7f800001
	s_xor_b32 s14, exec_lo, -1
; %bb.2521:                             ;   in Loop: Header=BB2_2000 Depth=4
	s_or_b32 exec_lo, exec_lo, s38
	s_delay_alu instid0(SALU_CYCLE_1)
	s_and_b32 s14, s14, exec_lo
                                        ; implicit-def: $vgpr176
	s_or_saveexec_b32 s37, s37
	v_mov_b32_e32 v167, s36
	s_xor_b32 exec_lo, exec_lo, s37
	s_cbranch_execz .LBB2_2203
.LBB2_2522:                             ;   in Loop: Header=BB2_2000 Depth=4
	v_cmp_ne_u16_e64 vcc_lo, 0, v176
	v_mov_b32_e32 v167, 0
	s_and_not1_b32 s14, s14, exec_lo
	s_delay_alu instid0(VALU_DEP_2) | instskip(NEXT) | instid1(SALU_CYCLE_1)
	s_and_b32 vcc_lo, vcc_lo, exec_lo
	s_or_b32 s14, s14, vcc_lo
	s_or_b32 exec_lo, exec_lo, s37
	s_and_saveexec_b32 s36, s14
	s_cbranch_execnz .LBB2_2204
	s_branch .LBB2_2205
.LBB2_2523:                             ;   in Loop: Header=BB2_2000 Depth=4
	s_mov_b32 s14, -1
	s_mov_b32 s38, exec_lo
                                        ; implicit-def: $sgpr36
	v_cmpx_eq_u16_e64 0x80, v176
; %bb.2524:                             ;   in Loop: Header=BB2_2000 Depth=4
	s_mov_b32 s36, 0x7f800001
	s_xor_b32 s14, exec_lo, -1
; %bb.2525:                             ;   in Loop: Header=BB2_2000 Depth=4
	s_or_b32 exec_lo, exec_lo, s38
	s_delay_alu instid0(SALU_CYCLE_1)
	s_and_b32 s14, s14, exec_lo
                                        ; implicit-def: $vgpr176
	s_or_saveexec_b32 s37, s37
	v_mov_b32_e32 v135, s36
	s_xor_b32 exec_lo, exec_lo, s37
	s_cbranch_execz .LBB2_2207
.LBB2_2526:                             ;   in Loop: Header=BB2_2000 Depth=4
	v_cmp_ne_u16_e64 vcc_lo, 0, v176
	v_mov_b32_e32 v135, 0
	s_and_not1_b32 s14, s14, exec_lo
	s_delay_alu instid0(VALU_DEP_2) | instskip(NEXT) | instid1(SALU_CYCLE_1)
	s_and_b32 vcc_lo, vcc_lo, exec_lo
	s_or_b32 s14, s14, vcc_lo
	s_or_b32 exec_lo, exec_lo, s37
	s_and_saveexec_b32 s36, s14
	s_cbranch_execnz .LBB2_2208
	s_branch .LBB2_2209
.LBB2_2527:                             ;   in Loop: Header=BB2_2000 Depth=4
	s_mov_b32 s14, -1
	s_mov_b32 s38, exec_lo
                                        ; implicit-def: $sgpr36
	v_cmpx_eq_u16_e64 0x80, v176
; %bb.2528:                             ;   in Loop: Header=BB2_2000 Depth=4
	s_mov_b32 s36, 0x7f800001
	s_xor_b32 s14, exec_lo, -1
; %bb.2529:                             ;   in Loop: Header=BB2_2000 Depth=4
	s_or_b32 exec_lo, exec_lo, s38
	s_delay_alu instid0(SALU_CYCLE_1)
	s_and_b32 s14, s14, exec_lo
                                        ; implicit-def: $vgpr176
	s_or_saveexec_b32 s37, s37
	v_mov_b32_e32 v167, s36
	s_xor_b32 exec_lo, exec_lo, s37
	s_cbranch_execz .LBB2_2219
.LBB2_2530:                             ;   in Loop: Header=BB2_2000 Depth=4
	v_cmp_ne_u16_e64 vcc_lo, 0, v176
	v_mov_b32_e32 v167, 0
	s_and_not1_b32 s14, s14, exec_lo
	s_delay_alu instid0(VALU_DEP_2) | instskip(NEXT) | instid1(SALU_CYCLE_1)
	s_and_b32 vcc_lo, vcc_lo, exec_lo
	s_or_b32 s14, s14, vcc_lo
	s_or_b32 exec_lo, exec_lo, s37
	s_and_saveexec_b32 s36, s14
	s_cbranch_execnz .LBB2_2220
	s_branch .LBB2_2221
.LBB2_2531:                             ;   in Loop: Header=BB2_2000 Depth=4
	s_mov_b32 s14, -1
	s_mov_b32 s38, exec_lo
                                        ; implicit-def: $sgpr36
	v_cmpx_eq_u16_e64 0x80, v147
; %bb.2532:                             ;   in Loop: Header=BB2_2000 Depth=4
	s_mov_b32 s36, 0x7f800001
	s_xor_b32 s14, exec_lo, -1
; %bb.2533:                             ;   in Loop: Header=BB2_2000 Depth=4
	s_or_b32 exec_lo, exec_lo, s38
	s_delay_alu instid0(SALU_CYCLE_1)
	s_and_b32 s14, s14, exec_lo
	s_or_saveexec_b32 s37, s37
	v_mov_b32_e32 v176, s36
	s_xor_b32 exec_lo, exec_lo, s37
	s_cbranch_execz .LBB2_2223
.LBB2_2534:                             ;   in Loop: Header=BB2_2000 Depth=4
	v_cmp_ne_u16_e64 vcc_lo, 0, v147
	v_mov_b32_e32 v176, 0
	s_and_not1_b32 s14, s14, exec_lo
	s_delay_alu instid0(VALU_DEP_2) | instskip(NEXT) | instid1(SALU_CYCLE_1)
	s_and_b32 vcc_lo, vcc_lo, exec_lo
	s_or_b32 s14, s14, vcc_lo
	s_or_b32 exec_lo, exec_lo, s37
	s_and_saveexec_b32 s36, s14
	s_cbranch_execnz .LBB2_2224
	s_branch .LBB2_2225
.LBB2_2535:                             ;   in Loop: Header=BB2_2000 Depth=4
	s_mov_b32 s14, -1
	s_mov_b32 s38, exec_lo
                                        ; implicit-def: $sgpr36
	v_cmpx_eq_u16_e64 0x80, v176
; %bb.2536:                             ;   in Loop: Header=BB2_2000 Depth=4
	s_mov_b32 s36, 0x7f800001
	s_xor_b32 s14, exec_lo, -1
; %bb.2537:                             ;   in Loop: Header=BB2_2000 Depth=4
	s_or_b32 exec_lo, exec_lo, s38
	s_delay_alu instid0(SALU_CYCLE_1)
	s_and_b32 s14, s14, exec_lo
                                        ; implicit-def: $vgpr176
	s_or_saveexec_b32 s37, s37
	v_mov_b32_e32 v167, s36
	s_xor_b32 exec_lo, exec_lo, s37
	s_cbranch_execz .LBB2_2235
.LBB2_2538:                             ;   in Loop: Header=BB2_2000 Depth=4
	v_cmp_ne_u16_e64 vcc_lo, 0, v176
	v_mov_b32_e32 v167, 0
	s_and_not1_b32 s14, s14, exec_lo
	s_delay_alu instid0(VALU_DEP_2) | instskip(NEXT) | instid1(SALU_CYCLE_1)
	s_and_b32 vcc_lo, vcc_lo, exec_lo
	s_or_b32 s14, s14, vcc_lo
	s_or_b32 exec_lo, exec_lo, s37
	s_and_saveexec_b32 s36, s14
	s_cbranch_execnz .LBB2_2236
	s_branch .LBB2_2237
.LBB2_2539:                             ;   in Loop: Header=BB2_2000 Depth=4
	s_mov_b32 s14, -1
	s_mov_b32 s38, exec_lo
                                        ; implicit-def: $sgpr36
	v_cmpx_eq_u16_e64 0x80, v177
; %bb.2540:                             ;   in Loop: Header=BB2_2000 Depth=4
	s_mov_b32 s36, 0x7f800001
	s_xor_b32 s14, exec_lo, -1
; %bb.2541:                             ;   in Loop: Header=BB2_2000 Depth=4
	s_or_b32 exec_lo, exec_lo, s38
	s_delay_alu instid0(SALU_CYCLE_1)
	s_and_b32 s14, s14, exec_lo
                                        ; implicit-def: $vgpr177
	s_or_saveexec_b32 s37, s37
	v_mov_b32_e32 v176, s36
	s_xor_b32 exec_lo, exec_lo, s37
	s_cbranch_execz .LBB2_2239
.LBB2_2542:                             ;   in Loop: Header=BB2_2000 Depth=4
	v_cmp_ne_u16_e64 vcc_lo, 0, v177
	v_mov_b32_e32 v176, 0
	s_and_not1_b32 s14, s14, exec_lo
	s_delay_alu instid0(VALU_DEP_2) | instskip(NEXT) | instid1(SALU_CYCLE_1)
	s_and_b32 vcc_lo, vcc_lo, exec_lo
	s_or_b32 s14, s14, vcc_lo
	s_or_b32 exec_lo, exec_lo, s37
	s_and_saveexec_b32 s36, s14
	s_cbranch_execnz .LBB2_2240
	s_branch .LBB2_2241
.LBB2_2543:                             ;   in Loop: Header=BB2_2000 Depth=4
	s_mov_b32 s14, -1
	s_mov_b32 s38, exec_lo
                                        ; implicit-def: $sgpr36
	v_cmpx_eq_u16_e64 0x80, v176
; %bb.2544:                             ;   in Loop: Header=BB2_2000 Depth=4
	s_mov_b32 s36, 0x7f800001
	s_xor_b32 s14, exec_lo, -1
; %bb.2545:                             ;   in Loop: Header=BB2_2000 Depth=4
	s_or_b32 exec_lo, exec_lo, s38
	s_delay_alu instid0(SALU_CYCLE_1)
	s_and_b32 s14, s14, exec_lo
	s_or_saveexec_b32 s37, s37
	v_mov_b32_e32 v167, s36
	s_xor_b32 exec_lo, exec_lo, s37
	s_cbranch_execz .LBB2_2251
.LBB2_2546:                             ;   in Loop: Header=BB2_2000 Depth=4
	v_cmp_ne_u16_e64 vcc_lo, 0, v176
	v_mov_b32_e32 v167, 0
	s_and_not1_b32 s14, s14, exec_lo
	s_delay_alu instid0(VALU_DEP_2) | instskip(NEXT) | instid1(SALU_CYCLE_1)
	s_and_b32 vcc_lo, vcc_lo, exec_lo
	s_or_b32 s14, s14, vcc_lo
	s_or_b32 exec_lo, exec_lo, s37
	s_and_saveexec_b32 s36, s14
	s_cbranch_execnz .LBB2_2252
	s_branch .LBB2_2253
.LBB2_2547:                             ;   in Loop: Header=BB2_2000 Depth=4
	s_mov_b32 s14, -1
	s_mov_b32 s38, exec_lo
                                        ; implicit-def: $sgpr36
	v_cmpx_eq_u16_e64 0x80, v164
; %bb.2548:                             ;   in Loop: Header=BB2_2000 Depth=4
	s_mov_b32 s36, 0x7f800001
	s_xor_b32 s14, exec_lo, -1
; %bb.2549:                             ;   in Loop: Header=BB2_2000 Depth=4
	s_or_b32 exec_lo, exec_lo, s38
	s_delay_alu instid0(SALU_CYCLE_1)
	s_and_b32 s14, s14, exec_lo
	s_or_saveexec_b32 s37, s37
	v_mov_b32_e32 v176, s36
	s_xor_b32 exec_lo, exec_lo, s37
	s_cbranch_execz .LBB2_2255
.LBB2_2550:                             ;   in Loop: Header=BB2_2000 Depth=4
	v_cmp_ne_u16_e64 vcc_lo, 0, v164
	v_mov_b32_e32 v176, 0
	s_and_not1_b32 s14, s14, exec_lo
	s_delay_alu instid0(VALU_DEP_2) | instskip(NEXT) | instid1(SALU_CYCLE_1)
	s_and_b32 vcc_lo, vcc_lo, exec_lo
	s_or_b32 s14, s14, vcc_lo
	s_or_b32 exec_lo, exec_lo, s37
	s_and_saveexec_b32 s36, s14
	s_cbranch_execnz .LBB2_2256
	s_branch .LBB2_2257
.LBB2_2551:                             ;   in Loop: Header=BB2_2000 Depth=4
	s_mov_b32 s14, -1
	s_mov_b32 s38, exec_lo
                                        ; implicit-def: $sgpr36
	v_cmpx_eq_u16_e64 0x80, v164
; %bb.2552:                             ;   in Loop: Header=BB2_2000 Depth=4
	s_mov_b32 s36, 0x7f800001
	s_xor_b32 s14, exec_lo, -1
; %bb.2553:                             ;   in Loop: Header=BB2_2000 Depth=4
	s_or_b32 exec_lo, exec_lo, s38
	s_delay_alu instid0(SALU_CYCLE_1)
	s_and_b32 s14, s14, exec_lo
                                        ; implicit-def: $vgpr164
	s_or_saveexec_b32 s37, s37
	v_mov_b32_e32 v163, s36
	s_xor_b32 exec_lo, exec_lo, s37
	s_cbranch_execz .LBB2_2267
.LBB2_2554:                             ;   in Loop: Header=BB2_2000 Depth=4
	v_cmp_ne_u16_e64 vcc_lo, 0, v164
	v_mov_b32_e32 v163, 0
	s_and_not1_b32 s14, s14, exec_lo
	s_delay_alu instid0(VALU_DEP_2) | instskip(NEXT) | instid1(SALU_CYCLE_1)
	s_and_b32 vcc_lo, vcc_lo, exec_lo
	s_or_b32 s14, s14, vcc_lo
	s_or_b32 exec_lo, exec_lo, s37
	s_and_saveexec_b32 s36, s14
	s_cbranch_execnz .LBB2_2268
	s_branch .LBB2_2269
.LBB2_2555:                             ;   in Loop: Header=BB2_2000 Depth=4
	s_mov_b32 s14, -1
	s_mov_b32 s38, exec_lo
                                        ; implicit-def: $sgpr36
	v_cmpx_eq_u16_e64 0x80, v167
; %bb.2556:                             ;   in Loop: Header=BB2_2000 Depth=4
	s_mov_b32 s36, 0x7f800001
	s_xor_b32 s14, exec_lo, -1
; %bb.2557:                             ;   in Loop: Header=BB2_2000 Depth=4
	s_or_b32 exec_lo, exec_lo, s38
	s_delay_alu instid0(SALU_CYCLE_1)
	s_and_b32 s14, s14, exec_lo
                                        ; implicit-def: $vgpr167
	s_or_saveexec_b32 s37, s37
	v_mov_b32_e32 v164, s36
	s_xor_b32 exec_lo, exec_lo, s37
	s_cbranch_execz .LBB2_2271
.LBB2_2558:                             ;   in Loop: Header=BB2_2000 Depth=4
	v_cmp_ne_u16_e64 vcc_lo, 0, v167
	v_mov_b32_e32 v164, 0
	s_and_not1_b32 s14, s14, exec_lo
	s_delay_alu instid0(VALU_DEP_2) | instskip(NEXT) | instid1(SALU_CYCLE_1)
	s_and_b32 vcc_lo, vcc_lo, exec_lo
	s_or_b32 s14, s14, vcc_lo
	s_or_b32 exec_lo, exec_lo, s37
	s_and_saveexec_b32 s36, s14
	s_cbranch_execnz .LBB2_2272
	s_branch .LBB2_2273
.LBB2_2559:                             ;   in Loop: Header=BB2_2000 Depth=4
	s_mov_b32 s14, -1
	s_mov_b32 s38, exec_lo
                                        ; implicit-def: $sgpr36
	v_cmpx_eq_u16_e64 0x80, v167
; %bb.2560:                             ;   in Loop: Header=BB2_2000 Depth=4
	s_mov_b32 s36, 0x7f800001
	s_xor_b32 s14, exec_lo, -1
; %bb.2561:                             ;   in Loop: Header=BB2_2000 Depth=4
	s_or_b32 exec_lo, exec_lo, s38
	s_delay_alu instid0(SALU_CYCLE_1)
	s_and_b32 s14, s14, exec_lo
	s_or_saveexec_b32 s37, s37
	v_mov_b32_e32 v164, s36
	s_xor_b32 exec_lo, exec_lo, s37
	s_cbranch_execz .LBB2_2283
.LBB2_2562:                             ;   in Loop: Header=BB2_2000 Depth=4
	v_cmp_ne_u16_e64 vcc_lo, 0, v167
	v_mov_b32_e32 v164, 0
	s_and_not1_b32 s14, s14, exec_lo
	s_delay_alu instid0(VALU_DEP_2) | instskip(NEXT) | instid1(SALU_CYCLE_1)
	s_and_b32 vcc_lo, vcc_lo, exec_lo
	s_or_b32 s14, s14, vcc_lo
	s_or_b32 exec_lo, exec_lo, s37
	s_and_saveexec_b32 s36, s14
	s_cbranch_execnz .LBB2_2284
	s_branch .LBB2_2285
.LBB2_2563:                             ;   in Loop: Header=BB2_2000 Depth=4
	s_mov_b32 s14, -1
	s_mov_b32 s38, exec_lo
                                        ; implicit-def: $sgpr36
	v_cmpx_eq_u16_e64 0x80, v167
; %bb.2564:                             ;   in Loop: Header=BB2_2000 Depth=4
	s_mov_b32 s36, 0x7f800001
	s_xor_b32 s14, exec_lo, -1
; %bb.2565:                             ;   in Loop: Header=BB2_2000 Depth=4
	s_or_b32 exec_lo, exec_lo, s38
	s_delay_alu instid0(SALU_CYCLE_1)
	s_and_b32 s14, s14, exec_lo
	s_or_saveexec_b32 s37, s37
	v_mov_b32_e32 v176, s36
	s_xor_b32 exec_lo, exec_lo, s37
	s_cbranch_execz .LBB2_2287
.LBB2_2566:                             ;   in Loop: Header=BB2_2000 Depth=4
	v_cmp_ne_u16_e64 vcc_lo, 0, v167
	v_mov_b32_e32 v176, 0
	s_and_not1_b32 s14, s14, exec_lo
	s_delay_alu instid0(VALU_DEP_2) | instskip(NEXT) | instid1(SALU_CYCLE_1)
	s_and_b32 vcc_lo, vcc_lo, exec_lo
	s_or_b32 s14, s14, vcc_lo
	s_or_b32 exec_lo, exec_lo, s37
	s_and_saveexec_b32 s36, s14
	s_cbranch_execnz .LBB2_2288
	s_branch .LBB2_2289
.LBB2_2567:                             ;   in Loop: Header=BB2_2000 Depth=4
	s_mov_b32 s14, -1
	s_mov_b32 s38, exec_lo
                                        ; implicit-def: $sgpr36
	v_cmpx_eq_u16_e64 0x80, v167
; %bb.2568:                             ;   in Loop: Header=BB2_2000 Depth=4
	s_mov_b32 s36, 0x7f800001
	s_xor_b32 s14, exec_lo, -1
; %bb.2569:                             ;   in Loop: Header=BB2_2000 Depth=4
	s_or_b32 exec_lo, exec_lo, s38
	s_delay_alu instid0(SALU_CYCLE_1)
	s_and_b32 s14, s14, exec_lo
                                        ; implicit-def: $vgpr167
	s_or_saveexec_b32 s37, s37
	v_mov_b32_e32 v162, s36
	s_xor_b32 exec_lo, exec_lo, s37
	s_cbranch_execz .LBB2_2299
.LBB2_2570:                             ;   in Loop: Header=BB2_2000 Depth=4
	v_cmp_ne_u16_e64 vcc_lo, 0, v167
	v_mov_b32_e32 v162, 0
	s_and_not1_b32 s14, s14, exec_lo
	s_delay_alu instid0(VALU_DEP_2) | instskip(NEXT) | instid1(SALU_CYCLE_1)
	s_and_b32 vcc_lo, vcc_lo, exec_lo
	s_or_b32 s14, s14, vcc_lo
	s_or_b32 exec_lo, exec_lo, s37
	v_lshl_or_b32 v165, v165, 16, v166
	s_and_saveexec_b32 s36, s14
	s_cbranch_execnz .LBB2_2300
	s_branch .LBB2_2301
.LBB2_2571:                             ;   in Loop: Header=BB2_2000 Depth=4
	s_mov_b32 s14, -1
	s_mov_b32 s38, exec_lo
                                        ; implicit-def: $sgpr36
	v_cmpx_eq_u16_e64 0x80, v176
; %bb.2572:                             ;   in Loop: Header=BB2_2000 Depth=4
	s_mov_b32 s36, 0x7f800001
	s_xor_b32 s14, exec_lo, -1
; %bb.2573:                             ;   in Loop: Header=BB2_2000 Depth=4
	s_or_b32 exec_lo, exec_lo, s38
	s_delay_alu instid0(SALU_CYCLE_1)
	s_and_b32 s14, s14, exec_lo
                                        ; implicit-def: $vgpr176
	s_or_saveexec_b32 s37, s37
	v_mov_b32_e32 v167, s36
	s_xor_b32 exec_lo, exec_lo, s37
	s_cbranch_execz .LBB2_2303
.LBB2_2574:                             ;   in Loop: Header=BB2_2000 Depth=4
	v_cmp_ne_u16_e64 vcc_lo, 0, v176
	v_mov_b32_e32 v167, 0
	s_and_not1_b32 s14, s14, exec_lo
	s_delay_alu instid0(VALU_DEP_2) | instskip(NEXT) | instid1(SALU_CYCLE_1)
	s_and_b32 vcc_lo, vcc_lo, exec_lo
	s_or_b32 s14, s14, vcc_lo
	s_or_b32 exec_lo, exec_lo, s37
	s_and_saveexec_b32 s36, s14
	s_cbranch_execnz .LBB2_2304
	s_branch .LBB2_2305
.LBB2_2575:                             ;   in Loop: Header=BB2_2000 Depth=4
	s_mov_b32 s14, -1
	s_mov_b32 s38, exec_lo
                                        ; implicit-def: $sgpr36
	v_cmpx_eq_u16_e64 0x80, v167
; %bb.2576:                             ;   in Loop: Header=BB2_2000 Depth=4
	s_mov_b32 s36, 0x7f800001
	s_xor_b32 s14, exec_lo, -1
; %bb.2577:                             ;   in Loop: Header=BB2_2000 Depth=4
	s_or_b32 exec_lo, exec_lo, s38
	s_delay_alu instid0(SALU_CYCLE_1)
	s_and_b32 s14, s14, exec_lo
	s_or_saveexec_b32 s37, s37
	v_mov_b32_e32 v166, s36
	s_xor_b32 exec_lo, exec_lo, s37
	s_cbranch_execz .LBB2_2315
.LBB2_2578:                             ;   in Loop: Header=BB2_2000 Depth=4
	v_cmp_ne_u16_e64 vcc_lo, 0, v167
	v_mov_b32_e32 v166, 0
	s_and_not1_b32 s14, s14, exec_lo
	s_delay_alu instid0(VALU_DEP_2) | instskip(NEXT) | instid1(SALU_CYCLE_1)
	s_and_b32 vcc_lo, vcc_lo, exec_lo
	s_or_b32 s14, s14, vcc_lo
	s_or_b32 exec_lo, exec_lo, s37
	s_and_saveexec_b32 s36, s14
	s_cbranch_execnz .LBB2_2316
	s_branch .LBB2_2317
.LBB2_2579:                             ;   in Loop: Header=BB2_2000 Depth=4
	s_mov_b32 s14, -1
	s_mov_b32 s38, exec_lo
                                        ; implicit-def: $sgpr36
	v_cmpx_eq_u16_e64 0x80, v165
; %bb.2580:                             ;   in Loop: Header=BB2_2000 Depth=4
	s_mov_b32 s36, 0x7f800001
	s_xor_b32 s14, exec_lo, -1
; %bb.2581:                             ;   in Loop: Header=BB2_2000 Depth=4
	s_or_b32 exec_lo, exec_lo, s38
	s_delay_alu instid0(SALU_CYCLE_1)
	s_and_b32 s14, s14, exec_lo
	s_or_saveexec_b32 s37, s37
	v_mov_b32_e32 v167, s36
	s_xor_b32 exec_lo, exec_lo, s37
	s_cbranch_execz .LBB2_2319
.LBB2_2582:                             ;   in Loop: Header=BB2_2000 Depth=4
	v_cmp_ne_u16_e64 vcc_lo, 0, v165
	v_mov_b32_e32 v167, 0
	s_and_not1_b32 s14, s14, exec_lo
	s_delay_alu instid0(VALU_DEP_2) | instskip(NEXT) | instid1(SALU_CYCLE_1)
	s_and_b32 vcc_lo, vcc_lo, exec_lo
	s_or_b32 s14, s14, vcc_lo
	s_or_b32 exec_lo, exec_lo, s37
	s_and_saveexec_b32 s36, s14
	s_cbranch_execnz .LBB2_2320
	s_branch .LBB2_2321
.LBB2_2583:                             ;   in Loop: Header=BB2_2000 Depth=4
	s_mov_b32 s14, -1
	s_mov_b32 s38, exec_lo
                                        ; implicit-def: $sgpr36
	v_cmpx_eq_u16_e64 0x80, v166
; %bb.2584:                             ;   in Loop: Header=BB2_2000 Depth=4
	s_mov_b32 s36, 0x7f800001
	s_xor_b32 s14, exec_lo, -1
; %bb.2585:                             ;   in Loop: Header=BB2_2000 Depth=4
	s_or_b32 exec_lo, exec_lo, s38
	s_delay_alu instid0(SALU_CYCLE_1)
	s_and_b32 s14, s14, exec_lo
                                        ; implicit-def: $vgpr166
	s_or_saveexec_b32 s37, s37
	v_mov_b32_e32 v165, s36
	s_xor_b32 exec_lo, exec_lo, s37
	s_cbranch_execz .LBB2_2331
.LBB2_2586:                             ;   in Loop: Header=BB2_2000 Depth=4
	v_cmp_ne_u16_e64 vcc_lo, 0, v166
	v_mov_b32_e32 v165, 0
	s_and_not1_b32 s14, s14, exec_lo
	s_delay_alu instid0(VALU_DEP_2) | instskip(NEXT) | instid1(SALU_CYCLE_1)
	s_and_b32 vcc_lo, vcc_lo, exec_lo
	s_or_b32 s14, s14, vcc_lo
	s_or_b32 exec_lo, exec_lo, s37
	s_and_saveexec_b32 s36, s14
	s_cbranch_execnz .LBB2_2332
	s_branch .LBB2_2333
.LBB2_2587:                             ;   in Loop: Header=BB2_2000 Depth=4
	s_mov_b32 s14, -1
	s_mov_b32 s38, exec_lo
                                        ; implicit-def: $sgpr36
	v_cmpx_eq_u16_e64 0x80, v166
; %bb.2588:                             ;   in Loop: Header=BB2_2000 Depth=4
	s_mov_b32 s36, 0x7f800001
	s_xor_b32 s14, exec_lo, -1
; %bb.2589:                             ;   in Loop: Header=BB2_2000 Depth=4
	s_or_b32 exec_lo, exec_lo, s38
	s_delay_alu instid0(SALU_CYCLE_1)
	s_and_b32 s14, s14, exec_lo
                                        ; implicit-def: $vgpr166
	s_or_saveexec_b32 s37, s37
	v_mov_b32_e32 v160, s36
	s_xor_b32 exec_lo, exec_lo, s37
	s_cbranch_execz .LBB2_2335
.LBB2_2590:                             ;   in Loop: Header=BB2_2000 Depth=4
	v_cmp_ne_u16_e64 vcc_lo, 0, v166
	v_mov_b32_e32 v160, 0
	s_and_not1_b32 s14, s14, exec_lo
	s_delay_alu instid0(VALU_DEP_2) | instskip(NEXT) | instid1(SALU_CYCLE_1)
	s_and_b32 vcc_lo, vcc_lo, exec_lo
	s_or_b32 s14, s14, vcc_lo
	s_or_b32 exec_lo, exec_lo, s37
	s_and_saveexec_b32 s36, s14
	s_cbranch_execnz .LBB2_2336
	s_branch .LBB2_2337
.LBB2_2591:                             ;   in Loop: Header=BB2_2000 Depth=4
	s_mov_b32 s14, -1
	s_mov_b32 s38, exec_lo
                                        ; implicit-def: $sgpr36
	v_cmpx_eq_u16_e64 0x80, v166
; %bb.2592:                             ;   in Loop: Header=BB2_2000 Depth=4
	s_mov_b32 s36, 0x7f800001
	s_xor_b32 s14, exec_lo, -1
; %bb.2593:                             ;   in Loop: Header=BB2_2000 Depth=4
	s_or_b32 exec_lo, exec_lo, s38
	s_delay_alu instid0(SALU_CYCLE_1)
	s_and_b32 s14, s14, exec_lo
                                        ; implicit-def: $vgpr166
	s_or_saveexec_b32 s37, s37
	v_mov_b32_e32 v165, s36
	s_xor_b32 exec_lo, exec_lo, s37
	s_cbranch_execz .LBB2_2347
.LBB2_2594:                             ;   in Loop: Header=BB2_2000 Depth=4
	v_cmp_ne_u16_e64 vcc_lo, 0, v166
	v_mov_b32_e32 v165, 0
	s_and_not1_b32 s14, s14, exec_lo
	s_delay_alu instid0(VALU_DEP_2) | instskip(NEXT) | instid1(SALU_CYCLE_1)
	s_and_b32 vcc_lo, vcc_lo, exec_lo
	s_or_b32 s14, s14, vcc_lo
	s_or_b32 exec_lo, exec_lo, s37
	s_and_saveexec_b32 s36, s14
	s_cbranch_execnz .LBB2_2348
	s_branch .LBB2_2349
.LBB2_2595:                             ;   in Loop: Header=BB2_2000 Depth=4
	s_mov_b32 s14, -1
	s_mov_b32 s38, exec_lo
                                        ; implicit-def: $sgpr36
	v_cmpx_eq_u16_e64 0x80, v150
; %bb.2596:                             ;   in Loop: Header=BB2_2000 Depth=4
	s_mov_b32 s36, 0x7f800001
	s_xor_b32 s14, exec_lo, -1
; %bb.2597:                             ;   in Loop: Header=BB2_2000 Depth=4
	s_or_b32 exec_lo, exec_lo, s38
	s_delay_alu instid0(SALU_CYCLE_1)
	s_and_b32 s14, s14, exec_lo
	s_or_saveexec_b32 s37, s37
	v_mov_b32_e32 v166, s36
	s_xor_b32 exec_lo, exec_lo, s37
	s_cbranch_execz .LBB2_2351
.LBB2_2598:                             ;   in Loop: Header=BB2_2000 Depth=4
	v_cmp_ne_u16_e64 vcc_lo, 0, v150
	v_mov_b32_e32 v166, 0
	s_and_not1_b32 s14, s14, exec_lo
	s_delay_alu instid0(VALU_DEP_2) | instskip(NEXT) | instid1(SALU_CYCLE_1)
	s_and_b32 vcc_lo, vcc_lo, exec_lo
	s_or_b32 s14, s14, vcc_lo
	s_or_b32 exec_lo, exec_lo, s37
	s_and_saveexec_b32 s36, s14
	s_cbranch_execnz .LBB2_2352
	s_branch .LBB2_2353
.LBB2_2599:                             ;   in Loop: Header=BB2_2000 Depth=4
	s_mov_b32 s14, -1
	s_mov_b32 s38, exec_lo
                                        ; implicit-def: $sgpr36
	v_cmpx_eq_u16_e64 0x80, v166
; %bb.2600:                             ;   in Loop: Header=BB2_2000 Depth=4
	s_mov_b32 s36, 0x7f800001
	s_xor_b32 s14, exec_lo, -1
; %bb.2601:                             ;   in Loop: Header=BB2_2000 Depth=4
	s_or_b32 exec_lo, exec_lo, s38
	s_delay_alu instid0(SALU_CYCLE_1)
	s_and_b32 s14, s14, exec_lo
                                        ; implicit-def: $vgpr166
	s_or_saveexec_b32 s37, s37
	v_mov_b32_e32 v165, s36
	s_xor_b32 exec_lo, exec_lo, s37
	s_cbranch_execz .LBB2_2363
.LBB2_2602:                             ;   in Loop: Header=BB2_2000 Depth=4
	v_cmp_ne_u16_e64 vcc_lo, 0, v166
	v_mov_b32_e32 v165, 0
	s_and_not1_b32 s14, s14, exec_lo
	s_delay_alu instid0(VALU_DEP_2) | instskip(NEXT) | instid1(SALU_CYCLE_1)
	s_and_b32 vcc_lo, vcc_lo, exec_lo
	s_or_b32 s14, s14, vcc_lo
	s_or_b32 exec_lo, exec_lo, s37
	s_and_saveexec_b32 s36, s14
	s_cbranch_execnz .LBB2_2364
	s_branch .LBB2_2365
.LBB2_2603:                             ;   in Loop: Header=BB2_2000 Depth=4
	s_mov_b32 s14, -1
	s_mov_b32 s38, exec_lo
                                        ; implicit-def: $sgpr36
	v_cmpx_eq_u16_e64 0x80, v167
; %bb.2604:                             ;   in Loop: Header=BB2_2000 Depth=4
	s_mov_b32 s36, 0x7f800001
	s_xor_b32 s14, exec_lo, -1
; %bb.2605:                             ;   in Loop: Header=BB2_2000 Depth=4
	s_or_b32 exec_lo, exec_lo, s38
	s_delay_alu instid0(SALU_CYCLE_1)
	s_and_b32 s14, s14, exec_lo
                                        ; implicit-def: $vgpr167
	s_or_saveexec_b32 s37, s37
	v_mov_b32_e32 v166, s36
	s_xor_b32 exec_lo, exec_lo, s37
	s_cbranch_execz .LBB2_2367
.LBB2_2606:                             ;   in Loop: Header=BB2_2000 Depth=4
	v_cmp_ne_u16_e64 vcc_lo, 0, v167
	v_mov_b32_e32 v166, 0
	s_and_not1_b32 s14, s14, exec_lo
	s_delay_alu instid0(VALU_DEP_2) | instskip(NEXT) | instid1(SALU_CYCLE_1)
	s_and_b32 vcc_lo, vcc_lo, exec_lo
	s_or_b32 s14, s14, vcc_lo
	s_or_b32 exec_lo, exec_lo, s37
	s_and_saveexec_b32 s36, s14
	s_cbranch_execnz .LBB2_2368
	s_branch .LBB2_2369
.LBB2_2607:                             ;   in Loop: Header=BB2_2000 Depth=4
	s_mov_b32 s14, -1
	s_mov_b32 s38, exec_lo
                                        ; implicit-def: $sgpr36
	v_cmpx_eq_u16_e64 0x80, v166
; %bb.2608:                             ;   in Loop: Header=BB2_2000 Depth=4
	s_mov_b32 s36, 0x7f800001
	s_xor_b32 s14, exec_lo, -1
; %bb.2609:                             ;   in Loop: Header=BB2_2000 Depth=4
	s_or_b32 exec_lo, exec_lo, s38
	s_delay_alu instid0(SALU_CYCLE_1)
	s_and_b32 s14, s14, exec_lo
	s_or_saveexec_b32 s37, s37
	v_mov_b32_e32 v165, s36
	s_xor_b32 exec_lo, exec_lo, s37
	s_cbranch_execz .LBB2_2379
.LBB2_2610:                             ;   in Loop: Header=BB2_2000 Depth=4
	v_cmp_ne_u16_e64 vcc_lo, 0, v166
	v_mov_b32_e32 v165, 0
	s_and_not1_b32 s14, s14, exec_lo
	s_delay_alu instid0(VALU_DEP_2) | instskip(NEXT) | instid1(SALU_CYCLE_1)
	s_and_b32 vcc_lo, vcc_lo, exec_lo
	s_or_b32 s14, s14, vcc_lo
	s_or_b32 exec_lo, exec_lo, s37
	s_and_saveexec_b32 s36, s14
	s_cbranch_execnz .LBB2_2380
	s_branch .LBB2_2381
.LBB2_2611:                             ;   in Loop: Header=BB2_2000 Depth=4
	s_mov_b32 s14, -1
	s_mov_b32 s38, exec_lo
                                        ; implicit-def: $sgpr36
	v_cmpx_eq_u16_e64 0x80, v146
; %bb.2612:                             ;   in Loop: Header=BB2_2000 Depth=4
	s_mov_b32 s36, 0x7f800001
	s_xor_b32 s14, exec_lo, -1
; %bb.2613:                             ;   in Loop: Header=BB2_2000 Depth=4
	s_or_b32 exec_lo, exec_lo, s38
	s_delay_alu instid0(SALU_CYCLE_1)
	s_and_b32 s14, s14, exec_lo
	s_or_saveexec_b32 s37, s37
	v_mov_b32_e32 v166, s36
	s_xor_b32 exec_lo, exec_lo, s37
	s_cbranch_execz .LBB2_2383
.LBB2_2614:                             ;   in Loop: Header=BB2_2000 Depth=4
	v_cmp_ne_u16_e64 vcc_lo, 0, v146
	v_mov_b32_e32 v166, 0
	s_and_not1_b32 s14, s14, exec_lo
	s_delay_alu instid0(VALU_DEP_2) | instskip(NEXT) | instid1(SALU_CYCLE_1)
	s_and_b32 vcc_lo, vcc_lo, exec_lo
	s_or_b32 s14, s14, vcc_lo
	s_or_b32 exec_lo, exec_lo, s37
	s_and_saveexec_b32 s36, s14
	s_cbranch_execnz .LBB2_2384
	s_branch .LBB2_2385
.LBB2_2615:                             ;   in Loop: Header=BB2_2000 Depth=4
	s_mov_b32 s14, -1
	s_mov_b32 s38, exec_lo
                                        ; implicit-def: $sgpr36
	v_cmpx_eq_u16_e64 0x80, v151
; %bb.2616:                             ;   in Loop: Header=BB2_2000 Depth=4
	s_mov_b32 s36, 0x7f800001
	s_xor_b32 s14, exec_lo, -1
; %bb.2617:                             ;   in Loop: Header=BB2_2000 Depth=4
	s_or_b32 exec_lo, exec_lo, s38
	s_delay_alu instid0(SALU_CYCLE_1)
	s_and_b32 s14, s14, exec_lo
                                        ; implicit-def: $vgpr151
	s_or_saveexec_b32 s37, s37
	v_mov_b32_e32 v145, s36
	s_xor_b32 exec_lo, exec_lo, s37
	s_cbranch_execz .LBB2_2395
.LBB2_2618:                             ;   in Loop: Header=BB2_2000 Depth=4
	v_cmp_ne_u16_e64 vcc_lo, 0, v151
	v_mov_b32_e32 v145, 0
	s_and_not1_b32 s14, s14, exec_lo
	s_delay_alu instid0(VALU_DEP_2) | instskip(NEXT) | instid1(SALU_CYCLE_1)
	s_and_b32 vcc_lo, vcc_lo, exec_lo
	s_or_b32 s14, s14, vcc_lo
	s_or_b32 exec_lo, exec_lo, s37
	s_and_saveexec_b32 s36, s14
	s_cbranch_execnz .LBB2_2396
	s_branch .LBB2_2397
.LBB2_2619:                             ;   in Loop: Header=BB2_2000 Depth=4
	s_mov_b32 s14, -1
	s_mov_b32 s38, exec_lo
                                        ; implicit-def: $sgpr36
	v_cmpx_eq_u16_e64 0x80, v165
; %bb.2620:                             ;   in Loop: Header=BB2_2000 Depth=4
	s_mov_b32 s36, 0x7f800001
	s_xor_b32 s14, exec_lo, -1
; %bb.2621:                             ;   in Loop: Header=BB2_2000 Depth=4
	s_or_b32 exec_lo, exec_lo, s38
	s_delay_alu instid0(SALU_CYCLE_1)
	s_and_b32 s14, s14, exec_lo
                                        ; implicit-def: $vgpr165
	s_or_saveexec_b32 s37, s37
	v_mov_b32_e32 v151, s36
	s_xor_b32 exec_lo, exec_lo, s37
	s_cbranch_execz .LBB2_2399
.LBB2_2622:                             ;   in Loop: Header=BB2_2000 Depth=4
	v_cmp_ne_u16_e64 vcc_lo, 0, v165
	v_mov_b32_e32 v151, 0
	s_and_not1_b32 s14, s14, exec_lo
	s_delay_alu instid0(VALU_DEP_2) | instskip(NEXT) | instid1(SALU_CYCLE_1)
	s_and_b32 vcc_lo, vcc_lo, exec_lo
	s_or_b32 s14, s14, vcc_lo
	s_or_b32 exec_lo, exec_lo, s37
	s_and_saveexec_b32 s36, s14
	s_cbranch_execnz .LBB2_2400
	s_branch .LBB2_2401
.LBB2_2623:                             ;   in Loop: Header=BB2_2000 Depth=4
	s_mov_b32 s14, -1
	s_mov_b32 s38, exec_lo
                                        ; implicit-def: $sgpr36
	v_cmpx_eq_u16_e64 0x80, v165
; %bb.2624:                             ;   in Loop: Header=BB2_2000 Depth=4
	s_mov_b32 s36, 0x7f800001
	s_xor_b32 s14, exec_lo, -1
; %bb.2625:                             ;   in Loop: Header=BB2_2000 Depth=4
	s_or_b32 exec_lo, exec_lo, s38
	s_delay_alu instid0(SALU_CYCLE_1)
	s_and_b32 s14, s14, exec_lo
	s_or_saveexec_b32 s37, s37
	v_mov_b32_e32 v151, s36
	s_xor_b32 exec_lo, exec_lo, s37
	s_cbranch_execz .LBB2_2411
.LBB2_2626:                             ;   in Loop: Header=BB2_2000 Depth=4
	v_cmp_ne_u16_e64 vcc_lo, 0, v165
	v_mov_b32_e32 v151, 0
	s_and_not1_b32 s14, s14, exec_lo
	s_delay_alu instid0(VALU_DEP_2) | instskip(NEXT) | instid1(SALU_CYCLE_1)
	s_and_b32 vcc_lo, vcc_lo, exec_lo
	s_or_b32 s14, s14, vcc_lo
	s_or_b32 exec_lo, exec_lo, s37
	s_and_saveexec_b32 s36, s14
	s_cbranch_execnz .LBB2_2412
	s_branch .LBB2_2413
.LBB2_2627:                             ;   in Loop: Header=BB2_2000 Depth=4
	s_mov_b32 s14, -1
	s_mov_b32 s38, exec_lo
                                        ; implicit-def: $sgpr36
	v_cmpx_eq_u16_e64 0x80, v165
; %bb.2628:                             ;   in Loop: Header=BB2_2000 Depth=4
	s_mov_b32 s36, 0x7f800001
	s_xor_b32 s14, exec_lo, -1
; %bb.2629:                             ;   in Loop: Header=BB2_2000 Depth=4
	s_or_b32 exec_lo, exec_lo, s38
	s_delay_alu instid0(SALU_CYCLE_1)
	s_and_b32 s14, s14, exec_lo
	s_or_saveexec_b32 s37, s37
	v_mov_b32_e32 v166, s36
	s_xor_b32 exec_lo, exec_lo, s37
	s_cbranch_execz .LBB2_2415
.LBB2_2630:                             ;   in Loop: Header=BB2_2000 Depth=4
	v_cmp_ne_u16_e64 vcc_lo, 0, v165
	v_mov_b32_e32 v166, 0
	s_and_not1_b32 s14, s14, exec_lo
	s_delay_alu instid0(VALU_DEP_2) | instskip(NEXT) | instid1(SALU_CYCLE_1)
	s_and_b32 vcc_lo, vcc_lo, exec_lo
	s_or_b32 s14, s14, vcc_lo
	s_or_b32 exec_lo, exec_lo, s37
	s_and_saveexec_b32 s36, s14
	s_cbranch_execnz .LBB2_2416
	s_branch .LBB2_2417
.LBB2_2631:                             ;   in Loop: Header=BB2_2000 Depth=4
	s_mov_b32 s14, -1
	s_mov_b32 s38, exec_lo
                                        ; implicit-def: $sgpr36
	v_cmpx_eq_u16_e64 0x80, v165
; %bb.2632:                             ;   in Loop: Header=BB2_2000 Depth=4
	s_mov_b32 s36, 0x7f800001
	s_xor_b32 s14, exec_lo, -1
; %bb.2633:                             ;   in Loop: Header=BB2_2000 Depth=4
	s_or_b32 exec_lo, exec_lo, s38
	s_delay_alu instid0(SALU_CYCLE_1)
	s_and_b32 s14, s14, exec_lo
                                        ; implicit-def: $vgpr165
	s_or_saveexec_b32 s37, s37
	v_mov_b32_e32 v144, s36
	s_xor_b32 exec_lo, exec_lo, s37
	s_cbranch_execz .LBB2_2427
.LBB2_2634:                             ;   in Loop: Header=BB2_2000 Depth=4
	v_cmp_ne_u16_e64 vcc_lo, 0, v165
	v_mov_b32_e32 v144, 0
	s_and_not1_b32 s14, s14, exec_lo
	s_delay_alu instid0(VALU_DEP_2) | instskip(NEXT) | instid1(SALU_CYCLE_1)
	s_and_b32 vcc_lo, vcc_lo, exec_lo
	s_or_b32 s14, s14, vcc_lo
	s_or_b32 exec_lo, exec_lo, s37
	v_lshl_or_b32 v146, v148, 16, v146
	s_and_saveexec_b32 s36, s14
	s_cbranch_execnz .LBB2_2428
	s_branch .LBB2_2429
.LBB2_2635:                             ;   in Loop: Header=BB2_2000 Depth=4
	s_mov_b32 s14, -1
	s_mov_b32 s38, exec_lo
                                        ; implicit-def: $sgpr36
	v_cmpx_eq_u16_e64 0x80, v166
; %bb.2636:                             ;   in Loop: Header=BB2_2000 Depth=4
	s_mov_b32 s36, 0x7f800001
	s_xor_b32 s14, exec_lo, -1
; %bb.2637:                             ;   in Loop: Header=BB2_2000 Depth=4
	s_or_b32 exec_lo, exec_lo, s38
	s_delay_alu instid0(SALU_CYCLE_1)
	s_and_b32 s14, s14, exec_lo
                                        ; implicit-def: $vgpr166
	s_or_saveexec_b32 s37, s37
	v_mov_b32_e32 v165, s36
	s_xor_b32 exec_lo, exec_lo, s37
	s_cbranch_execz .LBB2_2431
.LBB2_2638:                             ;   in Loop: Header=BB2_2000 Depth=4
	v_cmp_ne_u16_e64 vcc_lo, 0, v166
	v_mov_b32_e32 v165, 0
	s_and_not1_b32 s14, s14, exec_lo
	s_delay_alu instid0(VALU_DEP_2) | instskip(NEXT) | instid1(SALU_CYCLE_1)
	s_and_b32 vcc_lo, vcc_lo, exec_lo
	s_or_b32 s14, s14, vcc_lo
	s_or_b32 exec_lo, exec_lo, s37
	s_and_saveexec_b32 s36, s14
	s_cbranch_execnz .LBB2_2432
	s_branch .LBB2_2433
.LBB2_2639:                             ;   in Loop: Header=BB2_2000 Depth=4
	s_mov_b32 s14, -1
	s_mov_b32 s38, exec_lo
                                        ; implicit-def: $sgpr36
	v_cmpx_eq_u16_e64 0x80, v165
; %bb.2640:                             ;   in Loop: Header=BB2_2000 Depth=4
	s_mov_b32 s36, 0x7f800001
	s_xor_b32 s14, exec_lo, -1
; %bb.2641:                             ;   in Loop: Header=BB2_2000 Depth=4
	s_or_b32 exec_lo, exec_lo, s38
	s_delay_alu instid0(SALU_CYCLE_1)
	s_and_b32 s14, s14, exec_lo
	s_or_saveexec_b32 s37, s37
	v_mov_b32_e32 v148, s36
	s_xor_b32 exec_lo, exec_lo, s37
	s_cbranch_execz .LBB2_2443
.LBB2_2642:                             ;   in Loop: Header=BB2_2000 Depth=4
	v_cmp_ne_u16_e64 vcc_lo, 0, v165
	v_mov_b32_e32 v148, 0
	s_and_not1_b32 s14, s14, exec_lo
	s_delay_alu instid0(VALU_DEP_2) | instskip(NEXT) | instid1(SALU_CYCLE_1)
	s_and_b32 vcc_lo, vcc_lo, exec_lo
	s_or_b32 s14, s14, vcc_lo
	s_or_b32 exec_lo, exec_lo, s37
	s_and_saveexec_b32 s36, s14
	s_cbranch_execnz .LBB2_2444
	s_branch .LBB2_2445
.LBB2_2643:                             ;   in Loop: Header=BB2_2000 Depth=4
	s_mov_b32 s14, -1
	s_mov_b32 s38, exec_lo
                                        ; implicit-def: $sgpr36
	v_cmpx_eq_u16_e64 0x80, v146
; %bb.2644:                             ;   in Loop: Header=BB2_2000 Depth=4
	s_mov_b32 s36, 0x7f800001
	s_xor_b32 s14, exec_lo, -1
; %bb.2645:                             ;   in Loop: Header=BB2_2000 Depth=4
	s_or_b32 exec_lo, exec_lo, s38
	s_delay_alu instid0(SALU_CYCLE_1)
	s_and_b32 s14, s14, exec_lo
	s_or_saveexec_b32 s37, s37
	v_mov_b32_e32 v165, s36
	s_xor_b32 exec_lo, exec_lo, s37
	s_cbranch_execz .LBB2_2447
.LBB2_2646:                             ;   in Loop: Header=BB2_2000 Depth=4
	v_cmp_ne_u16_e64 vcc_lo, 0, v146
	v_mov_b32_e32 v165, 0
	s_and_not1_b32 s14, s14, exec_lo
	s_delay_alu instid0(VALU_DEP_2) | instskip(NEXT) | instid1(SALU_CYCLE_1)
	s_and_b32 vcc_lo, vcc_lo, exec_lo
	s_or_b32 s14, s14, vcc_lo
	s_or_b32 exec_lo, exec_lo, s37
	s_and_saveexec_b32 s36, s14
	s_cbranch_execnz .LBB2_2448
	s_branch .LBB2_2449
.LBB2_2647:                             ;   in Loop: Header=BB2_1255 Depth=3
	s_or_b32 exec_lo, exec_lo, s34
.LBB2_2648:                             ;   in Loop: Header=BB2_1255 Depth=3
	s_delay_alu instid0(SALU_CYCLE_1) | instskip(SKIP_3) | instid1(VALU_DEP_1)
	s_or_b32 exec_lo, exec_lo, s31
	v_dual_mov_b32 v66, 0 :: v_dual_and_b32 v9, 15, v128
	s_mov_b32 s14, 0
	s_mov_b32 s31, exec_lo
                                        ; implicit-def: $vgpr133
                                        ; implicit-def: $vgpr8
	v_cndmask_b32_e64 v67, v129, v9, s13
	s_delay_alu instid0(VALU_DEP_1)
	v_cmpx_ne_u32_e32 0, v67
	s_cbranch_execz .LBB2_2650
; %bb.2649:                             ;   in Loop: Header=BB2_1255 Depth=3
	v_cmp_lt_i32_e32 vcc_lo, 0, v132
	v_sub_nc_u32_e32 v9, v129, v9
	s_mov_b32 s14, exec_lo
	v_cndmask_b32_e32 v8, 0, v71, vcc_lo
	s_delay_alu instid0(VALU_DEP_2) | instskip(NEXT) | instid1(VALU_DEP_2)
	v_cndmask_b32_e64 v9, 0, v9, s13
	v_sub_nc_u32_e32 v8, v8, v132
	s_delay_alu instid0(VALU_DEP_2) | instskip(NEXT) | instid1(VALU_DEP_2)
	v_add3_u32 v66, v130, v2, v9
	v_lshl_add_u32 v133, v8, 5, v131
	s_delay_alu instid0(VALU_DEP_1) | instskip(NEXT) | instid1(VALU_DEP_1)
	v_ashrrev_i32_e32 v8, 31, v133
	v_lshrrev_b32_e32 v8, 27, v8
	s_delay_alu instid0(VALU_DEP_1) | instskip(NEXT) | instid1(VALU_DEP_1)
	v_add_nc_u32_e32 v8, v133, v8
	v_ashrrev_i32_e32 v8, 5, v8
.LBB2_2650:                             ;   in Loop: Header=BB2_1255 Depth=3
	s_or_b32 exec_lo, exec_lo, s31
	s_delay_alu instid0(SALU_CYCLE_1)
	s_and_b32 s31, s14, exec_lo
.LBB2_2651:                             ;   in Loop: Header=BB2_1255 Depth=3
	s_or_b32 exec_lo, exec_lo, s30
.LBB2_2652:                             ;   in Loop: Header=BB2_1255 Depth=3
	s_and_saveexec_b32 s14, s31
	s_cbranch_execz .LBB2_3044
; %bb.2653:                             ;   in Loop: Header=BB2_1255 Depth=3
	s_delay_alu instid0(VALU_DEP_1) | instskip(SKIP_1) | instid1(VALU_DEP_1)
	v_ashrrev_i32_e32 v2, 31, v67
	s_mov_b32 s30, exec_lo
	v_lshrrev_b32_e32 v2, 24, v2
	s_delay_alu instid0(VALU_DEP_1) | instskip(NEXT) | instid1(VALU_DEP_1)
	v_add_nc_u32_e32 v2, v67, v2
	v_ashrrev_i32_e32 v128, 8, v2
	s_delay_alu instid0(VALU_DEP_1) | instskip(NEXT) | instid1(VALU_DEP_1)
	v_sub_nc_u32_e32 v2, v128, v8
	v_cmpx_lt_i32_e32 0, v2
	s_cbranch_execz .LBB2_2988
; %bb.2654:                             ;   in Loop: Header=BB2_1255 Depth=3
	s_cbranch_execz .LBB2_2655
; %bb.8093:
	s_getpc_b64 s[48:49]
.Lpost_getpc79:
	s_add_u32 s48, s48, (.LBB2_7645-.Lpost_getpc79)&4294967295
	s_addc_u32 s49, s49, (.LBB2_7645-.Lpost_getpc79)>>32
	s_setpc_b64 s[48:49]
.LBB2_2655:                             ;   in Loop: Header=BB2_1255 Depth=3
	v_ashrrev_i32_e32 v9, 31, v133
	v_lshlrev_b32_e32 v8, 8, v8
	s_mov_b32 s31, 0
	ds_load_b128 v[129:132], v0
	v_lshrrev_b32_e32 v9, 27, v9
	s_delay_alu instid0(VALU_DEP_1) | instskip(SKIP_2) | instid1(VALU_DEP_1)
	v_add_nc_u32_e32 v11, v133, v9
	ds_load_b64 v[9:10], v0
	v_and_b32_e32 v11, 0xffffffe0, v11
	v_sub_nc_u32_e32 v11, v133, v11
	s_delay_alu instid0(VALU_DEP_1) | instskip(NEXT) | instid1(VALU_DEP_1)
	v_add3_u32 v54, v66, v11, v8
	v_ashrrev_i32_e32 v55, 31, v54
	s_waitcnt lgkmcnt(0)
	v_add_co_u32 v64, vcc_lo, 0xe0, v9
	v_add_co_ci_u32_e32 v65, vcc_lo, 0, v10, vcc_lo
	v_add_co_u32 v8, vcc_lo, v129, v54
	v_add_co_ci_u32_e32 v9, vcc_lo, v130, v55, vcc_lo
	v_add_co_u32 v10, vcc_lo, v131, v54
	v_add_co_ci_u32_e32 v11, vcc_lo, v132, v55, vcc_lo
	v_add_co_u32 v54, vcc_lo, v64, v54
	v_add_co_ci_u32_e32 v55, vcc_lo, v65, v55, vcc_lo
.LBB2_2656:                             ;   Parent Loop BB2_51 Depth=1
                                        ;     Parent Loop BB2_1253 Depth=2
                                        ;       Parent Loop BB2_1255 Depth=3
                                        ; =>      This Inner Loop Header: Depth=4
	s_cbranch_execz .LBB2_2657
; %bb.8095:
	s_getpc_b64 s[48:49]
.Lpost_getpc80:
	s_add_u32 s48, s48, (.LBB2_7649-.Lpost_getpc80)&4294967295
	s_addc_u32 s49, s49, (.LBB2_7649-.Lpost_getpc80)>>32
	s_setpc_b64 s[48:49]
.LBB2_2657:                             ;   in Loop: Header=BB2_2656 Depth=4
	ds_load_b64 v[64:65], v0
	s_waitcnt lgkmcnt(0)
	v_and_b32_e32 v65, 0xff, v64
	v_readfirstlane_b32 s13, v64
	s_delay_alu instid0(VALU_DEP_2)
	v_cmp_gt_i16_e32 vcc_lo, 0x80, v65
	s_cbranch_vccnz .LBB2_2661
; %bb.2658:                             ;   in Loop: Header=BB2_2656 Depth=4
	v_cmp_eq_u16_e32 vcc_lo, 0x80, v65
	s_mov_b32 s34, -1
                                        ; implicit-def: $sgpr35
	s_cbranch_vccz .LBB2_2660
; %bb.2659:                             ;   in Loop: Header=BB2_2656 Depth=4
	s_mov_b32 s34, 0
	s_mov_b32 s35, 0x7f800001
.LBB2_2660:                             ;   in Loop: Header=BB2_2656 Depth=4
	s_mov_b32 vcc_lo, 0
	s_branch .LBB2_2662
.LBB2_2661:                             ;   in Loop: Header=BB2_2656 Depth=4
	s_mov_b32 vcc_lo, -1
	s_mov_b32 s34, 0
                                        ; implicit-def: $sgpr35
.LBB2_2662:                             ;   in Loop: Header=BB2_2656 Depth=4
	s_and_b32 vcc_lo, exec_lo, vcc_lo
	s_cbranch_vccz .LBB2_2664
; %bb.2663:                             ;   in Loop: Header=BB2_2656 Depth=4
	v_cmp_ne_u16_e64 s34, 0, v65
	s_mov_b32 s35, 0
.LBB2_2664:                             ;   in Loop: Header=BB2_2656 Depth=4
	s_delay_alu instid0(SALU_CYCLE_1) | instskip(NEXT) | instid1(VALU_DEP_2)
	v_mov_b32_e32 v65, s35
	s_and_not1_b32 vcc_lo, exec_lo, s34
	s_cbranch_vccnz .LBB2_2666
; %bb.2665:                             ;   in Loop: Header=BB2_2656 Depth=4
	s_and_b32 vcc_lo, s13, 3
	s_bfe_u32 s35, s13, 0x50002
	s_clz_i32_u32 s34, vcc_lo
	v_lshlrev_b32_e32 v64, 24, v64
	s_min_u32 s34, s34, 32
	s_delay_alu instid0(SALU_CYCLE_1)
	s_sub_i32 s36, s34, 29
	s_sub_i32 s34, 30, s34
	s_lshl_b32 s13, s13, s36
	v_and_b32_e32 v64, 0x80000000, v64
	s_and_b32 s13, s13, 3
	s_cmp_eq_u32 s35, 0
	s_cselect_b32 s34, s34, s35
	s_cselect_b32 s13, s13, vcc_lo
	s_lshl_b32 vcc_lo, s34, 23
	s_lshl_b32 s13, s13, 21
	s_add_i32 vcc_lo, vcc_lo, 0x37800000
	s_delay_alu instid0(SALU_CYCLE_1) | instskip(NEXT) | instid1(VALU_DEP_1)
	v_or_b32_e32 v64, vcc_lo, v64
	v_or_b32_e32 v65, s13, v64
.LBB2_2666:                             ;   in Loop: Header=BB2_2656 Depth=4
	flat_load_u8 v64, v[8:9] slc dlc
	s_mov_b32 s13, 0
	s_mov_b32 s35, exec_lo
                                        ; implicit-def: $sgpr34
	s_waitcnt vmcnt(0) lgkmcnt(0)
	v_cmpx_lt_i16_e32 0x7f, v64
	s_xor_b32 s35, exec_lo, s35
	s_cbranch_execnz .LBB2_2891
; %bb.2667:                             ;   in Loop: Header=BB2_2656 Depth=4
	s_or_saveexec_b32 s35, s35
	v_mov_b32_e32 v129, s34
	s_xor_b32 exec_lo, exec_lo, s35
	s_cbranch_execnz .LBB2_2894
.LBB2_2668:                             ;   in Loop: Header=BB2_2656 Depth=4
	s_or_b32 exec_lo, exec_lo, s35
	s_and_saveexec_b32 s34, s13
	s_cbranch_execz .LBB2_2670
.LBB2_2669:                             ;   in Loop: Header=BB2_2656 Depth=4
	v_and_b32_e32 v129, 0xffff, v64
	v_lshlrev_b32_e32 v64, 24, v64
	s_delay_alu instid0(VALU_DEP_2) | instskip(NEXT) | instid1(VALU_DEP_2)
	v_and_b32_e32 v130, 3, v129
	v_and_b32_e32 v64, 0x80000000, v64
	s_delay_alu instid0(VALU_DEP_2) | instskip(NEXT) | instid1(VALU_DEP_1)
	v_clz_i32_u32_e32 v131, v130
	v_min_u32_e32 v131, 32, v131
	s_delay_alu instid0(VALU_DEP_1) | instskip(SKIP_1) | instid1(VALU_DEP_2)
	v_subrev_nc_u32_e32 v132, 29, v131
	v_sub_nc_u32_e32 v131, 30, v131
	v_lshlrev_b32_e32 v132, v132, v129
	v_bfe_u32 v129, v129, 2, 5
	s_delay_alu instid0(VALU_DEP_2) | instskip(NEXT) | instid1(VALU_DEP_2)
	v_and_b32_e32 v132, 3, v132
	v_cmp_eq_u32_e32 vcc_lo, 0, v129
	s_delay_alu instid0(VALU_DEP_2) | instskip(NEXT) | instid1(VALU_DEP_1)
	v_dual_cndmask_b32 v129, v129, v131 :: v_dual_cndmask_b32 v130, v130, v132
	v_lshl_add_u32 v129, v129, 23, 0x37800000
	s_delay_alu instid0(VALU_DEP_2) | instskip(NEXT) | instid1(VALU_DEP_1)
	v_lshlrev_b32_e32 v130, 21, v130
	v_or3_b32 v129, v64, v129, v130
.LBB2_2670:                             ;   in Loop: Header=BB2_2656 Depth=4
	s_or_b32 exec_lo, exec_lo, s34
	s_delay_alu instid0(VALU_DEP_1) | instskip(NEXT) | instid1(VALU_DEP_1)
	v_mul_f32_e32 v64, v65, v129
	v_and_b32_e32 v129, 0x7f800000, v64
	s_delay_alu instid0(VALU_DEP_1)
	v_cmp_ne_u32_e32 vcc_lo, 0x7f800000, v129
	v_mov_b32_e32 v129, 0x80
	s_and_saveexec_b32 s34, vcc_lo
	s_cbranch_execz .LBB2_2678
; %bb.2671:                             ;   in Loop: Header=BB2_2656 Depth=4
	v_mov_b32_e32 v129, 0
	s_mov_b32 s35, exec_lo
	v_cmpx_ne_u32_e32 0, v64
	s_cbranch_execz .LBB2_2677
; %bb.2672:                             ;   in Loop: Header=BB2_2656 Depth=4
	v_bfe_u32 v129, v64, 23, 8
	s_delay_alu instid0(VALU_DEP_1) | instskip(SKIP_1) | instid1(VALU_DEP_2)
	v_sub_nc_u32_e32 v131, 0x70, v129
	v_cmp_gt_u32_e32 vcc_lo, 0x71, v129
	v_dual_cndmask_b32 v131, 0, v131 :: v_dual_and_b32 v130, 0x7fffff, v64
	s_delay_alu instid0(VALU_DEP_1) | instskip(SKIP_2) | instid1(VALU_DEP_4)
	v_or_b32_e32 v132, 0x800000, v130
	v_cmp_eq_u32_e32 vcc_lo, 0, v129
	v_add_nc_u32_e32 v129, 0xffffff91, v129
	v_cndmask_b32_e64 v131, v131, 0x6f, vcc_lo
	s_delay_alu instid0(VALU_DEP_4) | instskip(NEXT) | instid1(VALU_DEP_3)
	v_cndmask_b32_e32 v130, v132, v130, vcc_lo
	v_cndmask_b32_e64 v129, v129, 0xffffff92, vcc_lo
	s_delay_alu instid0(VALU_DEP_3) | instskip(NEXT) | instid1(VALU_DEP_3)
	v_lshl_add_u32 v132, 0x200000, v131, -1
	v_lshrrev_b32_e32 v134, v131, v130
	v_lshlrev_b32_e64 v144, v131, 0x100000
	s_delay_alu instid0(VALU_DEP_4) | instskip(NEXT) | instid1(VALU_DEP_4)
	v_add_nc_u32_e32 v131, v131, v129
	v_and_b32_e32 v130, v132, v130
	s_delay_alu instid0(VALU_DEP_4) | instskip(NEXT) | instid1(VALU_DEP_2)
	v_bfe_u32 v135, v134, 21, 1
	v_cmp_eq_u32_e64 s13, v130, v144
	s_delay_alu instid0(VALU_DEP_2) | instskip(NEXT) | instid1(VALU_DEP_1)
	v_add_nc_u32_e32 v132, -1, v135
	v_cndmask_b32_e64 v130, 0, v132, s13
	v_lshrrev_b32_e32 v132, 23, v134
	s_mov_b32 s13, exec_lo
	s_delay_alu instid0(VALU_DEP_2) | instskip(NEXT) | instid1(VALU_DEP_2)
	v_add_nc_u32_e32 v130, v130, v134
	v_xor_b32_e32 v132, 1, v132
	s_delay_alu instid0(VALU_DEP_2) | instskip(NEXT) | instid1(VALU_DEP_1)
	v_and_b32_e32 v129, 0x1fffff, v130
	v_add_nc_u32_e32 v130, v129, v134
                                        ; implicit-def: $vgpr129
	s_delay_alu instid0(VALU_DEP_3)
	v_cmpx_ne_u32_e64 v131, v132
	s_xor_b32 s13, exec_lo, s13
; %bb.2673:                             ;   in Loop: Header=BB2_2656 Depth=4
	s_delay_alu instid0(VALU_DEP_2) | instskip(SKIP_2) | instid1(VALU_DEP_2)
	v_cmp_lt_u32_e32 vcc_lo, 0xffffff, v130
	v_sub_nc_u32_e32 v129, v131, v132
	v_cndmask_b32_e64 v131, 0, 1, vcc_lo
	v_add_co_ci_u32_e32 v129, vcc_lo, 0, v129, vcc_lo
	s_delay_alu instid0(VALU_DEP_2)
	v_lshrrev_b32_e32 v130, v131, v130
; %bb.2674:                             ;   in Loop: Header=BB2_2656 Depth=4
	s_and_not1_saveexec_b32 s13, s13
; %bb.2675:                             ;   in Loop: Header=BB2_2656 Depth=4
	s_delay_alu instid0(VALU_DEP_1)
	v_bfe_u32 v129, v130, 23, 1
; %bb.2676:                             ;   in Loop: Header=BB2_2656 Depth=4
	s_or_b32 exec_lo, exec_lo, s13
	v_lshrrev_b32_e32 v130, 21, v130
	s_delay_alu instid0(VALU_DEP_2) | instskip(SKIP_2) | instid1(VALU_DEP_2)
	v_cmp_gt_i32_e32 vcc_lo, 32, v129
	v_min_i32_e32 v131, 31, v129
	v_lshrrev_b32_e32 v64, 24, v64
	v_dual_cndmask_b32 v130, 3, v130 :: v_dual_lshlrev_b32 v131, 2, v131
	s_delay_alu instid0(VALU_DEP_2) | instskip(NEXT) | instid1(VALU_DEP_2)
	v_and_b32_e32 v64, 0x80, v64
	v_or_b32_e32 v129, v129, v130
	s_delay_alu instid0(VALU_DEP_1) | instskip(SKIP_1) | instid1(VALU_DEP_1)
	v_cmp_ne_u32_e32 vcc_lo, 0, v129
	v_and_b32_e32 v132, 3, v130
	v_or3_b32 v64, v131, v64, v132
	s_delay_alu instid0(VALU_DEP_1)
	v_cndmask_b32_e32 v129, 0, v64, vcc_lo
.LBB2_2677:                             ;   in Loop: Header=BB2_2656 Depth=4
	s_or_b32 exec_lo, exec_lo, s35
.LBB2_2678:                             ;   in Loop: Header=BB2_2656 Depth=4
	s_delay_alu instid0(SALU_CYCLE_1)
	s_or_b32 exec_lo, exec_lo, s34
	flat_load_u8 v64, v[8:9] offset:32 slc dlc
	s_mov_b32 s13, 0
	s_mov_b32 s35, exec_lo
                                        ; implicit-def: $sgpr34
	s_waitcnt vmcnt(0) lgkmcnt(0)
	v_cmpx_lt_i16_e32 0x7f, v64
	s_xor_b32 s35, exec_lo, s35
	s_cbranch_execnz .LBB2_2895
; %bb.2679:                             ;   in Loop: Header=BB2_2656 Depth=4
	s_or_saveexec_b32 s35, s35
	v_mov_b32_e32 v130, s34
	s_xor_b32 exec_lo, exec_lo, s35
	s_cbranch_execnz .LBB2_2898
.LBB2_2680:                             ;   in Loop: Header=BB2_2656 Depth=4
	s_or_b32 exec_lo, exec_lo, s35
	s_and_saveexec_b32 s34, s13
	s_cbranch_execz .LBB2_2682
.LBB2_2681:                             ;   in Loop: Header=BB2_2656 Depth=4
	v_and_b32_e32 v130, 0xffff, v64
	v_lshlrev_b32_e32 v64, 24, v64
	s_delay_alu instid0(VALU_DEP_2) | instskip(NEXT) | instid1(VALU_DEP_2)
	v_and_b32_e32 v131, 3, v130
	v_and_b32_e32 v64, 0x80000000, v64
	s_delay_alu instid0(VALU_DEP_2) | instskip(NEXT) | instid1(VALU_DEP_1)
	v_clz_i32_u32_e32 v132, v131
	v_min_u32_e32 v132, 32, v132
	s_delay_alu instid0(VALU_DEP_1) | instskip(SKIP_1) | instid1(VALU_DEP_2)
	v_subrev_nc_u32_e32 v134, 29, v132
	v_sub_nc_u32_e32 v132, 30, v132
	v_lshlrev_b32_e32 v134, v134, v130
	v_bfe_u32 v130, v130, 2, 5
	s_delay_alu instid0(VALU_DEP_2) | instskip(NEXT) | instid1(VALU_DEP_2)
	v_and_b32_e32 v134, 3, v134
	v_cmp_eq_u32_e32 vcc_lo, 0, v130
	s_delay_alu instid0(VALU_DEP_2) | instskip(NEXT) | instid1(VALU_DEP_1)
	v_dual_cndmask_b32 v130, v130, v132 :: v_dual_cndmask_b32 v131, v131, v134
	v_lshl_add_u32 v130, v130, 23, 0x37800000
	s_delay_alu instid0(VALU_DEP_2) | instskip(NEXT) | instid1(VALU_DEP_1)
	v_lshlrev_b32_e32 v131, 21, v131
	v_or3_b32 v130, v64, v130, v131
.LBB2_2682:                             ;   in Loop: Header=BB2_2656 Depth=4
	s_or_b32 exec_lo, exec_lo, s34
	s_delay_alu instid0(VALU_DEP_1) | instskip(SKIP_1) | instid1(VALU_DEP_1)
	v_dual_mul_f32 v64, v65, v130 :: v_dual_mov_b32 v135, 0x80
	s_mov_b32 s34, exec_lo
	v_and_b32_e32 v130, 0x7f800000, v64
	s_delay_alu instid0(VALU_DEP_1)
	v_cmpx_ne_u32_e32 0x7f800000, v130
	s_cbranch_execz .LBB2_2690
; %bb.2683:                             ;   in Loop: Header=BB2_2656 Depth=4
	v_mov_b32_e32 v135, 0
	s_mov_b32 s35, exec_lo
	v_cmpx_ne_u32_e32 0, v64
	s_cbranch_execz .LBB2_2689
; %bb.2684:                             ;   in Loop: Header=BB2_2656 Depth=4
	v_bfe_u32 v130, v64, 23, 8
	v_and_b32_e32 v131, 0x7fffff, v64
	s_delay_alu instid0(VALU_DEP_2) | instskip(SKIP_1) | instid1(VALU_DEP_3)
	v_sub_nc_u32_e32 v132, 0x70, v130
	v_cmp_gt_u32_e32 vcc_lo, 0x71, v130
	v_or_b32_e32 v134, 0x800000, v131
	s_delay_alu instid0(VALU_DEP_3) | instskip(SKIP_1) | instid1(VALU_DEP_3)
	v_cndmask_b32_e32 v132, 0, v132, vcc_lo
	v_cmp_eq_u32_e32 vcc_lo, 0, v130
	v_dual_cndmask_b32 v131, v134, v131 :: v_dual_add_nc_u32 v130, 0xffffff91, v130
	s_delay_alu instid0(VALU_DEP_3) | instskip(NEXT) | instid1(VALU_DEP_2)
	v_cndmask_b32_e64 v132, v132, 0x6f, vcc_lo
	v_cndmask_b32_e64 v130, v130, 0xffffff92, vcc_lo
	s_delay_alu instid0(VALU_DEP_2) | instskip(SKIP_2) | instid1(VALU_DEP_4)
	v_lshrrev_b32_e32 v135, v132, v131
	v_lshl_add_u32 v134, 0x200000, v132, -1
	v_lshlrev_b32_e64 v145, v132, 0x100000
	v_add_nc_u32_e32 v132, v132, v130
	s_delay_alu instid0(VALU_DEP_4) | instskip(NEXT) | instid1(VALU_DEP_4)
	v_bfe_u32 v144, v135, 21, 1
	v_and_b32_e32 v131, v134, v131
	s_delay_alu instid0(VALU_DEP_2) | instskip(NEXT) | instid1(VALU_DEP_2)
	v_add_nc_u32_e32 v134, -1, v144
	v_cmp_eq_u32_e64 s13, v131, v145
	s_delay_alu instid0(VALU_DEP_1) | instskip(SKIP_2) | instid1(VALU_DEP_2)
	v_cndmask_b32_e64 v131, 0, v134, s13
	v_lshrrev_b32_e32 v134, 23, v135
	s_mov_b32 s13, exec_lo
	v_add_nc_u32_e32 v131, v131, v135
	s_delay_alu instid0(VALU_DEP_2) | instskip(NEXT) | instid1(VALU_DEP_2)
	v_xor_b32_e32 v134, 1, v134
	v_and_b32_e32 v130, 0x1fffff, v131
	s_delay_alu instid0(VALU_DEP_1) | instskip(NEXT) | instid1(VALU_DEP_3)
	v_add_nc_u32_e32 v131, v130, v135
                                        ; implicit-def: $vgpr130
	v_cmpx_ne_u32_e64 v132, v134
	s_xor_b32 s13, exec_lo, s13
; %bb.2685:                             ;   in Loop: Header=BB2_2656 Depth=4
	s_delay_alu instid0(VALU_DEP_2) | instskip(SKIP_2) | instid1(VALU_DEP_2)
	v_cmp_lt_u32_e32 vcc_lo, 0xffffff, v131
	v_sub_nc_u32_e32 v130, v132, v134
	v_cndmask_b32_e64 v132, 0, 1, vcc_lo
	v_add_co_ci_u32_e32 v130, vcc_lo, 0, v130, vcc_lo
	s_delay_alu instid0(VALU_DEP_2)
	v_lshrrev_b32_e32 v131, v132, v131
; %bb.2686:                             ;   in Loop: Header=BB2_2656 Depth=4
	s_and_not1_saveexec_b32 s13, s13
; %bb.2687:                             ;   in Loop: Header=BB2_2656 Depth=4
	s_delay_alu instid0(VALU_DEP_1)
	v_bfe_u32 v130, v131, 23, 1
; %bb.2688:                             ;   in Loop: Header=BB2_2656 Depth=4
	s_or_b32 exec_lo, exec_lo, s13
	v_lshrrev_b32_e32 v131, 21, v131
	s_delay_alu instid0(VALU_DEP_2) | instskip(SKIP_2) | instid1(VALU_DEP_2)
	v_cmp_gt_i32_e32 vcc_lo, 32, v130
	v_lshrrev_b32_e32 v64, 24, v64
	v_min_i32_e32 v132, 31, v130
	v_dual_cndmask_b32 v131, 3, v131 :: v_dual_and_b32 v64, 0x80, v64
	s_delay_alu instid0(VALU_DEP_2) | instskip(NEXT) | instid1(VALU_DEP_2)
	v_lshlrev_b32_e32 v132, 2, v132
	v_or_b32_e32 v130, v130, v131
	s_delay_alu instid0(VALU_DEP_1) | instskip(SKIP_1) | instid1(VALU_DEP_1)
	v_cmp_ne_u32_e32 vcc_lo, 0, v130
	v_and_b32_e32 v134, 3, v131
	v_or3_b32 v64, v132, v64, v134
	s_delay_alu instid0(VALU_DEP_1)
	v_cndmask_b32_e32 v135, 0, v64, vcc_lo
.LBB2_2689:                             ;   in Loop: Header=BB2_2656 Depth=4
	s_or_b32 exec_lo, exec_lo, s35
.LBB2_2690:                             ;   in Loop: Header=BB2_2656 Depth=4
	s_delay_alu instid0(SALU_CYCLE_1)
	s_or_b32 exec_lo, exec_lo, s34
	flat_load_u8 v64, v[8:9] offset:64 slc dlc
	s_mov_b32 s13, 0
	s_mov_b32 s35, exec_lo
                                        ; implicit-def: $sgpr34
	s_waitcnt vmcnt(0) lgkmcnt(0)
	v_cmpx_lt_i16_e32 0x7f, v64
	s_xor_b32 s35, exec_lo, s35
	s_cbranch_execnz .LBB2_2899
; %bb.2691:                             ;   in Loop: Header=BB2_2656 Depth=4
	s_or_saveexec_b32 s35, s35
	v_mov_b32_e32 v130, s34
	s_xor_b32 exec_lo, exec_lo, s35
	s_cbranch_execnz .LBB2_2902
.LBB2_2692:                             ;   in Loop: Header=BB2_2656 Depth=4
	s_or_b32 exec_lo, exec_lo, s35
	s_and_saveexec_b32 s34, s13
	s_cbranch_execz .LBB2_2694
.LBB2_2693:                             ;   in Loop: Header=BB2_2656 Depth=4
	v_and_b32_e32 v130, 0xffff, v64
	v_lshlrev_b32_e32 v64, 24, v64
	s_delay_alu instid0(VALU_DEP_2) | instskip(NEXT) | instid1(VALU_DEP_2)
	v_and_b32_e32 v131, 3, v130
	v_and_b32_e32 v64, 0x80000000, v64
	s_delay_alu instid0(VALU_DEP_2) | instskip(NEXT) | instid1(VALU_DEP_1)
	v_clz_i32_u32_e32 v132, v131
	v_min_u32_e32 v132, 32, v132
	s_delay_alu instid0(VALU_DEP_1) | instskip(SKIP_1) | instid1(VALU_DEP_2)
	v_subrev_nc_u32_e32 v134, 29, v132
	v_sub_nc_u32_e32 v132, 30, v132
	v_lshlrev_b32_e32 v134, v134, v130
	v_bfe_u32 v130, v130, 2, 5
	s_delay_alu instid0(VALU_DEP_2) | instskip(NEXT) | instid1(VALU_DEP_2)
	v_and_b32_e32 v134, 3, v134
	v_cmp_eq_u32_e32 vcc_lo, 0, v130
	s_delay_alu instid0(VALU_DEP_2) | instskip(NEXT) | instid1(VALU_DEP_1)
	v_dual_cndmask_b32 v130, v130, v132 :: v_dual_cndmask_b32 v131, v131, v134
	v_lshl_add_u32 v130, v130, 23, 0x37800000
	s_delay_alu instid0(VALU_DEP_2) | instskip(NEXT) | instid1(VALU_DEP_1)
	v_lshlrev_b32_e32 v131, 21, v131
	v_or3_b32 v130, v64, v130, v131
.LBB2_2694:                             ;   in Loop: Header=BB2_2656 Depth=4
	s_or_b32 exec_lo, exec_lo, s34
	s_delay_alu instid0(VALU_DEP_1) | instskip(SKIP_1) | instid1(VALU_DEP_1)
	v_dual_mul_f32 v64, v65, v130 :: v_dual_mov_b32 v145, 0x80
	s_mov_b32 s34, exec_lo
	v_and_b32_e32 v130, 0x7f800000, v64
	s_delay_alu instid0(VALU_DEP_1)
	v_cmpx_ne_u32_e32 0x7f800000, v130
	s_cbranch_execz .LBB2_2702
; %bb.2695:                             ;   in Loop: Header=BB2_2656 Depth=4
	v_mov_b32_e32 v145, 0
	s_mov_b32 s35, exec_lo
	v_cmpx_ne_u32_e32 0, v64
	s_cbranch_execz .LBB2_2701
; %bb.2696:                             ;   in Loop: Header=BB2_2656 Depth=4
	v_bfe_u32 v130, v64, 23, 8
	v_and_b32_e32 v131, 0x7fffff, v64
	s_delay_alu instid0(VALU_DEP_2) | instskip(SKIP_1) | instid1(VALU_DEP_3)
	v_sub_nc_u32_e32 v132, 0x70, v130
	v_cmp_gt_u32_e32 vcc_lo, 0x71, v130
	v_or_b32_e32 v134, 0x800000, v131
	s_delay_alu instid0(VALU_DEP_3) | instskip(SKIP_1) | instid1(VALU_DEP_3)
	v_cndmask_b32_e32 v132, 0, v132, vcc_lo
	v_cmp_eq_u32_e32 vcc_lo, 0, v130
	v_dual_cndmask_b32 v131, v134, v131 :: v_dual_add_nc_u32 v130, 0xffffff91, v130
	s_delay_alu instid0(VALU_DEP_3) | instskip(NEXT) | instid1(VALU_DEP_2)
	v_cndmask_b32_e64 v132, v132, 0x6f, vcc_lo
	v_cndmask_b32_e64 v130, v130, 0xffffff92, vcc_lo
	s_delay_alu instid0(VALU_DEP_2) | instskip(SKIP_2) | instid1(VALU_DEP_4)
	v_lshrrev_b32_e32 v144, v132, v131
	v_lshl_add_u32 v134, 0x200000, v132, -1
	v_lshlrev_b32_e64 v146, v132, 0x100000
	v_add_nc_u32_e32 v132, v132, v130
	s_delay_alu instid0(VALU_DEP_4) | instskip(NEXT) | instid1(VALU_DEP_4)
	v_bfe_u32 v145, v144, 21, 1
	v_and_b32_e32 v131, v134, v131
	s_delay_alu instid0(VALU_DEP_2) | instskip(NEXT) | instid1(VALU_DEP_2)
	v_add_nc_u32_e32 v134, -1, v145
	v_cmp_eq_u32_e64 s13, v131, v146
	s_delay_alu instid0(VALU_DEP_1) | instskip(SKIP_2) | instid1(VALU_DEP_2)
	v_cndmask_b32_e64 v131, 0, v134, s13
	v_lshrrev_b32_e32 v134, 23, v144
	s_mov_b32 s13, exec_lo
	v_add_nc_u32_e32 v131, v131, v144
	s_delay_alu instid0(VALU_DEP_2) | instskip(NEXT) | instid1(VALU_DEP_2)
	v_xor_b32_e32 v134, 1, v134
	v_and_b32_e32 v130, 0x1fffff, v131
	s_delay_alu instid0(VALU_DEP_1) | instskip(NEXT) | instid1(VALU_DEP_3)
	v_add_nc_u32_e32 v131, v130, v144
                                        ; implicit-def: $vgpr130
	v_cmpx_ne_u32_e64 v132, v134
	s_xor_b32 s13, exec_lo, s13
; %bb.2697:                             ;   in Loop: Header=BB2_2656 Depth=4
	s_delay_alu instid0(VALU_DEP_2) | instskip(SKIP_2) | instid1(VALU_DEP_2)
	v_cmp_lt_u32_e32 vcc_lo, 0xffffff, v131
	v_sub_nc_u32_e32 v130, v132, v134
	v_cndmask_b32_e64 v132, 0, 1, vcc_lo
	v_add_co_ci_u32_e32 v130, vcc_lo, 0, v130, vcc_lo
	s_delay_alu instid0(VALU_DEP_2)
	v_lshrrev_b32_e32 v131, v132, v131
; %bb.2698:                             ;   in Loop: Header=BB2_2656 Depth=4
	s_and_not1_saveexec_b32 s13, s13
; %bb.2699:                             ;   in Loop: Header=BB2_2656 Depth=4
	s_delay_alu instid0(VALU_DEP_1)
	v_bfe_u32 v130, v131, 23, 1
; %bb.2700:                             ;   in Loop: Header=BB2_2656 Depth=4
	s_or_b32 exec_lo, exec_lo, s13
	v_lshrrev_b32_e32 v131, 21, v131
	s_delay_alu instid0(VALU_DEP_2) | instskip(SKIP_2) | instid1(VALU_DEP_2)
	v_cmp_gt_i32_e32 vcc_lo, 32, v130
	v_lshrrev_b32_e32 v64, 24, v64
	v_min_i32_e32 v132, 31, v130
	v_dual_cndmask_b32 v131, 3, v131 :: v_dual_and_b32 v64, 0x80, v64
	s_delay_alu instid0(VALU_DEP_2) | instskip(NEXT) | instid1(VALU_DEP_2)
	v_lshlrev_b32_e32 v132, 2, v132
	v_or_b32_e32 v130, v130, v131
	s_delay_alu instid0(VALU_DEP_1) | instskip(SKIP_1) | instid1(VALU_DEP_1)
	v_cmp_ne_u32_e32 vcc_lo, 0, v130
	v_and_b32_e32 v134, 3, v131
	v_or3_b32 v64, v132, v64, v134
	s_delay_alu instid0(VALU_DEP_1)
	v_cndmask_b32_e32 v145, 0, v64, vcc_lo
.LBB2_2701:                             ;   in Loop: Header=BB2_2656 Depth=4
	s_or_b32 exec_lo, exec_lo, s35
.LBB2_2702:                             ;   in Loop: Header=BB2_2656 Depth=4
	s_delay_alu instid0(SALU_CYCLE_1)
	s_or_b32 exec_lo, exec_lo, s34
	flat_load_u8 v64, v[8:9] offset:96 slc dlc
	s_mov_b32 s13, 0
	s_mov_b32 s35, exec_lo
                                        ; implicit-def: $sgpr34
	s_waitcnt vmcnt(0) lgkmcnt(0)
	v_cmpx_lt_i16_e32 0x7f, v64
	s_xor_b32 s35, exec_lo, s35
	s_cbranch_execnz .LBB2_2903
; %bb.2703:                             ;   in Loop: Header=BB2_2656 Depth=4
	s_or_saveexec_b32 s35, s35
	v_mov_b32_e32 v130, s34
	s_xor_b32 exec_lo, exec_lo, s35
	s_cbranch_execnz .LBB2_2906
.LBB2_2704:                             ;   in Loop: Header=BB2_2656 Depth=4
	s_or_b32 exec_lo, exec_lo, s35
	s_and_saveexec_b32 s34, s13
	s_cbranch_execz .LBB2_2706
.LBB2_2705:                             ;   in Loop: Header=BB2_2656 Depth=4
	v_and_b32_e32 v130, 0xffff, v64
	v_lshlrev_b32_e32 v64, 24, v64
	s_delay_alu instid0(VALU_DEP_2) | instskip(NEXT) | instid1(VALU_DEP_2)
	v_and_b32_e32 v131, 3, v130
	v_and_b32_e32 v64, 0x80000000, v64
	s_delay_alu instid0(VALU_DEP_2) | instskip(NEXT) | instid1(VALU_DEP_1)
	v_clz_i32_u32_e32 v132, v131
	v_min_u32_e32 v132, 32, v132
	s_delay_alu instid0(VALU_DEP_1) | instskip(SKIP_1) | instid1(VALU_DEP_2)
	v_subrev_nc_u32_e32 v134, 29, v132
	v_sub_nc_u32_e32 v132, 30, v132
	v_lshlrev_b32_e32 v134, v134, v130
	v_bfe_u32 v130, v130, 2, 5
	s_delay_alu instid0(VALU_DEP_2) | instskip(NEXT) | instid1(VALU_DEP_2)
	v_and_b32_e32 v134, 3, v134
	v_cmp_eq_u32_e32 vcc_lo, 0, v130
	s_delay_alu instid0(VALU_DEP_2) | instskip(NEXT) | instid1(VALU_DEP_1)
	v_dual_cndmask_b32 v130, v130, v132 :: v_dual_cndmask_b32 v131, v131, v134
	v_lshl_add_u32 v130, v130, 23, 0x37800000
	s_delay_alu instid0(VALU_DEP_2) | instskip(NEXT) | instid1(VALU_DEP_1)
	v_lshlrev_b32_e32 v131, 21, v131
	v_or3_b32 v130, v64, v130, v131
.LBB2_2706:                             ;   in Loop: Header=BB2_2656 Depth=4
	s_or_b32 exec_lo, exec_lo, s34
	s_delay_alu instid0(VALU_DEP_1) | instskip(SKIP_2) | instid1(VALU_DEP_2)
	v_mul_f32_e32 v64, v65, v130
	v_mov_b32_e32 v144, 0x80
	s_mov_b32 s34, exec_lo
	v_and_b32_e32 v130, 0x7f800000, v64
	s_delay_alu instid0(VALU_DEP_1)
	v_cmpx_ne_u32_e32 0x7f800000, v130
	s_cbranch_execz .LBB2_2714
; %bb.2707:                             ;   in Loop: Header=BB2_2656 Depth=4
	v_mov_b32_e32 v144, 0
	s_mov_b32 s35, exec_lo
	v_cmpx_ne_u32_e32 0, v64
	s_cbranch_execz .LBB2_2713
; %bb.2708:                             ;   in Loop: Header=BB2_2656 Depth=4
	v_bfe_u32 v130, v64, 23, 8
	v_and_b32_e32 v131, 0x7fffff, v64
	s_delay_alu instid0(VALU_DEP_2) | instskip(SKIP_1) | instid1(VALU_DEP_3)
	v_sub_nc_u32_e32 v132, 0x70, v130
	v_cmp_gt_u32_e32 vcc_lo, 0x71, v130
	v_or_b32_e32 v134, 0x800000, v131
	s_delay_alu instid0(VALU_DEP_3) | instskip(SKIP_1) | instid1(VALU_DEP_3)
	v_cndmask_b32_e32 v132, 0, v132, vcc_lo
	v_cmp_eq_u32_e32 vcc_lo, 0, v130
	v_dual_cndmask_b32 v131, v134, v131 :: v_dual_add_nc_u32 v130, 0xffffff91, v130
	s_delay_alu instid0(VALU_DEP_3) | instskip(NEXT) | instid1(VALU_DEP_2)
	v_cndmask_b32_e64 v132, v132, 0x6f, vcc_lo
	v_cndmask_b32_e64 v130, v130, 0xffffff92, vcc_lo
	s_delay_alu instid0(VALU_DEP_2) | instskip(SKIP_2) | instid1(VALU_DEP_4)
	v_lshrrev_b32_e32 v144, v132, v131
	v_lshl_add_u32 v134, 0x200000, v132, -1
	v_lshlrev_b32_e64 v147, v132, 0x100000
	v_add_nc_u32_e32 v132, v132, v130
	s_delay_alu instid0(VALU_DEP_4) | instskip(NEXT) | instid1(VALU_DEP_4)
	v_bfe_u32 v146, v144, 21, 1
	v_and_b32_e32 v131, v134, v131
	s_delay_alu instid0(VALU_DEP_2) | instskip(NEXT) | instid1(VALU_DEP_2)
	v_add_nc_u32_e32 v134, -1, v146
	v_cmp_eq_u32_e64 s13, v131, v147
	s_delay_alu instid0(VALU_DEP_1) | instskip(SKIP_2) | instid1(VALU_DEP_2)
	v_cndmask_b32_e64 v131, 0, v134, s13
	v_lshrrev_b32_e32 v134, 23, v144
	s_mov_b32 s13, exec_lo
	v_add_nc_u32_e32 v131, v131, v144
	s_delay_alu instid0(VALU_DEP_2) | instskip(NEXT) | instid1(VALU_DEP_2)
	v_xor_b32_e32 v134, 1, v134
	v_and_b32_e32 v130, 0x1fffff, v131
	s_delay_alu instid0(VALU_DEP_1) | instskip(NEXT) | instid1(VALU_DEP_3)
	v_add_nc_u32_e32 v131, v130, v144
                                        ; implicit-def: $vgpr130
	v_cmpx_ne_u32_e64 v132, v134
	s_xor_b32 s13, exec_lo, s13
; %bb.2709:                             ;   in Loop: Header=BB2_2656 Depth=4
	s_delay_alu instid0(VALU_DEP_2) | instskip(SKIP_2) | instid1(VALU_DEP_2)
	v_cmp_lt_u32_e32 vcc_lo, 0xffffff, v131
	v_sub_nc_u32_e32 v130, v132, v134
	v_cndmask_b32_e64 v132, 0, 1, vcc_lo
	v_add_co_ci_u32_e32 v130, vcc_lo, 0, v130, vcc_lo
	s_delay_alu instid0(VALU_DEP_2)
	v_lshrrev_b32_e32 v131, v132, v131
; %bb.2710:                             ;   in Loop: Header=BB2_2656 Depth=4
	s_and_not1_saveexec_b32 s13, s13
; %bb.2711:                             ;   in Loop: Header=BB2_2656 Depth=4
	s_delay_alu instid0(VALU_DEP_1)
	v_bfe_u32 v130, v131, 23, 1
; %bb.2712:                             ;   in Loop: Header=BB2_2656 Depth=4
	s_or_b32 exec_lo, exec_lo, s13
	v_lshrrev_b32_e32 v131, 21, v131
	s_delay_alu instid0(VALU_DEP_2) | instskip(SKIP_2) | instid1(VALU_DEP_2)
	v_cmp_gt_i32_e32 vcc_lo, 32, v130
	v_lshrrev_b32_e32 v64, 24, v64
	v_min_i32_e32 v132, 31, v130
	v_dual_cndmask_b32 v131, 3, v131 :: v_dual_and_b32 v64, 0x80, v64
	s_delay_alu instid0(VALU_DEP_2) | instskip(NEXT) | instid1(VALU_DEP_2)
	v_lshlrev_b32_e32 v132, 2, v132
	v_and_b32_e32 v134, 3, v131
	v_or_b32_e32 v130, v130, v131
	s_delay_alu instid0(VALU_DEP_2) | instskip(NEXT) | instid1(VALU_DEP_2)
	v_or3_b32 v64, v132, v64, v134
	v_cmp_ne_u32_e32 vcc_lo, 0, v130
	s_delay_alu instid0(VALU_DEP_2)
	v_cndmask_b32_e32 v144, 0, v64, vcc_lo
.LBB2_2713:                             ;   in Loop: Header=BB2_2656 Depth=4
	s_or_b32 exec_lo, exec_lo, s35
.LBB2_2714:                             ;   in Loop: Header=BB2_2656 Depth=4
	s_delay_alu instid0(SALU_CYCLE_1)
	s_or_b32 exec_lo, exec_lo, s34
	flat_load_u8 v64, v[8:9] offset:128 slc dlc
	s_mov_b32 s13, 0
	s_mov_b32 s35, exec_lo
                                        ; implicit-def: $sgpr34
	s_waitcnt vmcnt(0) lgkmcnt(0)
	v_cmpx_lt_i16_e32 0x7f, v64
	s_xor_b32 s35, exec_lo, s35
	s_cbranch_execnz .LBB2_2907
; %bb.2715:                             ;   in Loop: Header=BB2_2656 Depth=4
	s_or_saveexec_b32 s35, s35
	v_mov_b32_e32 v130, s34
	s_xor_b32 exec_lo, exec_lo, s35
	s_cbranch_execnz .LBB2_2910
.LBB2_2716:                             ;   in Loop: Header=BB2_2656 Depth=4
	s_or_b32 exec_lo, exec_lo, s35
	s_and_saveexec_b32 s34, s13
	s_cbranch_execz .LBB2_2718
.LBB2_2717:                             ;   in Loop: Header=BB2_2656 Depth=4
	v_and_b32_e32 v130, 0xffff, v64
	v_lshlrev_b32_e32 v64, 24, v64
	s_delay_alu instid0(VALU_DEP_2) | instskip(NEXT) | instid1(VALU_DEP_2)
	v_and_b32_e32 v131, 3, v130
	v_and_b32_e32 v64, 0x80000000, v64
	s_delay_alu instid0(VALU_DEP_2) | instskip(NEXT) | instid1(VALU_DEP_1)
	v_clz_i32_u32_e32 v132, v131
	v_min_u32_e32 v132, 32, v132
	s_delay_alu instid0(VALU_DEP_1) | instskip(SKIP_1) | instid1(VALU_DEP_2)
	v_subrev_nc_u32_e32 v134, 29, v132
	v_sub_nc_u32_e32 v132, 30, v132
	v_lshlrev_b32_e32 v134, v134, v130
	v_bfe_u32 v130, v130, 2, 5
	s_delay_alu instid0(VALU_DEP_2) | instskip(NEXT) | instid1(VALU_DEP_2)
	v_and_b32_e32 v134, 3, v134
	v_cmp_eq_u32_e32 vcc_lo, 0, v130
	s_delay_alu instid0(VALU_DEP_2) | instskip(NEXT) | instid1(VALU_DEP_1)
	v_dual_cndmask_b32 v130, v130, v132 :: v_dual_cndmask_b32 v131, v131, v134
	v_lshl_add_u32 v130, v130, 23, 0x37800000
	s_delay_alu instid0(VALU_DEP_2) | instskip(NEXT) | instid1(VALU_DEP_1)
	v_lshlrev_b32_e32 v131, 21, v131
	v_or3_b32 v130, v64, v130, v131
.LBB2_2718:                             ;   in Loop: Header=BB2_2656 Depth=4
	s_or_b32 exec_lo, exec_lo, s34
	s_delay_alu instid0(VALU_DEP_1) | instskip(SKIP_2) | instid1(VALU_DEP_2)
	v_mul_f32_e32 v64, v65, v130
	v_mov_b32_e32 v134, 0x80
	s_mov_b32 s34, exec_lo
	v_and_b32_e32 v130, 0x7f800000, v64
	s_delay_alu instid0(VALU_DEP_1)
	v_cmpx_ne_u32_e32 0x7f800000, v130
	s_cbranch_execz .LBB2_2726
; %bb.2719:                             ;   in Loop: Header=BB2_2656 Depth=4
	v_mov_b32_e32 v134, 0
	s_mov_b32 s35, exec_lo
	v_cmpx_ne_u32_e32 0, v64
	s_cbranch_execz .LBB2_2725
; %bb.2720:                             ;   in Loop: Header=BB2_2656 Depth=4
	v_bfe_u32 v130, v64, 23, 8
	v_and_b32_e32 v131, 0x7fffff, v64
	s_delay_alu instid0(VALU_DEP_2) | instskip(SKIP_1) | instid1(VALU_DEP_3)
	v_sub_nc_u32_e32 v132, 0x70, v130
	v_cmp_gt_u32_e32 vcc_lo, 0x71, v130
	v_or_b32_e32 v134, 0x800000, v131
	s_delay_alu instid0(VALU_DEP_3) | instskip(SKIP_1) | instid1(VALU_DEP_3)
	v_cndmask_b32_e32 v132, 0, v132, vcc_lo
	v_cmp_eq_u32_e32 vcc_lo, 0, v130
	v_dual_cndmask_b32 v131, v134, v131 :: v_dual_add_nc_u32 v130, 0xffffff91, v130
	s_delay_alu instid0(VALU_DEP_3) | instskip(NEXT) | instid1(VALU_DEP_2)
	v_cndmask_b32_e64 v132, v132, 0x6f, vcc_lo
	v_cndmask_b32_e64 v130, v130, 0xffffff92, vcc_lo
	s_delay_alu instid0(VALU_DEP_2) | instskip(SKIP_2) | instid1(VALU_DEP_4)
	v_lshrrev_b32_e32 v146, v132, v131
	v_lshl_add_u32 v134, 0x200000, v132, -1
	v_lshlrev_b32_e64 v148, v132, 0x100000
	v_add_nc_u32_e32 v132, v132, v130
	s_delay_alu instid0(VALU_DEP_4) | instskip(NEXT) | instid1(VALU_DEP_4)
	v_bfe_u32 v147, v146, 21, 1
	v_and_b32_e32 v131, v134, v131
	s_delay_alu instid0(VALU_DEP_2) | instskip(NEXT) | instid1(VALU_DEP_2)
	v_add_nc_u32_e32 v134, -1, v147
	v_cmp_eq_u32_e64 s13, v131, v148
	s_delay_alu instid0(VALU_DEP_1) | instskip(SKIP_2) | instid1(VALU_DEP_2)
	v_cndmask_b32_e64 v131, 0, v134, s13
	v_lshrrev_b32_e32 v134, 23, v146
	s_mov_b32 s13, exec_lo
	v_add_nc_u32_e32 v131, v131, v146
	s_delay_alu instid0(VALU_DEP_2) | instskip(NEXT) | instid1(VALU_DEP_2)
	v_xor_b32_e32 v134, 1, v134
	v_and_b32_e32 v130, 0x1fffff, v131
	s_delay_alu instid0(VALU_DEP_1) | instskip(NEXT) | instid1(VALU_DEP_3)
	v_add_nc_u32_e32 v131, v130, v146
                                        ; implicit-def: $vgpr130
	v_cmpx_ne_u32_e64 v132, v134
	s_xor_b32 s13, exec_lo, s13
; %bb.2721:                             ;   in Loop: Header=BB2_2656 Depth=4
	s_delay_alu instid0(VALU_DEP_2) | instskip(SKIP_2) | instid1(VALU_DEP_2)
	v_cmp_lt_u32_e32 vcc_lo, 0xffffff, v131
	v_sub_nc_u32_e32 v130, v132, v134
	v_cndmask_b32_e64 v132, 0, 1, vcc_lo
	v_add_co_ci_u32_e32 v130, vcc_lo, 0, v130, vcc_lo
	s_delay_alu instid0(VALU_DEP_2)
	v_lshrrev_b32_e32 v131, v132, v131
; %bb.2722:                             ;   in Loop: Header=BB2_2656 Depth=4
	s_and_not1_saveexec_b32 s13, s13
; %bb.2723:                             ;   in Loop: Header=BB2_2656 Depth=4
	s_delay_alu instid0(VALU_DEP_1)
	v_bfe_u32 v130, v131, 23, 1
; %bb.2724:                             ;   in Loop: Header=BB2_2656 Depth=4
	s_or_b32 exec_lo, exec_lo, s13
	v_lshrrev_b32_e32 v131, 21, v131
	s_delay_alu instid0(VALU_DEP_2) | instskip(SKIP_2) | instid1(VALU_DEP_2)
	v_cmp_gt_i32_e32 vcc_lo, 32, v130
	v_lshrrev_b32_e32 v64, 24, v64
	v_min_i32_e32 v132, 31, v130
	v_dual_cndmask_b32 v131, 3, v131 :: v_dual_and_b32 v64, 0x80, v64
	s_delay_alu instid0(VALU_DEP_2) | instskip(NEXT) | instid1(VALU_DEP_2)
	v_lshlrev_b32_e32 v132, 2, v132
	v_and_b32_e32 v134, 3, v131
	v_or_b32_e32 v130, v130, v131
	s_delay_alu instid0(VALU_DEP_2) | instskip(NEXT) | instid1(VALU_DEP_2)
	v_or3_b32 v64, v132, v64, v134
	v_cmp_ne_u32_e32 vcc_lo, 0, v130
	s_delay_alu instid0(VALU_DEP_2)
	v_cndmask_b32_e32 v134, 0, v64, vcc_lo
.LBB2_2725:                             ;   in Loop: Header=BB2_2656 Depth=4
	s_or_b32 exec_lo, exec_lo, s35
.LBB2_2726:                             ;   in Loop: Header=BB2_2656 Depth=4
	s_delay_alu instid0(SALU_CYCLE_1)
	s_or_b32 exec_lo, exec_lo, s34
	flat_load_u8 v64, v[8:9] offset:160 slc dlc
	s_mov_b32 s13, 0
	s_mov_b32 s35, exec_lo
                                        ; implicit-def: $sgpr34
	s_waitcnt vmcnt(0) lgkmcnt(0)
	v_cmpx_lt_i16_e32 0x7f, v64
	s_xor_b32 s35, exec_lo, s35
	s_cbranch_execnz .LBB2_2911
; %bb.2727:                             ;   in Loop: Header=BB2_2656 Depth=4
	s_or_saveexec_b32 s35, s35
	v_mov_b32_e32 v130, s34
	s_xor_b32 exec_lo, exec_lo, s35
	s_cbranch_execnz .LBB2_2914
.LBB2_2728:                             ;   in Loop: Header=BB2_2656 Depth=4
	s_or_b32 exec_lo, exec_lo, s35
	s_and_saveexec_b32 s34, s13
	s_cbranch_execz .LBB2_2730
.LBB2_2729:                             ;   in Loop: Header=BB2_2656 Depth=4
	v_and_b32_e32 v130, 0xffff, v64
	v_lshlrev_b32_e32 v64, 24, v64
	s_delay_alu instid0(VALU_DEP_2) | instskip(NEXT) | instid1(VALU_DEP_2)
	v_and_b32_e32 v131, 3, v130
	v_and_b32_e32 v64, 0x80000000, v64
	s_delay_alu instid0(VALU_DEP_2) | instskip(NEXT) | instid1(VALU_DEP_1)
	v_clz_i32_u32_e32 v132, v131
	v_min_u32_e32 v132, 32, v132
	s_delay_alu instid0(VALU_DEP_1) | instskip(SKIP_1) | instid1(VALU_DEP_2)
	v_subrev_nc_u32_e32 v146, 29, v132
	v_sub_nc_u32_e32 v132, 30, v132
	v_lshlrev_b32_e32 v146, v146, v130
	v_bfe_u32 v130, v130, 2, 5
	s_delay_alu instid0(VALU_DEP_2) | instskip(NEXT) | instid1(VALU_DEP_2)
	v_and_b32_e32 v146, 3, v146
	v_cmp_eq_u32_e32 vcc_lo, 0, v130
	s_delay_alu instid0(VALU_DEP_2) | instskip(NEXT) | instid1(VALU_DEP_1)
	v_dual_cndmask_b32 v130, v130, v132 :: v_dual_cndmask_b32 v131, v131, v146
	v_lshl_add_u32 v130, v130, 23, 0x37800000
	s_delay_alu instid0(VALU_DEP_2) | instskip(NEXT) | instid1(VALU_DEP_1)
	v_lshlrev_b32_e32 v131, 21, v131
	v_or3_b32 v130, v64, v130, v131
.LBB2_2730:                             ;   in Loop: Header=BB2_2656 Depth=4
	s_or_b32 exec_lo, exec_lo, s34
	s_delay_alu instid0(VALU_DEP_1) | instskip(SKIP_1) | instid1(VALU_DEP_1)
	v_dual_mul_f32 v64, v65, v130 :: v_dual_mov_b32 v131, 0x80
	s_mov_b32 s34, exec_lo
	v_and_b32_e32 v130, 0x7f800000, v64
	s_delay_alu instid0(VALU_DEP_1)
	v_cmpx_ne_u32_e32 0x7f800000, v130
	s_cbranch_execz .LBB2_2738
; %bb.2731:                             ;   in Loop: Header=BB2_2656 Depth=4
	v_mov_b32_e32 v131, 0
	s_mov_b32 s35, exec_lo
	v_cmpx_ne_u32_e32 0, v64
	s_cbranch_execz .LBB2_2737
; %bb.2732:                             ;   in Loop: Header=BB2_2656 Depth=4
	v_bfe_u32 v130, v64, 23, 8
	v_and_b32_e32 v131, 0x7fffff, v64
	s_delay_alu instid0(VALU_DEP_2) | instskip(SKIP_1) | instid1(VALU_DEP_3)
	v_sub_nc_u32_e32 v132, 0x70, v130
	v_cmp_gt_u32_e32 vcc_lo, 0x71, v130
	v_or_b32_e32 v146, 0x800000, v131
	s_delay_alu instid0(VALU_DEP_3) | instskip(SKIP_1) | instid1(VALU_DEP_3)
	v_cndmask_b32_e32 v132, 0, v132, vcc_lo
	v_cmp_eq_u32_e32 vcc_lo, 0, v130
	v_dual_cndmask_b32 v131, v146, v131 :: v_dual_add_nc_u32 v130, 0xffffff91, v130
	s_delay_alu instid0(VALU_DEP_3) | instskip(NEXT) | instid1(VALU_DEP_2)
	v_cndmask_b32_e64 v132, v132, 0x6f, vcc_lo
	v_cndmask_b32_e64 v130, v130, 0xffffff92, vcc_lo
	s_delay_alu instid0(VALU_DEP_2) | instskip(SKIP_2) | instid1(VALU_DEP_4)
	v_lshrrev_b32_e32 v147, v132, v131
	v_lshl_add_u32 v146, 0x200000, v132, -1
	v_lshlrev_b32_e64 v149, v132, 0x100000
	v_add_nc_u32_e32 v132, v132, v130
	s_delay_alu instid0(VALU_DEP_4) | instskip(NEXT) | instid1(VALU_DEP_4)
	v_bfe_u32 v148, v147, 21, 1
	v_and_b32_e32 v131, v146, v131
	s_delay_alu instid0(VALU_DEP_2) | instskip(NEXT) | instid1(VALU_DEP_2)
	v_add_nc_u32_e32 v146, -1, v148
	v_cmp_eq_u32_e64 s13, v131, v149
	s_delay_alu instid0(VALU_DEP_1) | instskip(SKIP_2) | instid1(VALU_DEP_2)
	v_cndmask_b32_e64 v131, 0, v146, s13
	v_lshrrev_b32_e32 v146, 23, v147
	s_mov_b32 s13, exec_lo
	v_add_nc_u32_e32 v131, v131, v147
	s_delay_alu instid0(VALU_DEP_2) | instskip(NEXT) | instid1(VALU_DEP_2)
	v_xor_b32_e32 v146, 1, v146
	v_and_b32_e32 v130, 0x1fffff, v131
	s_delay_alu instid0(VALU_DEP_1) | instskip(NEXT) | instid1(VALU_DEP_3)
	v_add_nc_u32_e32 v131, v130, v147
                                        ; implicit-def: $vgpr130
	v_cmpx_ne_u32_e64 v132, v146
	s_xor_b32 s13, exec_lo, s13
; %bb.2733:                             ;   in Loop: Header=BB2_2656 Depth=4
	s_delay_alu instid0(VALU_DEP_2) | instskip(SKIP_2) | instid1(VALU_DEP_2)
	v_cmp_lt_u32_e32 vcc_lo, 0xffffff, v131
	v_sub_nc_u32_e32 v130, v132, v146
	v_cndmask_b32_e64 v132, 0, 1, vcc_lo
	v_add_co_ci_u32_e32 v130, vcc_lo, 0, v130, vcc_lo
	s_delay_alu instid0(VALU_DEP_2)
	v_lshrrev_b32_e32 v131, v132, v131
; %bb.2734:                             ;   in Loop: Header=BB2_2656 Depth=4
	s_and_not1_saveexec_b32 s13, s13
; %bb.2735:                             ;   in Loop: Header=BB2_2656 Depth=4
	s_delay_alu instid0(VALU_DEP_1)
	v_bfe_u32 v130, v131, 23, 1
; %bb.2736:                             ;   in Loop: Header=BB2_2656 Depth=4
	s_or_b32 exec_lo, exec_lo, s13
	v_lshrrev_b32_e32 v131, 21, v131
	s_delay_alu instid0(VALU_DEP_2) | instskip(SKIP_2) | instid1(VALU_DEP_2)
	v_cmp_gt_i32_e32 vcc_lo, 32, v130
	v_lshrrev_b32_e32 v64, 24, v64
	v_min_i32_e32 v132, 31, v130
	v_dual_cndmask_b32 v131, 3, v131 :: v_dual_and_b32 v64, 0x80, v64
	s_delay_alu instid0(VALU_DEP_2) | instskip(NEXT) | instid1(VALU_DEP_2)
	v_lshlrev_b32_e32 v132, 2, v132
	v_or_b32_e32 v130, v130, v131
	s_delay_alu instid0(VALU_DEP_1) | instskip(SKIP_1) | instid1(VALU_DEP_1)
	v_cmp_ne_u32_e32 vcc_lo, 0, v130
	v_and_b32_e32 v146, 3, v131
	v_or3_b32 v64, v132, v64, v146
	s_delay_alu instid0(VALU_DEP_1)
	v_cndmask_b32_e32 v131, 0, v64, vcc_lo
.LBB2_2737:                             ;   in Loop: Header=BB2_2656 Depth=4
	s_or_b32 exec_lo, exec_lo, s35
.LBB2_2738:                             ;   in Loop: Header=BB2_2656 Depth=4
	s_delay_alu instid0(SALU_CYCLE_1)
	s_or_b32 exec_lo, exec_lo, s34
	flat_load_u8 v64, v[8:9] offset:192 slc dlc
	s_mov_b32 s13, 0
	s_mov_b32 s35, exec_lo
                                        ; implicit-def: $sgpr34
	s_waitcnt vmcnt(0) lgkmcnt(0)
	v_cmpx_lt_i16_e32 0x7f, v64
	s_xor_b32 s35, exec_lo, s35
	s_cbranch_execnz .LBB2_2915
; %bb.2739:                             ;   in Loop: Header=BB2_2656 Depth=4
	s_or_saveexec_b32 s35, s35
	v_mov_b32_e32 v130, s34
	s_xor_b32 exec_lo, exec_lo, s35
	s_cbranch_execnz .LBB2_2918
.LBB2_2740:                             ;   in Loop: Header=BB2_2656 Depth=4
	s_or_b32 exec_lo, exec_lo, s35
	s_and_saveexec_b32 s34, s13
	s_cbranch_execz .LBB2_2742
.LBB2_2741:                             ;   in Loop: Header=BB2_2656 Depth=4
	v_and_b32_e32 v130, 0xffff, v64
	v_lshlrev_b32_e32 v64, 24, v64
	s_delay_alu instid0(VALU_DEP_2) | instskip(NEXT) | instid1(VALU_DEP_2)
	v_and_b32_e32 v132, 3, v130
	v_and_b32_e32 v64, 0x80000000, v64
	s_delay_alu instid0(VALU_DEP_2) | instskip(NEXT) | instid1(VALU_DEP_1)
	v_clz_i32_u32_e32 v146, v132
	v_min_u32_e32 v146, 32, v146
	s_delay_alu instid0(VALU_DEP_1) | instskip(SKIP_1) | instid1(VALU_DEP_2)
	v_subrev_nc_u32_e32 v147, 29, v146
	v_sub_nc_u32_e32 v146, 30, v146
	v_lshlrev_b32_e32 v147, v147, v130
	v_bfe_u32 v130, v130, 2, 5
	s_delay_alu instid0(VALU_DEP_1) | instskip(NEXT) | instid1(VALU_DEP_3)
	v_cmp_eq_u32_e32 vcc_lo, 0, v130
	v_dual_cndmask_b32 v130, v130, v146 :: v_dual_and_b32 v147, 3, v147
	s_delay_alu instid0(VALU_DEP_1) | instskip(NEXT) | instid1(VALU_DEP_2)
	v_cndmask_b32_e32 v132, v132, v147, vcc_lo
	v_lshl_add_u32 v130, v130, 23, 0x37800000
	s_delay_alu instid0(VALU_DEP_2) | instskip(NEXT) | instid1(VALU_DEP_1)
	v_lshlrev_b32_e32 v132, 21, v132
	v_or3_b32 v130, v64, v130, v132
.LBB2_2742:                             ;   in Loop: Header=BB2_2656 Depth=4
	s_or_b32 exec_lo, exec_lo, s34
	s_delay_alu instid0(VALU_DEP_1) | instskip(NEXT) | instid1(VALU_DEP_1)
	v_mul_f32_e32 v64, v65, v130
	v_and_b32_e32 v130, 0x7f800000, v64
	s_delay_alu instid0(VALU_DEP_1)
	v_cmp_ne_u32_e32 vcc_lo, 0x7f800000, v130
	v_mov_b32_e32 v130, 0x80
	s_and_saveexec_b32 s34, vcc_lo
	s_cbranch_execz .LBB2_2750
; %bb.2743:                             ;   in Loop: Header=BB2_2656 Depth=4
	v_mov_b32_e32 v130, 0
	s_mov_b32 s35, exec_lo
	v_cmpx_ne_u32_e32 0, v64
	s_cbranch_execz .LBB2_2749
; %bb.2744:                             ;   in Loop: Header=BB2_2656 Depth=4
	v_bfe_u32 v130, v64, 23, 8
	v_and_b32_e32 v132, 0x7fffff, v64
	s_delay_alu instid0(VALU_DEP_2) | instskip(SKIP_1) | instid1(VALU_DEP_3)
	v_sub_nc_u32_e32 v146, 0x70, v130
	v_cmp_gt_u32_e32 vcc_lo, 0x71, v130
	v_or_b32_e32 v147, 0x800000, v132
	s_delay_alu instid0(VALU_DEP_3) | instskip(SKIP_2) | instid1(VALU_DEP_3)
	v_cndmask_b32_e32 v146, 0, v146, vcc_lo
	v_cmp_eq_u32_e32 vcc_lo, 0, v130
	v_add_nc_u32_e32 v130, 0xffffff91, v130
	v_cndmask_b32_e64 v146, v146, 0x6f, vcc_lo
	v_cndmask_b32_e32 v132, v147, v132, vcc_lo
	s_delay_alu instid0(VALU_DEP_3) | instskip(NEXT) | instid1(VALU_DEP_3)
	v_cndmask_b32_e64 v130, v130, 0xffffff92, vcc_lo
	v_lshl_add_u32 v147, 0x200000, v146, -1
	s_delay_alu instid0(VALU_DEP_3) | instskip(SKIP_1) | instid1(VALU_DEP_4)
	v_lshrrev_b32_e32 v148, v146, v132
	v_lshlrev_b32_e64 v150, v146, 0x100000
	v_add_nc_u32_e32 v146, v146, v130
	s_delay_alu instid0(VALU_DEP_4) | instskip(NEXT) | instid1(VALU_DEP_4)
	v_and_b32_e32 v132, v147, v132
	v_bfe_u32 v149, v148, 21, 1
	s_delay_alu instid0(VALU_DEP_2) | instskip(NEXT) | instid1(VALU_DEP_2)
	v_cmp_eq_u32_e64 s13, v132, v150
	v_add_nc_u32_e32 v147, -1, v149
	s_delay_alu instid0(VALU_DEP_1) | instskip(SKIP_2) | instid1(VALU_DEP_2)
	v_cndmask_b32_e64 v132, 0, v147, s13
	v_lshrrev_b32_e32 v147, 23, v148
	s_mov_b32 s13, exec_lo
	v_add_nc_u32_e32 v132, v132, v148
	s_delay_alu instid0(VALU_DEP_2) | instskip(NEXT) | instid1(VALU_DEP_2)
	v_xor_b32_e32 v147, 1, v147
	v_and_b32_e32 v130, 0x1fffff, v132
	s_delay_alu instid0(VALU_DEP_1) | instskip(NEXT) | instid1(VALU_DEP_3)
	v_add_nc_u32_e32 v132, v130, v148
                                        ; implicit-def: $vgpr130
	v_cmpx_ne_u32_e64 v146, v147
	s_xor_b32 s13, exec_lo, s13
; %bb.2745:                             ;   in Loop: Header=BB2_2656 Depth=4
	s_delay_alu instid0(VALU_DEP_2) | instskip(SKIP_2) | instid1(VALU_DEP_2)
	v_cmp_lt_u32_e32 vcc_lo, 0xffffff, v132
	v_sub_nc_u32_e32 v130, v146, v147
	v_cndmask_b32_e64 v146, 0, 1, vcc_lo
	v_add_co_ci_u32_e32 v130, vcc_lo, 0, v130, vcc_lo
	s_delay_alu instid0(VALU_DEP_2)
	v_lshrrev_b32_e32 v132, v146, v132
; %bb.2746:                             ;   in Loop: Header=BB2_2656 Depth=4
	s_and_not1_saveexec_b32 s13, s13
; %bb.2747:                             ;   in Loop: Header=BB2_2656 Depth=4
	s_delay_alu instid0(VALU_DEP_1)
	v_bfe_u32 v130, v132, 23, 1
; %bb.2748:                             ;   in Loop: Header=BB2_2656 Depth=4
	s_or_b32 exec_lo, exec_lo, s13
	v_lshrrev_b32_e32 v132, 21, v132
	s_delay_alu instid0(VALU_DEP_2) | instskip(SKIP_2) | instid1(VALU_DEP_4)
	v_cmp_gt_i32_e32 vcc_lo, 32, v130
	v_lshrrev_b32_e32 v64, 24, v64
	v_min_i32_e32 v146, 31, v130
	v_cndmask_b32_e32 v132, 3, v132, vcc_lo
	s_delay_alu instid0(VALU_DEP_3) | instskip(NEXT) | instid1(VALU_DEP_3)
	v_and_b32_e32 v64, 0x80, v64
	v_lshlrev_b32_e32 v146, 2, v146
	s_delay_alu instid0(VALU_DEP_3) | instskip(SKIP_1) | instid1(VALU_DEP_2)
	v_and_b32_e32 v147, 3, v132
	v_or_b32_e32 v130, v130, v132
	v_or3_b32 v64, v146, v64, v147
	s_delay_alu instid0(VALU_DEP_2) | instskip(NEXT) | instid1(VALU_DEP_2)
	v_cmp_ne_u32_e32 vcc_lo, 0, v130
	v_cndmask_b32_e32 v130, 0, v64, vcc_lo
.LBB2_2749:                             ;   in Loop: Header=BB2_2656 Depth=4
	s_or_b32 exec_lo, exec_lo, s35
.LBB2_2750:                             ;   in Loop: Header=BB2_2656 Depth=4
	s_delay_alu instid0(SALU_CYCLE_1)
	s_or_b32 exec_lo, exec_lo, s34
	flat_load_u8 v64, v[8:9] offset:224 slc dlc
	s_mov_b32 s13, 0
	s_mov_b32 s35, exec_lo
                                        ; implicit-def: $sgpr34
	s_waitcnt vmcnt(0) lgkmcnt(0)
	v_cmpx_lt_i16_e32 0x7f, v64
	s_xor_b32 s35, exec_lo, s35
	s_cbranch_execnz .LBB2_2919
; %bb.2751:                             ;   in Loop: Header=BB2_2656 Depth=4
	s_or_saveexec_b32 s35, s35
	v_mov_b32_e32 v132, s34
	s_xor_b32 exec_lo, exec_lo, s35
	s_cbranch_execnz .LBB2_2922
.LBB2_2752:                             ;   in Loop: Header=BB2_2656 Depth=4
	s_or_b32 exec_lo, exec_lo, s35
	s_and_saveexec_b32 s34, s13
	s_cbranch_execz .LBB2_2754
.LBB2_2753:                             ;   in Loop: Header=BB2_2656 Depth=4
	v_and_b32_e32 v132, 0xffff, v64
	v_lshlrev_b32_e32 v64, 24, v64
	s_delay_alu instid0(VALU_DEP_2) | instskip(NEXT) | instid1(VALU_DEP_2)
	v_and_b32_e32 v146, 3, v132
	v_and_b32_e32 v64, 0x80000000, v64
	s_delay_alu instid0(VALU_DEP_2) | instskip(NEXT) | instid1(VALU_DEP_1)
	v_clz_i32_u32_e32 v147, v146
	v_min_u32_e32 v147, 32, v147
	s_delay_alu instid0(VALU_DEP_1) | instskip(SKIP_1) | instid1(VALU_DEP_2)
	v_subrev_nc_u32_e32 v148, 29, v147
	v_sub_nc_u32_e32 v147, 30, v147
	v_lshlrev_b32_e32 v148, v148, v132
	v_bfe_u32 v132, v132, 2, 5
	s_delay_alu instid0(VALU_DEP_2) | instskip(NEXT) | instid1(VALU_DEP_2)
	v_and_b32_e32 v148, 3, v148
	v_cmp_eq_u32_e32 vcc_lo, 0, v132
	v_cndmask_b32_e32 v132, v132, v147, vcc_lo
	s_delay_alu instid0(VALU_DEP_3) | instskip(NEXT) | instid1(VALU_DEP_2)
	v_cndmask_b32_e32 v146, v146, v148, vcc_lo
	v_lshl_add_u32 v132, v132, 23, 0x37800000
	s_delay_alu instid0(VALU_DEP_2) | instskip(NEXT) | instid1(VALU_DEP_1)
	v_lshlrev_b32_e32 v146, 21, v146
	v_or3_b32 v132, v64, v132, v146
.LBB2_2754:                             ;   in Loop: Header=BB2_2656 Depth=4
	s_or_b32 exec_lo, exec_lo, s34
	s_delay_alu instid0(VALU_DEP_1) | instskip(NEXT) | instid1(VALU_DEP_1)
	v_mul_f32_e32 v64, v65, v132
	v_and_b32_e32 v65, 0x7f800000, v64
	s_delay_alu instid0(VALU_DEP_1)
	v_cmp_ne_u32_e32 vcc_lo, 0x7f800000, v65
	v_mov_b32_e32 v65, 0x80
	s_and_saveexec_b32 s34, vcc_lo
	s_cbranch_execz .LBB2_2762
; %bb.2755:                             ;   in Loop: Header=BB2_2656 Depth=4
	v_mov_b32_e32 v65, 0
	s_mov_b32 s35, exec_lo
	v_cmpx_ne_u32_e32 0, v64
	s_cbranch_execz .LBB2_2761
; %bb.2756:                             ;   in Loop: Header=BB2_2656 Depth=4
	v_bfe_u32 v65, v64, 23, 8
	v_and_b32_e32 v132, 0x7fffff, v64
	s_delay_alu instid0(VALU_DEP_2) | instskip(SKIP_1) | instid1(VALU_DEP_3)
	v_sub_nc_u32_e32 v146, 0x70, v65
	v_cmp_gt_u32_e32 vcc_lo, 0x71, v65
	v_or_b32_e32 v147, 0x800000, v132
	s_delay_alu instid0(VALU_DEP_3) | instskip(SKIP_2) | instid1(VALU_DEP_3)
	v_cndmask_b32_e32 v146, 0, v146, vcc_lo
	v_cmp_eq_u32_e32 vcc_lo, 0, v65
	v_add_nc_u32_e32 v65, 0xffffff91, v65
	v_cndmask_b32_e64 v146, v146, 0x6f, vcc_lo
	v_cndmask_b32_e32 v132, v147, v132, vcc_lo
	s_delay_alu instid0(VALU_DEP_3) | instskip(NEXT) | instid1(VALU_DEP_3)
	v_cndmask_b32_e64 v65, v65, 0xffffff92, vcc_lo
	v_lshl_add_u32 v147, 0x200000, v146, -1
	s_delay_alu instid0(VALU_DEP_3) | instskip(SKIP_1) | instid1(VALU_DEP_4)
	v_lshrrev_b32_e32 v148, v146, v132
	v_lshlrev_b32_e64 v150, v146, 0x100000
	v_add_nc_u32_e32 v146, v146, v65
	s_delay_alu instid0(VALU_DEP_4) | instskip(NEXT) | instid1(VALU_DEP_4)
	v_and_b32_e32 v132, v147, v132
	v_bfe_u32 v149, v148, 21, 1
	s_delay_alu instid0(VALU_DEP_2) | instskip(NEXT) | instid1(VALU_DEP_2)
	v_cmp_eq_u32_e64 s13, v132, v150
	v_add_nc_u32_e32 v147, -1, v149
	s_delay_alu instid0(VALU_DEP_1) | instskip(SKIP_2) | instid1(VALU_DEP_2)
	v_cndmask_b32_e64 v132, 0, v147, s13
	v_lshrrev_b32_e32 v147, 23, v148
	s_mov_b32 s13, exec_lo
	v_add_nc_u32_e32 v132, v132, v148
	s_delay_alu instid0(VALU_DEP_2) | instskip(NEXT) | instid1(VALU_DEP_2)
	v_xor_b32_e32 v147, 1, v147
	v_and_b32_e32 v65, 0x1fffff, v132
	s_delay_alu instid0(VALU_DEP_1) | instskip(NEXT) | instid1(VALU_DEP_3)
	v_add_nc_u32_e32 v132, v65, v148
                                        ; implicit-def: $vgpr65
	v_cmpx_ne_u32_e64 v146, v147
	s_xor_b32 s13, exec_lo, s13
; %bb.2757:                             ;   in Loop: Header=BB2_2656 Depth=4
	s_delay_alu instid0(VALU_DEP_2) | instskip(SKIP_2) | instid1(VALU_DEP_2)
	v_cmp_lt_u32_e32 vcc_lo, 0xffffff, v132
	v_sub_nc_u32_e32 v65, v146, v147
	v_cndmask_b32_e64 v146, 0, 1, vcc_lo
	v_add_co_ci_u32_e32 v65, vcc_lo, 0, v65, vcc_lo
	s_delay_alu instid0(VALU_DEP_2)
	v_lshrrev_b32_e32 v132, v146, v132
; %bb.2758:                             ;   in Loop: Header=BB2_2656 Depth=4
	s_and_not1_saveexec_b32 s13, s13
; %bb.2759:                             ;   in Loop: Header=BB2_2656 Depth=4
	s_delay_alu instid0(VALU_DEP_1)
	v_bfe_u32 v65, v132, 23, 1
; %bb.2760:                             ;   in Loop: Header=BB2_2656 Depth=4
	s_or_b32 exec_lo, exec_lo, s13
	v_lshrrev_b32_e32 v132, 21, v132
	s_delay_alu instid0(VALU_DEP_2) | instskip(SKIP_2) | instid1(VALU_DEP_4)
	v_cmp_gt_i32_e32 vcc_lo, 32, v65
	v_lshrrev_b32_e32 v64, 24, v64
	v_min_i32_e32 v146, 31, v65
	v_cndmask_b32_e32 v132, 3, v132, vcc_lo
	s_delay_alu instid0(VALU_DEP_3) | instskip(NEXT) | instid1(VALU_DEP_2)
	v_and_b32_e32 v64, 0x80, v64
	v_or_b32_e32 v65, v65, v132
	v_and_b32_e32 v147, 3, v132
	s_delay_alu instid0(VALU_DEP_2) | instskip(SKIP_1) | instid1(VALU_DEP_1)
	v_cmp_ne_u32_e32 vcc_lo, 0, v65
	v_lshlrev_b32_e32 v146, 2, v146
	v_or3_b32 v64, v146, v64, v147
	s_delay_alu instid0(VALU_DEP_1)
	v_cndmask_b32_e32 v65, 0, v64, vcc_lo
.LBB2_2761:                             ;   in Loop: Header=BB2_2656 Depth=4
	s_or_b32 exec_lo, exec_lo, s35
.LBB2_2762:                             ;   in Loop: Header=BB2_2656 Depth=4
	s_delay_alu instid0(SALU_CYCLE_1)
	s_or_b32 exec_lo, exec_lo, s34
	s_clause 0x7
	flat_load_u8 v151, v[10:11] slc dlc
	flat_load_u8 v150, v[10:11] offset:32 slc dlc
	flat_load_u8 v149, v[10:11] offset:64 slc dlc
	flat_load_u8 v148, v[10:11] offset:96 slc dlc
	flat_load_u8 v147, v[10:11] offset:128 slc dlc
	flat_load_u8 v146, v[10:11] offset:160 slc dlc
	flat_load_u8 v132, v[10:11] offset:192 slc dlc
	flat_load_u8 v64, v[10:11] offset:224 slc dlc
	v_and_b32_e32 v161, 0xff, v129
	s_mov_b32 s13, 0
	s_mov_b32 s35, exec_lo
                                        ; implicit-def: $sgpr34
	s_delay_alu instid0(VALU_DEP_1)
	v_cmpx_lt_i16_e64 0x7f, v161
	s_xor_b32 s35, exec_lo, s35
	s_cbranch_execnz .LBB2_2923
; %bb.2763:                             ;   in Loop: Header=BB2_2656 Depth=4
	s_or_saveexec_b32 s35, s35
	v_mov_b32_e32 v160, s34
	s_xor_b32 exec_lo, exec_lo, s35
	s_cbranch_execnz .LBB2_2926
.LBB2_2764:                             ;   in Loop: Header=BB2_2656 Depth=4
	s_or_b32 exec_lo, exec_lo, s35
	s_and_saveexec_b32 s34, s13
	s_cbranch_execz .LBB2_2766
.LBB2_2765:                             ;   in Loop: Header=BB2_2656 Depth=4
	v_and_b32_e32 v160, 3, v129
	v_lshrrev_b16 v163, 2, v129
	s_delay_alu instid0(VALU_DEP_2) | instskip(NEXT) | instid1(VALU_DEP_1)
	v_clz_i32_u32_e32 v161, v160
	v_min_u32_e32 v161, 32, v161
	s_delay_alu instid0(VALU_DEP_1) | instskip(SKIP_1) | instid1(VALU_DEP_2)
	v_subrev_nc_u32_e32 v162, 29, v161
	v_sub_nc_u32_e32 v161, 30, v161
	v_lshlrev_b32_e32 v162, v162, v129
	v_lshlrev_b32_e32 v129, 24, v129
	s_delay_alu instid0(VALU_DEP_2) | instskip(SKIP_1) | instid1(VALU_DEP_3)
	v_and_b32_e32 v162, 3, v162
	v_and_b32_e32 v163, 31, v163
	;; [unrolled: 1-line block ×3, first 2 shown]
	s_delay_alu instid0(VALU_DEP_2) | instskip(NEXT) | instid1(VALU_DEP_4)
	v_cmp_eq_u32_e32 vcc_lo, 0, v163
	v_dual_cndmask_b32 v160, v160, v162 :: v_dual_cndmask_b32 v161, v163, v161
	s_delay_alu instid0(VALU_DEP_1) | instskip(NEXT) | instid1(VALU_DEP_2)
	v_lshlrev_b32_e32 v160, 21, v160
	v_lshl_add_u32 v161, v161, 23, 0x37800000
	s_delay_alu instid0(VALU_DEP_1)
	v_or3_b32 v160, v129, v161, v160
.LBB2_2766:                             ;   in Loop: Header=BB2_2656 Depth=4
	s_or_b32 exec_lo, exec_lo, s34
	s_waitcnt vmcnt(7) lgkmcnt(7)
	v_and_b32_e32 v161, 0xff, v151
	s_mov_b32 s13, 0
	s_mov_b32 s35, exec_lo
                                        ; implicit-def: $sgpr34
	s_delay_alu instid0(VALU_DEP_1)
	v_cmpx_lt_i16_e64 0x7f, v161
	s_xor_b32 s35, exec_lo, s35
	s_cbranch_execnz .LBB2_2927
; %bb.2767:                             ;   in Loop: Header=BB2_2656 Depth=4
	s_or_saveexec_b32 s35, s35
	v_mov_b32_e32 v129, s34
	s_xor_b32 exec_lo, exec_lo, s35
	s_cbranch_execnz .LBB2_2930
.LBB2_2768:                             ;   in Loop: Header=BB2_2656 Depth=4
	s_or_b32 exec_lo, exec_lo, s35
	s_and_saveexec_b32 s34, s13
	s_cbranch_execz .LBB2_2770
.LBB2_2769:                             ;   in Loop: Header=BB2_2656 Depth=4
	v_and_b32_e32 v129, 3, v151
	v_lshrrev_b16 v163, 2, v151
	s_delay_alu instid0(VALU_DEP_2) | instskip(NEXT) | instid1(VALU_DEP_2)
	v_clz_i32_u32_e32 v161, v129
	v_and_b32_e32 v163, 31, v163
	s_delay_alu instid0(VALU_DEP_2) | instskip(NEXT) | instid1(VALU_DEP_2)
	v_min_u32_e32 v161, 32, v161
	v_cmp_eq_u32_e32 vcc_lo, 0, v163
	s_delay_alu instid0(VALU_DEP_2) | instskip(SKIP_1) | instid1(VALU_DEP_1)
	v_subrev_nc_u32_e32 v162, 29, v161
	v_sub_nc_u32_e32 v161, 30, v161
	v_dual_cndmask_b32 v161, v163, v161 :: v_dual_lshlrev_b32 v162, v162, v151
	v_lshlrev_b32_e32 v151, 24, v151
	s_delay_alu instid0(VALU_DEP_2) | instskip(NEXT) | instid1(VALU_DEP_3)
	v_and_b32_e32 v162, 3, v162
	v_lshl_add_u32 v161, v161, 23, 0x37800000
	s_delay_alu instid0(VALU_DEP_3) | instskip(NEXT) | instid1(VALU_DEP_3)
	v_and_b32_e32 v151, 0x80000000, v151
	v_cndmask_b32_e32 v129, v129, v162, vcc_lo
	s_delay_alu instid0(VALU_DEP_1) | instskip(NEXT) | instid1(VALU_DEP_1)
	v_lshlrev_b32_e32 v129, 21, v129
	v_or3_b32 v129, v151, v161, v129
.LBB2_2770:                             ;   in Loop: Header=BB2_2656 Depth=4
	s_or_b32 exec_lo, exec_lo, s34
	s_delay_alu instid0(VALU_DEP_1) | instskip(NEXT) | instid1(VALU_DEP_1)
	v_add_f32_e32 v151, v160, v129
	v_and_b32_e32 v129, 0x7f800000, v151
	s_delay_alu instid0(VALU_DEP_1)
	v_cmp_ne_u32_e32 vcc_lo, 0x7f800000, v129
	v_mov_b32_e32 v129, 0x80
	s_and_saveexec_b32 s34, vcc_lo
	s_cbranch_execz .LBB2_2778
; %bb.2771:                             ;   in Loop: Header=BB2_2656 Depth=4
	v_mov_b32_e32 v129, 0
	s_mov_b32 s35, exec_lo
	v_cmpx_ne_u32_e32 0, v151
	s_cbranch_execz .LBB2_2777
; %bb.2772:                             ;   in Loop: Header=BB2_2656 Depth=4
	v_bfe_u32 v129, v151, 23, 8
	s_delay_alu instid0(VALU_DEP_1) | instskip(SKIP_1) | instid1(VALU_DEP_2)
	v_sub_nc_u32_e32 v161, 0x70, v129
	v_cmp_gt_u32_e32 vcc_lo, 0x71, v129
	v_dual_cndmask_b32 v161, 0, v161 :: v_dual_and_b32 v160, 0x7fffff, v151
	s_delay_alu instid0(VALU_DEP_1) | instskip(SKIP_2) | instid1(VALU_DEP_4)
	v_or_b32_e32 v162, 0x800000, v160
	v_cmp_eq_u32_e32 vcc_lo, 0, v129
	v_add_nc_u32_e32 v129, 0xffffff91, v129
	v_cndmask_b32_e64 v161, v161, 0x6f, vcc_lo
	s_delay_alu instid0(VALU_DEP_4) | instskip(NEXT) | instid1(VALU_DEP_3)
	v_cndmask_b32_e32 v160, v162, v160, vcc_lo
	v_cndmask_b32_e64 v129, v129, 0xffffff92, vcc_lo
	s_delay_alu instid0(VALU_DEP_3) | instskip(NEXT) | instid1(VALU_DEP_3)
	v_lshl_add_u32 v162, 0x200000, v161, -1
	v_lshrrev_b32_e32 v163, v161, v160
	v_lshlrev_b32_e64 v165, v161, 0x100000
	s_delay_alu instid0(VALU_DEP_4) | instskip(NEXT) | instid1(VALU_DEP_4)
	v_add_nc_u32_e32 v161, v161, v129
	v_and_b32_e32 v160, v162, v160
	s_delay_alu instid0(VALU_DEP_4) | instskip(NEXT) | instid1(VALU_DEP_2)
	v_bfe_u32 v164, v163, 21, 1
	v_cmp_eq_u32_e64 s13, v160, v165
	s_delay_alu instid0(VALU_DEP_2) | instskip(NEXT) | instid1(VALU_DEP_1)
	v_add_nc_u32_e32 v162, -1, v164
	v_cndmask_b32_e64 v160, 0, v162, s13
	v_lshrrev_b32_e32 v162, 23, v163
	s_mov_b32 s13, exec_lo
	s_delay_alu instid0(VALU_DEP_2) | instskip(NEXT) | instid1(VALU_DEP_2)
	v_add_nc_u32_e32 v160, v160, v163
	v_xor_b32_e32 v162, 1, v162
	s_delay_alu instid0(VALU_DEP_2) | instskip(NEXT) | instid1(VALU_DEP_1)
	v_and_b32_e32 v129, 0x1fffff, v160
	v_add_nc_u32_e32 v160, v129, v163
                                        ; implicit-def: $vgpr129
	s_delay_alu instid0(VALU_DEP_3)
	v_cmpx_ne_u32_e64 v161, v162
	s_xor_b32 s13, exec_lo, s13
; %bb.2773:                             ;   in Loop: Header=BB2_2656 Depth=4
	s_delay_alu instid0(VALU_DEP_2) | instskip(SKIP_2) | instid1(VALU_DEP_2)
	v_cmp_lt_u32_e32 vcc_lo, 0xffffff, v160
	v_sub_nc_u32_e32 v129, v161, v162
	v_cndmask_b32_e64 v161, 0, 1, vcc_lo
	v_add_co_ci_u32_e32 v129, vcc_lo, 0, v129, vcc_lo
	s_delay_alu instid0(VALU_DEP_2)
	v_lshrrev_b32_e32 v160, v161, v160
; %bb.2774:                             ;   in Loop: Header=BB2_2656 Depth=4
	s_and_not1_saveexec_b32 s13, s13
; %bb.2775:                             ;   in Loop: Header=BB2_2656 Depth=4
	s_delay_alu instid0(VALU_DEP_1)
	v_bfe_u32 v129, v160, 23, 1
; %bb.2776:                             ;   in Loop: Header=BB2_2656 Depth=4
	s_or_b32 exec_lo, exec_lo, s13
	v_lshrrev_b32_e32 v160, 21, v160
	s_delay_alu instid0(VALU_DEP_2) | instskip(SKIP_2) | instid1(VALU_DEP_2)
	v_cmp_gt_i32_e32 vcc_lo, 32, v129
	v_lshrrev_b32_e32 v151, 24, v151
	v_min_i32_e32 v161, 31, v129
	v_dual_cndmask_b32 v160, 3, v160 :: v_dual_and_b32 v151, 0x80, v151
	s_delay_alu instid0(VALU_DEP_2) | instskip(NEXT) | instid1(VALU_DEP_2)
	v_lshlrev_b32_e32 v161, 2, v161
	v_or_b32_e32 v129, v129, v160
	s_delay_alu instid0(VALU_DEP_1) | instskip(SKIP_1) | instid1(VALU_DEP_1)
	v_cmp_ne_u32_e32 vcc_lo, 0, v129
	v_and_b32_e32 v162, 3, v160
	v_or3_b32 v151, v161, v151, v162
	s_delay_alu instid0(VALU_DEP_1)
	v_cndmask_b32_e32 v129, 0, v151, vcc_lo
.LBB2_2777:                             ;   in Loop: Header=BB2_2656 Depth=4
	s_or_b32 exec_lo, exec_lo, s35
.LBB2_2778:                             ;   in Loop: Header=BB2_2656 Depth=4
	s_delay_alu instid0(SALU_CYCLE_1) | instskip(SKIP_3) | instid1(VALU_DEP_1)
	s_or_b32 exec_lo, exec_lo, s34
	v_and_b32_e32 v160, 0xff, v135
	s_mov_b32 s13, 0
	s_mov_b32 s35, exec_lo
                                        ; implicit-def: $sgpr34
	v_cmpx_lt_i16_e64 0x7f, v160
	s_xor_b32 s35, exec_lo, s35
	s_cbranch_execnz .LBB2_2931
; %bb.2779:                             ;   in Loop: Header=BB2_2656 Depth=4
	s_or_saveexec_b32 s35, s35
	v_mov_b32_e32 v151, s34
	s_xor_b32 exec_lo, exec_lo, s35
	s_cbranch_execnz .LBB2_2934
.LBB2_2780:                             ;   in Loop: Header=BB2_2656 Depth=4
	s_or_b32 exec_lo, exec_lo, s35
	s_and_saveexec_b32 s34, s13
	s_cbranch_execz .LBB2_2782
.LBB2_2781:                             ;   in Loop: Header=BB2_2656 Depth=4
	v_lshrrev_b16 v162, 2, v135
	s_delay_alu instid0(VALU_DEP_1) | instskip(NEXT) | instid1(VALU_DEP_1)
	v_and_b32_e32 v162, 31, v162
	v_cmp_eq_u32_e32 vcc_lo, 0, v162
	v_and_b32_e32 v151, 3, v135
	s_delay_alu instid0(VALU_DEP_1) | instskip(NEXT) | instid1(VALU_DEP_1)
	v_clz_i32_u32_e32 v160, v151
	v_min_u32_e32 v160, 32, v160
	s_delay_alu instid0(VALU_DEP_1) | instskip(SKIP_1) | instid1(VALU_DEP_1)
	v_subrev_nc_u32_e32 v161, 29, v160
	v_sub_nc_u32_e32 v160, 30, v160
	v_dual_cndmask_b32 v160, v162, v160 :: v_dual_lshlrev_b32 v161, v161, v135
	v_lshlrev_b32_e32 v135, 24, v135
	s_delay_alu instid0(VALU_DEP_2) | instskip(NEXT) | instid1(VALU_DEP_3)
	v_and_b32_e32 v161, 3, v161
	v_lshl_add_u32 v160, v160, 23, 0x37800000
	s_delay_alu instid0(VALU_DEP_3) | instskip(NEXT) | instid1(VALU_DEP_3)
	v_and_b32_e32 v135, 0x80000000, v135
	v_cndmask_b32_e32 v151, v151, v161, vcc_lo
	s_delay_alu instid0(VALU_DEP_1) | instskip(NEXT) | instid1(VALU_DEP_1)
	v_lshlrev_b32_e32 v151, 21, v151
	v_or3_b32 v151, v135, v160, v151
.LBB2_2782:                             ;   in Loop: Header=BB2_2656 Depth=4
	s_or_b32 exec_lo, exec_lo, s34
	s_waitcnt vmcnt(6) lgkmcnt(6)
	v_and_b32_e32 v160, 0xff, v150
	s_mov_b32 s13, 0
	s_mov_b32 s35, exec_lo
                                        ; implicit-def: $sgpr34
	s_delay_alu instid0(VALU_DEP_1)
	v_cmpx_lt_i16_e64 0x7f, v160
	s_xor_b32 s35, exec_lo, s35
	s_cbranch_execnz .LBB2_2935
; %bb.2783:                             ;   in Loop: Header=BB2_2656 Depth=4
	s_or_saveexec_b32 s35, s35
	v_mov_b32_e32 v135, s34
	s_xor_b32 exec_lo, exec_lo, s35
	s_cbranch_execnz .LBB2_2938
.LBB2_2784:                             ;   in Loop: Header=BB2_2656 Depth=4
	s_or_b32 exec_lo, exec_lo, s35
	s_and_saveexec_b32 s34, s13
	s_cbranch_execz .LBB2_2786
.LBB2_2785:                             ;   in Loop: Header=BB2_2656 Depth=4
	v_lshrrev_b16 v162, 2, v150
	s_delay_alu instid0(VALU_DEP_1) | instskip(NEXT) | instid1(VALU_DEP_1)
	v_and_b32_e32 v162, 31, v162
	v_cmp_eq_u32_e32 vcc_lo, 0, v162
	v_and_b32_e32 v135, 3, v150
	s_delay_alu instid0(VALU_DEP_1) | instskip(NEXT) | instid1(VALU_DEP_1)
	v_clz_i32_u32_e32 v160, v135
	v_min_u32_e32 v160, 32, v160
	s_delay_alu instid0(VALU_DEP_1) | instskip(SKIP_1) | instid1(VALU_DEP_1)
	v_subrev_nc_u32_e32 v161, 29, v160
	v_sub_nc_u32_e32 v160, 30, v160
	v_dual_cndmask_b32 v160, v162, v160 :: v_dual_lshlrev_b32 v161, v161, v150
	v_lshlrev_b32_e32 v150, 24, v150
	s_delay_alu instid0(VALU_DEP_2) | instskip(NEXT) | instid1(VALU_DEP_3)
	v_and_b32_e32 v161, 3, v161
	v_lshl_add_u32 v160, v160, 23, 0x37800000
	s_delay_alu instid0(VALU_DEP_2) | instskip(NEXT) | instid1(VALU_DEP_1)
	v_dual_cndmask_b32 v135, v135, v161 :: v_dual_and_b32 v150, 0x80000000, v150
	v_lshlrev_b32_e32 v135, 21, v135
	s_delay_alu instid0(VALU_DEP_1)
	v_or3_b32 v135, v150, v160, v135
.LBB2_2786:                             ;   in Loop: Header=BB2_2656 Depth=4
	s_or_b32 exec_lo, exec_lo, s34
	s_delay_alu instid0(VALU_DEP_1) | instskip(NEXT) | instid1(VALU_DEP_1)
	v_add_f32_e32 v150, v151, v135
	v_and_b32_e32 v135, 0x7f800000, v150
	s_delay_alu instid0(VALU_DEP_1)
	v_cmp_ne_u32_e32 vcc_lo, 0x7f800000, v135
	v_mov_b32_e32 v135, 0x80
	s_and_saveexec_b32 s34, vcc_lo
	s_cbranch_execz .LBB2_2794
; %bb.2787:                             ;   in Loop: Header=BB2_2656 Depth=4
	v_mov_b32_e32 v135, 0
	s_mov_b32 s35, exec_lo
	v_cmpx_ne_u32_e32 0, v150
	s_cbranch_execz .LBB2_2793
; %bb.2788:                             ;   in Loop: Header=BB2_2656 Depth=4
	v_bfe_u32 v135, v150, 23, 8
	s_delay_alu instid0(VALU_DEP_1) | instskip(SKIP_1) | instid1(VALU_DEP_2)
	v_sub_nc_u32_e32 v160, 0x70, v135
	v_cmp_gt_u32_e32 vcc_lo, 0x71, v135
	v_dual_cndmask_b32 v160, 0, v160 :: v_dual_and_b32 v151, 0x7fffff, v150
	s_delay_alu instid0(VALU_DEP_1) | instskip(SKIP_2) | instid1(VALU_DEP_4)
	v_or_b32_e32 v161, 0x800000, v151
	v_cmp_eq_u32_e32 vcc_lo, 0, v135
	v_add_nc_u32_e32 v135, 0xffffff91, v135
	v_cndmask_b32_e64 v160, v160, 0x6f, vcc_lo
	s_delay_alu instid0(VALU_DEP_4) | instskip(NEXT) | instid1(VALU_DEP_3)
	v_cndmask_b32_e32 v151, v161, v151, vcc_lo
	v_cndmask_b32_e64 v135, v135, 0xffffff92, vcc_lo
	s_delay_alu instid0(VALU_DEP_3) | instskip(NEXT) | instid1(VALU_DEP_3)
	v_lshl_add_u32 v161, 0x200000, v160, -1
	v_lshrrev_b32_e32 v162, v160, v151
	v_lshlrev_b32_e64 v164, v160, 0x100000
	s_delay_alu instid0(VALU_DEP_4) | instskip(NEXT) | instid1(VALU_DEP_4)
	v_add_nc_u32_e32 v160, v160, v135
	v_and_b32_e32 v151, v161, v151
	s_delay_alu instid0(VALU_DEP_4) | instskip(NEXT) | instid1(VALU_DEP_2)
	v_bfe_u32 v163, v162, 21, 1
	v_cmp_eq_u32_e64 s13, v151, v164
	s_delay_alu instid0(VALU_DEP_2) | instskip(NEXT) | instid1(VALU_DEP_1)
	v_add_nc_u32_e32 v161, -1, v163
	v_cndmask_b32_e64 v151, 0, v161, s13
	v_lshrrev_b32_e32 v161, 23, v162
	s_mov_b32 s13, exec_lo
	s_delay_alu instid0(VALU_DEP_2) | instskip(NEXT) | instid1(VALU_DEP_2)
	v_add_nc_u32_e32 v151, v151, v162
	v_xor_b32_e32 v161, 1, v161
	s_delay_alu instid0(VALU_DEP_2) | instskip(NEXT) | instid1(VALU_DEP_1)
	v_and_b32_e32 v135, 0x1fffff, v151
	v_add_nc_u32_e32 v151, v135, v162
                                        ; implicit-def: $vgpr135
	s_delay_alu instid0(VALU_DEP_3)
	v_cmpx_ne_u32_e64 v160, v161
	s_xor_b32 s13, exec_lo, s13
; %bb.2789:                             ;   in Loop: Header=BB2_2656 Depth=4
	s_delay_alu instid0(VALU_DEP_2) | instskip(SKIP_2) | instid1(VALU_DEP_2)
	v_cmp_lt_u32_e32 vcc_lo, 0xffffff, v151
	v_sub_nc_u32_e32 v135, v160, v161
	v_cndmask_b32_e64 v160, 0, 1, vcc_lo
	v_add_co_ci_u32_e32 v135, vcc_lo, 0, v135, vcc_lo
	s_delay_alu instid0(VALU_DEP_2)
	v_lshrrev_b32_e32 v151, v160, v151
; %bb.2790:                             ;   in Loop: Header=BB2_2656 Depth=4
	s_and_not1_saveexec_b32 s13, s13
; %bb.2791:                             ;   in Loop: Header=BB2_2656 Depth=4
	s_delay_alu instid0(VALU_DEP_1)
	v_bfe_u32 v135, v151, 23, 1
; %bb.2792:                             ;   in Loop: Header=BB2_2656 Depth=4
	s_or_b32 exec_lo, exec_lo, s13
	v_lshrrev_b32_e32 v151, 21, v151
	s_delay_alu instid0(VALU_DEP_2) | instskip(SKIP_2) | instid1(VALU_DEP_2)
	v_cmp_gt_i32_e32 vcc_lo, 32, v135
	v_lshrrev_b32_e32 v150, 24, v150
	v_min_i32_e32 v160, 31, v135
	v_dual_cndmask_b32 v151, 3, v151 :: v_dual_and_b32 v150, 0x80, v150
	s_delay_alu instid0(VALU_DEP_1) | instskip(SKIP_1) | instid1(VALU_DEP_2)
	v_or_b32_e32 v135, v135, v151
	v_and_b32_e32 v161, 3, v151
	v_cmp_ne_u32_e32 vcc_lo, 0, v135
	v_lshlrev_b32_e32 v160, 2, v160
	s_delay_alu instid0(VALU_DEP_1) | instskip(NEXT) | instid1(VALU_DEP_1)
	v_or3_b32 v150, v160, v150, v161
	v_cndmask_b32_e32 v135, 0, v150, vcc_lo
.LBB2_2793:                             ;   in Loop: Header=BB2_2656 Depth=4
	s_or_b32 exec_lo, exec_lo, s35
.LBB2_2794:                             ;   in Loop: Header=BB2_2656 Depth=4
	s_delay_alu instid0(SALU_CYCLE_1) | instskip(SKIP_3) | instid1(VALU_DEP_1)
	s_or_b32 exec_lo, exec_lo, s34
	v_and_b32_e32 v151, 0xff, v145
	s_mov_b32 s13, 0
	s_mov_b32 s35, exec_lo
                                        ; implicit-def: $sgpr34
	v_cmpx_lt_i16_e64 0x7f, v151
	s_xor_b32 s35, exec_lo, s35
	s_cbranch_execnz .LBB2_2939
; %bb.2795:                             ;   in Loop: Header=BB2_2656 Depth=4
	s_or_saveexec_b32 s35, s35
	v_mov_b32_e32 v150, s34
	s_xor_b32 exec_lo, exec_lo, s35
	s_cbranch_execnz .LBB2_2942
.LBB2_2796:                             ;   in Loop: Header=BB2_2656 Depth=4
	s_or_b32 exec_lo, exec_lo, s35
	s_and_saveexec_b32 s34, s13
	s_cbranch_execz .LBB2_2798
.LBB2_2797:                             ;   in Loop: Header=BB2_2656 Depth=4
	v_lshrrev_b16 v161, 2, v145
	s_delay_alu instid0(VALU_DEP_1) | instskip(NEXT) | instid1(VALU_DEP_1)
	v_and_b32_e32 v161, 31, v161
	v_cmp_eq_u32_e32 vcc_lo, 0, v161
	v_and_b32_e32 v150, 3, v145
	s_delay_alu instid0(VALU_DEP_1) | instskip(NEXT) | instid1(VALU_DEP_1)
	v_clz_i32_u32_e32 v151, v150
	v_min_u32_e32 v151, 32, v151
	s_delay_alu instid0(VALU_DEP_1) | instskip(SKIP_1) | instid1(VALU_DEP_1)
	v_subrev_nc_u32_e32 v160, 29, v151
	v_sub_nc_u32_e32 v151, 30, v151
	v_dual_cndmask_b32 v151, v161, v151 :: v_dual_lshlrev_b32 v160, v160, v145
	v_lshlrev_b32_e32 v145, 24, v145
	s_delay_alu instid0(VALU_DEP_2) | instskip(NEXT) | instid1(VALU_DEP_3)
	v_and_b32_e32 v160, 3, v160
	v_lshl_add_u32 v151, v151, 23, 0x37800000
	s_delay_alu instid0(VALU_DEP_2) | instskip(NEXT) | instid1(VALU_DEP_1)
	v_dual_cndmask_b32 v150, v150, v160 :: v_dual_and_b32 v145, 0x80000000, v145
	v_lshlrev_b32_e32 v150, 21, v150
	s_delay_alu instid0(VALU_DEP_1)
	v_or3_b32 v150, v145, v151, v150
.LBB2_2798:                             ;   in Loop: Header=BB2_2656 Depth=4
	s_or_b32 exec_lo, exec_lo, s34
	s_waitcnt vmcnt(5) lgkmcnt(5)
	v_and_b32_e32 v151, 0xff, v149
	s_mov_b32 s13, 0
	s_mov_b32 s35, exec_lo
                                        ; implicit-def: $sgpr34
	s_delay_alu instid0(VALU_DEP_1)
	v_cmpx_lt_i16_e64 0x7f, v151
	s_xor_b32 s35, exec_lo, s35
	s_cbranch_execnz .LBB2_2943
; %bb.2799:                             ;   in Loop: Header=BB2_2656 Depth=4
	s_or_saveexec_b32 s35, s35
	v_mov_b32_e32 v145, s34
	s_xor_b32 exec_lo, exec_lo, s35
	s_cbranch_execnz .LBB2_2946
.LBB2_2800:                             ;   in Loop: Header=BB2_2656 Depth=4
	s_or_b32 exec_lo, exec_lo, s35
	s_and_saveexec_b32 s34, s13
	s_cbranch_execz .LBB2_2802
.LBB2_2801:                             ;   in Loop: Header=BB2_2656 Depth=4
	v_and_b32_e32 v145, 3, v149
	v_lshrrev_b16 v161, 2, v149
	s_delay_alu instid0(VALU_DEP_2) | instskip(NEXT) | instid1(VALU_DEP_2)
	v_clz_i32_u32_e32 v151, v145
	v_and_b32_e32 v161, 31, v161
	s_delay_alu instid0(VALU_DEP_2) | instskip(NEXT) | instid1(VALU_DEP_2)
	v_min_u32_e32 v151, 32, v151
	v_cmp_eq_u32_e32 vcc_lo, 0, v161
	s_delay_alu instid0(VALU_DEP_2) | instskip(SKIP_1) | instid1(VALU_DEP_1)
	v_subrev_nc_u32_e32 v160, 29, v151
	v_sub_nc_u32_e32 v151, 30, v151
	v_dual_cndmask_b32 v151, v161, v151 :: v_dual_lshlrev_b32 v160, v160, v149
	v_lshlrev_b32_e32 v149, 24, v149
	s_delay_alu instid0(VALU_DEP_2) | instskip(NEXT) | instid1(VALU_DEP_3)
	v_and_b32_e32 v160, 3, v160
	v_lshl_add_u32 v151, v151, 23, 0x37800000
	s_delay_alu instid0(VALU_DEP_3) | instskip(NEXT) | instid1(VALU_DEP_3)
	v_and_b32_e32 v149, 0x80000000, v149
	v_cndmask_b32_e32 v145, v145, v160, vcc_lo
	s_delay_alu instid0(VALU_DEP_1) | instskip(NEXT) | instid1(VALU_DEP_1)
	v_lshlrev_b32_e32 v145, 21, v145
	v_or3_b32 v145, v149, v151, v145
.LBB2_2802:                             ;   in Loop: Header=BB2_2656 Depth=4
	s_or_b32 exec_lo, exec_lo, s34
	s_delay_alu instid0(VALU_DEP_1) | instskip(NEXT) | instid1(VALU_DEP_1)
	v_add_f32_e32 v149, v150, v145
	v_and_b32_e32 v145, 0x7f800000, v149
	s_delay_alu instid0(VALU_DEP_1)
	v_cmp_ne_u32_e32 vcc_lo, 0x7f800000, v145
	v_mov_b32_e32 v145, 0x80
	s_and_saveexec_b32 s34, vcc_lo
	s_cbranch_execz .LBB2_2810
; %bb.2803:                             ;   in Loop: Header=BB2_2656 Depth=4
	v_mov_b32_e32 v145, 0
	s_mov_b32 s35, exec_lo
	v_cmpx_ne_u32_e32 0, v149
	s_cbranch_execz .LBB2_2809
; %bb.2804:                             ;   in Loop: Header=BB2_2656 Depth=4
	v_bfe_u32 v145, v149, 23, 8
	s_delay_alu instid0(VALU_DEP_1) | instskip(SKIP_1) | instid1(VALU_DEP_2)
	v_sub_nc_u32_e32 v151, 0x70, v145
	v_cmp_gt_u32_e32 vcc_lo, 0x71, v145
	v_dual_cndmask_b32 v151, 0, v151 :: v_dual_and_b32 v150, 0x7fffff, v149
	s_delay_alu instid0(VALU_DEP_1) | instskip(SKIP_2) | instid1(VALU_DEP_4)
	v_or_b32_e32 v160, 0x800000, v150
	v_cmp_eq_u32_e32 vcc_lo, 0, v145
	v_add_nc_u32_e32 v145, 0xffffff91, v145
	v_cndmask_b32_e64 v151, v151, 0x6f, vcc_lo
	s_delay_alu instid0(VALU_DEP_4) | instskip(NEXT) | instid1(VALU_DEP_3)
	v_cndmask_b32_e32 v150, v160, v150, vcc_lo
	v_cndmask_b32_e64 v145, v145, 0xffffff92, vcc_lo
	s_delay_alu instid0(VALU_DEP_3) | instskip(NEXT) | instid1(VALU_DEP_3)
	v_lshl_add_u32 v160, 0x200000, v151, -1
	v_lshrrev_b32_e32 v161, v151, v150
	v_lshlrev_b32_e64 v163, v151, 0x100000
	s_delay_alu instid0(VALU_DEP_4) | instskip(NEXT) | instid1(VALU_DEP_4)
	v_add_nc_u32_e32 v151, v151, v145
	v_and_b32_e32 v150, v160, v150
	s_delay_alu instid0(VALU_DEP_4) | instskip(NEXT) | instid1(VALU_DEP_2)
	v_bfe_u32 v162, v161, 21, 1
	v_cmp_eq_u32_e64 s13, v150, v163
	s_delay_alu instid0(VALU_DEP_2) | instskip(NEXT) | instid1(VALU_DEP_1)
	v_add_nc_u32_e32 v160, -1, v162
	v_cndmask_b32_e64 v150, 0, v160, s13
	v_lshrrev_b32_e32 v160, 23, v161
	s_mov_b32 s13, exec_lo
	s_delay_alu instid0(VALU_DEP_2) | instskip(NEXT) | instid1(VALU_DEP_2)
	v_add_nc_u32_e32 v150, v150, v161
	v_xor_b32_e32 v160, 1, v160
	s_delay_alu instid0(VALU_DEP_2) | instskip(NEXT) | instid1(VALU_DEP_1)
	v_and_b32_e32 v145, 0x1fffff, v150
	v_add_nc_u32_e32 v150, v145, v161
                                        ; implicit-def: $vgpr145
	s_delay_alu instid0(VALU_DEP_3)
	v_cmpx_ne_u32_e64 v151, v160
	s_xor_b32 s13, exec_lo, s13
; %bb.2805:                             ;   in Loop: Header=BB2_2656 Depth=4
	s_delay_alu instid0(VALU_DEP_2) | instskip(SKIP_2) | instid1(VALU_DEP_2)
	v_cmp_lt_u32_e32 vcc_lo, 0xffffff, v150
	v_sub_nc_u32_e32 v145, v151, v160
	v_cndmask_b32_e64 v151, 0, 1, vcc_lo
	v_add_co_ci_u32_e32 v145, vcc_lo, 0, v145, vcc_lo
	s_delay_alu instid0(VALU_DEP_2)
	v_lshrrev_b32_e32 v150, v151, v150
; %bb.2806:                             ;   in Loop: Header=BB2_2656 Depth=4
	s_and_not1_saveexec_b32 s13, s13
; %bb.2807:                             ;   in Loop: Header=BB2_2656 Depth=4
	s_delay_alu instid0(VALU_DEP_1)
	v_bfe_u32 v145, v150, 23, 1
; %bb.2808:                             ;   in Loop: Header=BB2_2656 Depth=4
	s_or_b32 exec_lo, exec_lo, s13
	v_lshrrev_b32_e32 v150, 21, v150
	s_delay_alu instid0(VALU_DEP_2) | instskip(SKIP_2) | instid1(VALU_DEP_2)
	v_cmp_gt_i32_e32 vcc_lo, 32, v145
	v_lshrrev_b32_e32 v149, 24, v149
	v_min_i32_e32 v151, 31, v145
	v_dual_cndmask_b32 v150, 3, v150 :: v_dual_and_b32 v149, 0x80, v149
	s_delay_alu instid0(VALU_DEP_2) | instskip(NEXT) | instid1(VALU_DEP_2)
	v_lshlrev_b32_e32 v151, 2, v151
	v_or_b32_e32 v145, v145, v150
	s_delay_alu instid0(VALU_DEP_1) | instskip(SKIP_1) | instid1(VALU_DEP_1)
	v_cmp_ne_u32_e32 vcc_lo, 0, v145
	v_and_b32_e32 v160, 3, v150
	v_or3_b32 v149, v151, v149, v160
	s_delay_alu instid0(VALU_DEP_1)
	v_cndmask_b32_e32 v145, 0, v149, vcc_lo
.LBB2_2809:                             ;   in Loop: Header=BB2_2656 Depth=4
	s_or_b32 exec_lo, exec_lo, s35
.LBB2_2810:                             ;   in Loop: Header=BB2_2656 Depth=4
	s_delay_alu instid0(SALU_CYCLE_1) | instskip(SKIP_3) | instid1(VALU_DEP_1)
	s_or_b32 exec_lo, exec_lo, s34
	v_and_b32_e32 v150, 0xff, v144
	s_mov_b32 s13, 0
	s_mov_b32 s35, exec_lo
                                        ; implicit-def: $sgpr34
	v_cmpx_lt_i16_e64 0x7f, v150
	s_xor_b32 s35, exec_lo, s35
	s_cbranch_execnz .LBB2_2947
; %bb.2811:                             ;   in Loop: Header=BB2_2656 Depth=4
	s_or_saveexec_b32 s35, s35
	v_mov_b32_e32 v149, s34
	s_xor_b32 exec_lo, exec_lo, s35
	s_cbranch_execnz .LBB2_2950
.LBB2_2812:                             ;   in Loop: Header=BB2_2656 Depth=4
	s_or_b32 exec_lo, exec_lo, s35
	s_and_saveexec_b32 s34, s13
	s_cbranch_execz .LBB2_2814
.LBB2_2813:                             ;   in Loop: Header=BB2_2656 Depth=4
	v_lshrrev_b16 v160, 2, v144
	s_delay_alu instid0(VALU_DEP_1) | instskip(NEXT) | instid1(VALU_DEP_1)
	v_and_b32_e32 v160, 31, v160
	v_cmp_eq_u32_e32 vcc_lo, 0, v160
	v_and_b32_e32 v149, 3, v144
	s_delay_alu instid0(VALU_DEP_1) | instskip(NEXT) | instid1(VALU_DEP_1)
	v_clz_i32_u32_e32 v150, v149
	v_min_u32_e32 v150, 32, v150
	s_delay_alu instid0(VALU_DEP_1) | instskip(SKIP_1) | instid1(VALU_DEP_1)
	v_subrev_nc_u32_e32 v151, 29, v150
	v_sub_nc_u32_e32 v150, 30, v150
	v_dual_cndmask_b32 v150, v160, v150 :: v_dual_lshlrev_b32 v151, v151, v144
	v_lshlrev_b32_e32 v144, 24, v144
	s_delay_alu instid0(VALU_DEP_2) | instskip(NEXT) | instid1(VALU_DEP_3)
	v_and_b32_e32 v151, 3, v151
	v_lshl_add_u32 v150, v150, 23, 0x37800000
	s_delay_alu instid0(VALU_DEP_2) | instskip(NEXT) | instid1(VALU_DEP_1)
	v_dual_cndmask_b32 v149, v149, v151 :: v_dual_and_b32 v144, 0x80000000, v144
	v_lshlrev_b32_e32 v149, 21, v149
	s_delay_alu instid0(VALU_DEP_1)
	v_or3_b32 v149, v144, v150, v149
.LBB2_2814:                             ;   in Loop: Header=BB2_2656 Depth=4
	s_or_b32 exec_lo, exec_lo, s34
	s_waitcnt vmcnt(4) lgkmcnt(4)
	v_and_b32_e32 v150, 0xff, v148
	s_mov_b32 s13, 0
	s_mov_b32 s35, exec_lo
                                        ; implicit-def: $sgpr34
	s_delay_alu instid0(VALU_DEP_1)
	v_cmpx_lt_i16_e64 0x7f, v150
	s_xor_b32 s35, exec_lo, s35
	s_cbranch_execnz .LBB2_2951
; %bb.2815:                             ;   in Loop: Header=BB2_2656 Depth=4
	s_or_saveexec_b32 s35, s35
	v_mov_b32_e32 v144, s34
	s_xor_b32 exec_lo, exec_lo, s35
	s_cbranch_execnz .LBB2_2954
.LBB2_2816:                             ;   in Loop: Header=BB2_2656 Depth=4
	s_or_b32 exec_lo, exec_lo, s35
	s_and_saveexec_b32 s34, s13
	s_cbranch_execz .LBB2_2818
.LBB2_2817:                             ;   in Loop: Header=BB2_2656 Depth=4
	v_and_b32_e32 v144, 3, v148
	v_lshrrev_b16 v160, 2, v148
	s_delay_alu instid0(VALU_DEP_2) | instskip(NEXT) | instid1(VALU_DEP_2)
	v_clz_i32_u32_e32 v150, v144
	v_and_b32_e32 v160, 31, v160
	s_delay_alu instid0(VALU_DEP_2) | instskip(NEXT) | instid1(VALU_DEP_2)
	v_min_u32_e32 v150, 32, v150
	v_cmp_eq_u32_e32 vcc_lo, 0, v160
	s_delay_alu instid0(VALU_DEP_2) | instskip(SKIP_1) | instid1(VALU_DEP_1)
	v_subrev_nc_u32_e32 v151, 29, v150
	v_sub_nc_u32_e32 v150, 30, v150
	v_dual_cndmask_b32 v150, v160, v150 :: v_dual_lshlrev_b32 v151, v151, v148
	v_lshlrev_b32_e32 v148, 24, v148
	s_delay_alu instid0(VALU_DEP_2) | instskip(NEXT) | instid1(VALU_DEP_3)
	v_and_b32_e32 v151, 3, v151
	v_lshl_add_u32 v150, v150, 23, 0x37800000
	s_delay_alu instid0(VALU_DEP_3) | instskip(NEXT) | instid1(VALU_DEP_3)
	v_and_b32_e32 v148, 0x80000000, v148
	v_cndmask_b32_e32 v144, v144, v151, vcc_lo
	s_delay_alu instid0(VALU_DEP_1) | instskip(NEXT) | instid1(VALU_DEP_1)
	v_lshlrev_b32_e32 v144, 21, v144
	v_or3_b32 v144, v148, v150, v144
.LBB2_2818:                             ;   in Loop: Header=BB2_2656 Depth=4
	s_or_b32 exec_lo, exec_lo, s34
	s_delay_alu instid0(VALU_DEP_1) | instskip(NEXT) | instid1(VALU_DEP_1)
	v_add_f32_e32 v148, v149, v144
	v_and_b32_e32 v144, 0x7f800000, v148
	s_delay_alu instid0(VALU_DEP_1)
	v_cmp_ne_u32_e32 vcc_lo, 0x7f800000, v144
	v_mov_b32_e32 v144, 0x80
	s_and_saveexec_b32 s34, vcc_lo
	s_cbranch_execz .LBB2_2826
; %bb.2819:                             ;   in Loop: Header=BB2_2656 Depth=4
	v_mov_b32_e32 v144, 0
	s_mov_b32 s35, exec_lo
	v_cmpx_ne_u32_e32 0, v148
	s_cbranch_execz .LBB2_2825
; %bb.2820:                             ;   in Loop: Header=BB2_2656 Depth=4
	v_bfe_u32 v144, v148, 23, 8
	s_delay_alu instid0(VALU_DEP_1) | instskip(SKIP_1) | instid1(VALU_DEP_2)
	v_sub_nc_u32_e32 v150, 0x70, v144
	v_cmp_gt_u32_e32 vcc_lo, 0x71, v144
	v_dual_cndmask_b32 v150, 0, v150 :: v_dual_and_b32 v149, 0x7fffff, v148
	s_delay_alu instid0(VALU_DEP_1) | instskip(SKIP_2) | instid1(VALU_DEP_4)
	v_or_b32_e32 v151, 0x800000, v149
	v_cmp_eq_u32_e32 vcc_lo, 0, v144
	v_add_nc_u32_e32 v144, 0xffffff91, v144
	v_cndmask_b32_e64 v150, v150, 0x6f, vcc_lo
	s_delay_alu instid0(VALU_DEP_4) | instskip(NEXT) | instid1(VALU_DEP_3)
	v_cndmask_b32_e32 v149, v151, v149, vcc_lo
	v_cndmask_b32_e64 v144, v144, 0xffffff92, vcc_lo
	s_delay_alu instid0(VALU_DEP_3) | instskip(NEXT) | instid1(VALU_DEP_3)
	v_lshl_add_u32 v151, 0x200000, v150, -1
	v_lshrrev_b32_e32 v160, v150, v149
	v_lshlrev_b32_e64 v162, v150, 0x100000
	s_delay_alu instid0(VALU_DEP_4) | instskip(NEXT) | instid1(VALU_DEP_4)
	v_add_nc_u32_e32 v150, v150, v144
	v_and_b32_e32 v149, v151, v149
	s_delay_alu instid0(VALU_DEP_4) | instskip(NEXT) | instid1(VALU_DEP_2)
	v_bfe_u32 v161, v160, 21, 1
	v_cmp_eq_u32_e64 s13, v149, v162
	s_delay_alu instid0(VALU_DEP_2) | instskip(NEXT) | instid1(VALU_DEP_1)
	v_add_nc_u32_e32 v151, -1, v161
	v_cndmask_b32_e64 v149, 0, v151, s13
	v_lshrrev_b32_e32 v151, 23, v160
	s_mov_b32 s13, exec_lo
	s_delay_alu instid0(VALU_DEP_2) | instskip(NEXT) | instid1(VALU_DEP_2)
	v_add_nc_u32_e32 v149, v149, v160
	v_xor_b32_e32 v151, 1, v151
	s_delay_alu instid0(VALU_DEP_2) | instskip(NEXT) | instid1(VALU_DEP_1)
	v_and_b32_e32 v144, 0x1fffff, v149
	v_add_nc_u32_e32 v149, v144, v160
                                        ; implicit-def: $vgpr144
	s_delay_alu instid0(VALU_DEP_3)
	v_cmpx_ne_u32_e64 v150, v151
	s_xor_b32 s13, exec_lo, s13
; %bb.2821:                             ;   in Loop: Header=BB2_2656 Depth=4
	s_delay_alu instid0(VALU_DEP_2) | instskip(SKIP_2) | instid1(VALU_DEP_2)
	v_cmp_lt_u32_e32 vcc_lo, 0xffffff, v149
	v_sub_nc_u32_e32 v144, v150, v151
	v_cndmask_b32_e64 v150, 0, 1, vcc_lo
	v_add_co_ci_u32_e32 v144, vcc_lo, 0, v144, vcc_lo
	s_delay_alu instid0(VALU_DEP_2)
	v_lshrrev_b32_e32 v149, v150, v149
; %bb.2822:                             ;   in Loop: Header=BB2_2656 Depth=4
	s_and_not1_saveexec_b32 s13, s13
; %bb.2823:                             ;   in Loop: Header=BB2_2656 Depth=4
	s_delay_alu instid0(VALU_DEP_1)
	v_bfe_u32 v144, v149, 23, 1
; %bb.2824:                             ;   in Loop: Header=BB2_2656 Depth=4
	s_or_b32 exec_lo, exec_lo, s13
	v_lshrrev_b32_e32 v149, 21, v149
	s_delay_alu instid0(VALU_DEP_2) | instskip(SKIP_2) | instid1(VALU_DEP_2)
	v_cmp_gt_i32_e32 vcc_lo, 32, v144
	v_lshrrev_b32_e32 v148, 24, v148
	v_min_i32_e32 v150, 31, v144
	v_dual_cndmask_b32 v149, 3, v149 :: v_dual_and_b32 v148, 0x80, v148
	s_delay_alu instid0(VALU_DEP_2) | instskip(NEXT) | instid1(VALU_DEP_2)
	v_lshlrev_b32_e32 v150, 2, v150
	v_or_b32_e32 v144, v144, v149
	s_delay_alu instid0(VALU_DEP_1) | instskip(SKIP_1) | instid1(VALU_DEP_1)
	v_cmp_ne_u32_e32 vcc_lo, 0, v144
	v_and_b32_e32 v151, 3, v149
	v_or3_b32 v148, v150, v148, v151
	s_delay_alu instid0(VALU_DEP_1)
	v_cndmask_b32_e32 v144, 0, v148, vcc_lo
.LBB2_2825:                             ;   in Loop: Header=BB2_2656 Depth=4
	s_or_b32 exec_lo, exec_lo, s35
.LBB2_2826:                             ;   in Loop: Header=BB2_2656 Depth=4
	s_delay_alu instid0(SALU_CYCLE_1) | instskip(SKIP_3) | instid1(VALU_DEP_1)
	s_or_b32 exec_lo, exec_lo, s34
	v_and_b32_e32 v149, 0xff, v134
	s_mov_b32 s13, 0
	s_mov_b32 s35, exec_lo
                                        ; implicit-def: $sgpr34
	v_cmpx_lt_i16_e64 0x7f, v149
	s_xor_b32 s35, exec_lo, s35
	s_cbranch_execnz .LBB2_2955
; %bb.2827:                             ;   in Loop: Header=BB2_2656 Depth=4
	s_or_saveexec_b32 s35, s35
	v_mov_b32_e32 v148, s34
	s_xor_b32 exec_lo, exec_lo, s35
	s_cbranch_execnz .LBB2_2958
.LBB2_2828:                             ;   in Loop: Header=BB2_2656 Depth=4
	s_or_b32 exec_lo, exec_lo, s35
	s_and_saveexec_b32 s34, s13
	s_cbranch_execz .LBB2_2830
.LBB2_2829:                             ;   in Loop: Header=BB2_2656 Depth=4
	v_lshrrev_b16 v151, 2, v134
	s_delay_alu instid0(VALU_DEP_1) | instskip(NEXT) | instid1(VALU_DEP_1)
	v_and_b32_e32 v151, 31, v151
	v_cmp_eq_u32_e32 vcc_lo, 0, v151
	v_and_b32_e32 v148, 3, v134
	s_delay_alu instid0(VALU_DEP_1) | instskip(NEXT) | instid1(VALU_DEP_1)
	v_clz_i32_u32_e32 v149, v148
	v_min_u32_e32 v149, 32, v149
	s_delay_alu instid0(VALU_DEP_1) | instskip(SKIP_1) | instid1(VALU_DEP_1)
	v_subrev_nc_u32_e32 v150, 29, v149
	v_sub_nc_u32_e32 v149, 30, v149
	v_dual_cndmask_b32 v149, v151, v149 :: v_dual_lshlrev_b32 v150, v150, v134
	v_lshlrev_b32_e32 v134, 24, v134
	s_delay_alu instid0(VALU_DEP_2) | instskip(NEXT) | instid1(VALU_DEP_3)
	v_and_b32_e32 v150, 3, v150
	v_lshl_add_u32 v149, v149, 23, 0x37800000
	s_delay_alu instid0(VALU_DEP_3) | instskip(NEXT) | instid1(VALU_DEP_3)
	v_and_b32_e32 v134, 0x80000000, v134
	v_cndmask_b32_e32 v148, v148, v150, vcc_lo
	s_delay_alu instid0(VALU_DEP_1) | instskip(NEXT) | instid1(VALU_DEP_1)
	v_lshlrev_b32_e32 v148, 21, v148
	v_or3_b32 v148, v134, v149, v148
.LBB2_2830:                             ;   in Loop: Header=BB2_2656 Depth=4
	s_or_b32 exec_lo, exec_lo, s34
	s_waitcnt vmcnt(3) lgkmcnt(3)
	v_and_b32_e32 v149, 0xff, v147
	s_mov_b32 s13, 0
	s_mov_b32 s35, exec_lo
                                        ; implicit-def: $sgpr34
	s_delay_alu instid0(VALU_DEP_1)
	v_cmpx_lt_i16_e64 0x7f, v149
	s_xor_b32 s35, exec_lo, s35
	s_cbranch_execnz .LBB2_2959
; %bb.2831:                             ;   in Loop: Header=BB2_2656 Depth=4
	s_or_saveexec_b32 s35, s35
	v_mov_b32_e32 v134, s34
	s_xor_b32 exec_lo, exec_lo, s35
	s_cbranch_execnz .LBB2_2962
.LBB2_2832:                             ;   in Loop: Header=BB2_2656 Depth=4
	s_or_b32 exec_lo, exec_lo, s35
	s_and_saveexec_b32 s34, s13
	s_cbranch_execz .LBB2_2834
.LBB2_2833:                             ;   in Loop: Header=BB2_2656 Depth=4
	v_lshrrev_b16 v151, 2, v147
	s_delay_alu instid0(VALU_DEP_1) | instskip(NEXT) | instid1(VALU_DEP_1)
	v_and_b32_e32 v151, 31, v151
	v_cmp_eq_u32_e32 vcc_lo, 0, v151
	v_and_b32_e32 v134, 3, v147
	s_delay_alu instid0(VALU_DEP_1) | instskip(NEXT) | instid1(VALU_DEP_1)
	v_clz_i32_u32_e32 v149, v134
	v_min_u32_e32 v149, 32, v149
	s_delay_alu instid0(VALU_DEP_1) | instskip(SKIP_1) | instid1(VALU_DEP_1)
	v_subrev_nc_u32_e32 v150, 29, v149
	v_sub_nc_u32_e32 v149, 30, v149
	v_dual_cndmask_b32 v149, v151, v149 :: v_dual_lshlrev_b32 v150, v150, v147
	v_lshlrev_b32_e32 v147, 24, v147
	s_delay_alu instid0(VALU_DEP_2) | instskip(NEXT) | instid1(VALU_DEP_3)
	v_and_b32_e32 v150, 3, v150
	v_lshl_add_u32 v149, v149, 23, 0x37800000
	s_delay_alu instid0(VALU_DEP_2) | instskip(NEXT) | instid1(VALU_DEP_1)
	v_dual_cndmask_b32 v134, v134, v150 :: v_dual_and_b32 v147, 0x80000000, v147
	v_lshlrev_b32_e32 v134, 21, v134
	s_delay_alu instid0(VALU_DEP_1)
	v_or3_b32 v134, v147, v149, v134
.LBB2_2834:                             ;   in Loop: Header=BB2_2656 Depth=4
	s_or_b32 exec_lo, exec_lo, s34
	s_delay_alu instid0(VALU_DEP_1) | instskip(NEXT) | instid1(VALU_DEP_1)
	v_add_f32_e32 v147, v148, v134
	v_and_b32_e32 v134, 0x7f800000, v147
	s_delay_alu instid0(VALU_DEP_1)
	v_cmp_ne_u32_e32 vcc_lo, 0x7f800000, v134
	v_mov_b32_e32 v134, 0x80
	s_and_saveexec_b32 s34, vcc_lo
	s_cbranch_execz .LBB2_2842
; %bb.2835:                             ;   in Loop: Header=BB2_2656 Depth=4
	v_mov_b32_e32 v134, 0
	s_mov_b32 s35, exec_lo
	v_cmpx_ne_u32_e32 0, v147
	s_cbranch_execz .LBB2_2841
; %bb.2836:                             ;   in Loop: Header=BB2_2656 Depth=4
	v_bfe_u32 v134, v147, 23, 8
	s_delay_alu instid0(VALU_DEP_1) | instskip(SKIP_1) | instid1(VALU_DEP_2)
	v_sub_nc_u32_e32 v149, 0x70, v134
	v_cmp_gt_u32_e32 vcc_lo, 0x71, v134
	v_dual_cndmask_b32 v149, 0, v149 :: v_dual_and_b32 v148, 0x7fffff, v147
	s_delay_alu instid0(VALU_DEP_1) | instskip(SKIP_2) | instid1(VALU_DEP_4)
	v_or_b32_e32 v150, 0x800000, v148
	v_cmp_eq_u32_e32 vcc_lo, 0, v134
	v_add_nc_u32_e32 v134, 0xffffff91, v134
	v_cndmask_b32_e64 v149, v149, 0x6f, vcc_lo
	s_delay_alu instid0(VALU_DEP_2) | instskip(SKIP_1) | instid1(VALU_DEP_3)
	v_cndmask_b32_e64 v134, v134, 0xffffff92, vcc_lo
	v_cndmask_b32_e32 v148, v150, v148, vcc_lo
	v_lshl_add_u32 v150, 0x200000, v149, -1
	v_lshlrev_b32_e64 v161, v149, 0x100000
	s_delay_alu instid0(VALU_DEP_3) | instskip(SKIP_1) | instid1(VALU_DEP_4)
	v_lshrrev_b32_e32 v151, v149, v148
	v_add_nc_u32_e32 v149, v149, v134
	v_and_b32_e32 v148, v150, v148
	s_delay_alu instid0(VALU_DEP_3) | instskip(NEXT) | instid1(VALU_DEP_2)
	v_bfe_u32 v160, v151, 21, 1
	v_cmp_eq_u32_e64 s13, v148, v161
	s_delay_alu instid0(VALU_DEP_2) | instskip(NEXT) | instid1(VALU_DEP_1)
	v_add_nc_u32_e32 v150, -1, v160
	v_cndmask_b32_e64 v148, 0, v150, s13
	v_lshrrev_b32_e32 v150, 23, v151
	s_mov_b32 s13, exec_lo
	s_delay_alu instid0(VALU_DEP_2) | instskip(NEXT) | instid1(VALU_DEP_2)
	v_add_nc_u32_e32 v148, v148, v151
	v_xor_b32_e32 v150, 1, v150
	s_delay_alu instid0(VALU_DEP_2) | instskip(NEXT) | instid1(VALU_DEP_1)
	v_and_b32_e32 v134, 0x1fffff, v148
	v_add_nc_u32_e32 v148, v134, v151
                                        ; implicit-def: $vgpr134
	s_delay_alu instid0(VALU_DEP_3)
	v_cmpx_ne_u32_e64 v149, v150
	s_xor_b32 s13, exec_lo, s13
; %bb.2837:                             ;   in Loop: Header=BB2_2656 Depth=4
	s_delay_alu instid0(VALU_DEP_2) | instskip(SKIP_2) | instid1(VALU_DEP_2)
	v_cmp_lt_u32_e32 vcc_lo, 0xffffff, v148
	v_sub_nc_u32_e32 v134, v149, v150
	v_cndmask_b32_e64 v149, 0, 1, vcc_lo
	v_add_co_ci_u32_e32 v134, vcc_lo, 0, v134, vcc_lo
	s_delay_alu instid0(VALU_DEP_2)
	v_lshrrev_b32_e32 v148, v149, v148
; %bb.2838:                             ;   in Loop: Header=BB2_2656 Depth=4
	s_and_not1_saveexec_b32 s13, s13
; %bb.2839:                             ;   in Loop: Header=BB2_2656 Depth=4
	s_delay_alu instid0(VALU_DEP_1)
	v_bfe_u32 v134, v148, 23, 1
; %bb.2840:                             ;   in Loop: Header=BB2_2656 Depth=4
	s_or_b32 exec_lo, exec_lo, s13
	v_lshrrev_b32_e32 v148, 21, v148
	s_delay_alu instid0(VALU_DEP_2) | instskip(SKIP_2) | instid1(VALU_DEP_2)
	v_cmp_gt_i32_e32 vcc_lo, 32, v134
	v_lshrrev_b32_e32 v147, 24, v147
	v_min_i32_e32 v149, 31, v134
	v_dual_cndmask_b32 v148, 3, v148 :: v_dual_and_b32 v147, 0x80, v147
	s_delay_alu instid0(VALU_DEP_1) | instskip(SKIP_1) | instid1(VALU_DEP_2)
	v_or_b32_e32 v134, v134, v148
	v_and_b32_e32 v150, 3, v148
	v_cmp_ne_u32_e32 vcc_lo, 0, v134
	v_lshlrev_b32_e32 v149, 2, v149
	s_delay_alu instid0(VALU_DEP_1) | instskip(NEXT) | instid1(VALU_DEP_1)
	v_or3_b32 v147, v149, v147, v150
	v_cndmask_b32_e32 v134, 0, v147, vcc_lo
.LBB2_2841:                             ;   in Loop: Header=BB2_2656 Depth=4
	s_or_b32 exec_lo, exec_lo, s35
.LBB2_2842:                             ;   in Loop: Header=BB2_2656 Depth=4
	s_delay_alu instid0(SALU_CYCLE_1) | instskip(SKIP_3) | instid1(VALU_DEP_1)
	s_or_b32 exec_lo, exec_lo, s34
	v_and_b32_e32 v148, 0xff, v131
	s_mov_b32 s13, 0
	s_mov_b32 s35, exec_lo
                                        ; implicit-def: $sgpr34
	v_cmpx_lt_i16_e64 0x7f, v148
	s_xor_b32 s35, exec_lo, s35
	s_cbranch_execnz .LBB2_2963
; %bb.2843:                             ;   in Loop: Header=BB2_2656 Depth=4
	s_or_saveexec_b32 s35, s35
	v_mov_b32_e32 v147, s34
	s_xor_b32 exec_lo, exec_lo, s35
	s_cbranch_execnz .LBB2_2966
.LBB2_2844:                             ;   in Loop: Header=BB2_2656 Depth=4
	s_or_b32 exec_lo, exec_lo, s35
	s_and_saveexec_b32 s34, s13
	s_cbranch_execz .LBB2_2846
.LBB2_2845:                             ;   in Loop: Header=BB2_2656 Depth=4
	v_lshrrev_b16 v150, 2, v131
	s_delay_alu instid0(VALU_DEP_1) | instskip(NEXT) | instid1(VALU_DEP_1)
	v_and_b32_e32 v150, 31, v150
	v_cmp_eq_u32_e32 vcc_lo, 0, v150
	v_and_b32_e32 v147, 3, v131
	s_delay_alu instid0(VALU_DEP_1) | instskip(NEXT) | instid1(VALU_DEP_1)
	v_clz_i32_u32_e32 v148, v147
	v_min_u32_e32 v148, 32, v148
	s_delay_alu instid0(VALU_DEP_1) | instskip(SKIP_1) | instid1(VALU_DEP_1)
	v_subrev_nc_u32_e32 v149, 29, v148
	v_sub_nc_u32_e32 v148, 30, v148
	v_dual_cndmask_b32 v148, v150, v148 :: v_dual_lshlrev_b32 v149, v149, v131
	v_lshlrev_b32_e32 v131, 24, v131
	s_delay_alu instid0(VALU_DEP_2) | instskip(NEXT) | instid1(VALU_DEP_3)
	v_and_b32_e32 v149, 3, v149
	v_lshl_add_u32 v148, v148, 23, 0x37800000
	s_delay_alu instid0(VALU_DEP_3) | instskip(NEXT) | instid1(VALU_DEP_3)
	v_and_b32_e32 v131, 0x80000000, v131
	v_cndmask_b32_e32 v147, v147, v149, vcc_lo
	s_delay_alu instid0(VALU_DEP_1) | instskip(NEXT) | instid1(VALU_DEP_1)
	v_lshlrev_b32_e32 v147, 21, v147
	v_or3_b32 v147, v131, v148, v147
.LBB2_2846:                             ;   in Loop: Header=BB2_2656 Depth=4
	s_or_b32 exec_lo, exec_lo, s34
	s_waitcnt vmcnt(2) lgkmcnt(2)
	v_and_b32_e32 v148, 0xff, v146
	s_mov_b32 s13, 0
	s_mov_b32 s35, exec_lo
                                        ; implicit-def: $sgpr34
	s_delay_alu instid0(VALU_DEP_1)
	v_cmpx_lt_i16_e64 0x7f, v148
	s_xor_b32 s35, exec_lo, s35
	s_cbranch_execnz .LBB2_2967
; %bb.2847:                             ;   in Loop: Header=BB2_2656 Depth=4
	s_or_saveexec_b32 s35, s35
	v_mov_b32_e32 v131, s34
	s_xor_b32 exec_lo, exec_lo, s35
	s_cbranch_execnz .LBB2_2970
.LBB2_2848:                             ;   in Loop: Header=BB2_2656 Depth=4
	s_or_b32 exec_lo, exec_lo, s35
	s_and_saveexec_b32 s34, s13
	s_cbranch_execz .LBB2_2850
.LBB2_2849:                             ;   in Loop: Header=BB2_2656 Depth=4
	v_lshrrev_b16 v150, 2, v146
	s_delay_alu instid0(VALU_DEP_1) | instskip(NEXT) | instid1(VALU_DEP_1)
	v_and_b32_e32 v150, 31, v150
	v_cmp_eq_u32_e32 vcc_lo, 0, v150
	v_and_b32_e32 v131, 3, v146
	s_delay_alu instid0(VALU_DEP_1) | instskip(NEXT) | instid1(VALU_DEP_1)
	v_clz_i32_u32_e32 v148, v131
	v_min_u32_e32 v148, 32, v148
	s_delay_alu instid0(VALU_DEP_1) | instskip(SKIP_1) | instid1(VALU_DEP_1)
	v_subrev_nc_u32_e32 v149, 29, v148
	v_sub_nc_u32_e32 v148, 30, v148
	v_dual_cndmask_b32 v148, v150, v148 :: v_dual_lshlrev_b32 v149, v149, v146
	v_lshlrev_b32_e32 v146, 24, v146
	s_delay_alu instid0(VALU_DEP_2) | instskip(NEXT) | instid1(VALU_DEP_3)
	v_and_b32_e32 v149, 3, v149
	v_lshl_add_u32 v148, v148, 23, 0x37800000
	s_delay_alu instid0(VALU_DEP_2) | instskip(NEXT) | instid1(VALU_DEP_1)
	v_dual_cndmask_b32 v131, v131, v149 :: v_dual_and_b32 v146, 0x80000000, v146
	v_lshlrev_b32_e32 v131, 21, v131
	s_delay_alu instid0(VALU_DEP_1)
	v_or3_b32 v131, v146, v148, v131
.LBB2_2850:                             ;   in Loop: Header=BB2_2656 Depth=4
	s_or_b32 exec_lo, exec_lo, s34
	s_delay_alu instid0(VALU_DEP_1) | instskip(NEXT) | instid1(VALU_DEP_1)
	v_add_f32_e32 v146, v147, v131
	v_and_b32_e32 v131, 0x7f800000, v146
	s_delay_alu instid0(VALU_DEP_1)
	v_cmp_ne_u32_e32 vcc_lo, 0x7f800000, v131
	v_mov_b32_e32 v131, 0x80
	s_and_saveexec_b32 s34, vcc_lo
	s_cbranch_execz .LBB2_2858
; %bb.2851:                             ;   in Loop: Header=BB2_2656 Depth=4
	v_mov_b32_e32 v131, 0
	s_mov_b32 s35, exec_lo
	v_cmpx_ne_u32_e32 0, v146
	s_cbranch_execz .LBB2_2857
; %bb.2852:                             ;   in Loop: Header=BB2_2656 Depth=4
	v_bfe_u32 v131, v146, 23, 8
	s_delay_alu instid0(VALU_DEP_1) | instskip(SKIP_1) | instid1(VALU_DEP_2)
	v_sub_nc_u32_e32 v148, 0x70, v131
	v_cmp_gt_u32_e32 vcc_lo, 0x71, v131
	v_dual_cndmask_b32 v148, 0, v148 :: v_dual_and_b32 v147, 0x7fffff, v146
	s_delay_alu instid0(VALU_DEP_1) | instskip(SKIP_2) | instid1(VALU_DEP_4)
	v_or_b32_e32 v149, 0x800000, v147
	v_cmp_eq_u32_e32 vcc_lo, 0, v131
	v_add_nc_u32_e32 v131, 0xffffff91, v131
	v_cndmask_b32_e64 v148, v148, 0x6f, vcc_lo
	s_delay_alu instid0(VALU_DEP_4) | instskip(NEXT) | instid1(VALU_DEP_3)
	v_cndmask_b32_e32 v147, v149, v147, vcc_lo
	v_cndmask_b32_e64 v131, v131, 0xffffff92, vcc_lo
	s_delay_alu instid0(VALU_DEP_3) | instskip(NEXT) | instid1(VALU_DEP_3)
	v_lshl_add_u32 v149, 0x200000, v148, -1
	v_lshrrev_b32_e32 v150, v148, v147
	v_lshlrev_b32_e64 v160, v148, 0x100000
	s_delay_alu instid0(VALU_DEP_4) | instskip(NEXT) | instid1(VALU_DEP_4)
	v_add_nc_u32_e32 v148, v148, v131
	v_and_b32_e32 v147, v149, v147
	s_delay_alu instid0(VALU_DEP_4) | instskip(NEXT) | instid1(VALU_DEP_2)
	v_bfe_u32 v151, v150, 21, 1
	v_cmp_eq_u32_e64 s13, v147, v160
	s_delay_alu instid0(VALU_DEP_2) | instskip(NEXT) | instid1(VALU_DEP_1)
	v_add_nc_u32_e32 v149, -1, v151
	v_cndmask_b32_e64 v147, 0, v149, s13
	v_lshrrev_b32_e32 v149, 23, v150
	s_mov_b32 s13, exec_lo
	s_delay_alu instid0(VALU_DEP_2) | instskip(NEXT) | instid1(VALU_DEP_2)
	v_add_nc_u32_e32 v147, v147, v150
	v_xor_b32_e32 v149, 1, v149
	s_delay_alu instid0(VALU_DEP_2) | instskip(NEXT) | instid1(VALU_DEP_1)
	v_and_b32_e32 v131, 0x1fffff, v147
	v_add_nc_u32_e32 v147, v131, v150
                                        ; implicit-def: $vgpr131
	s_delay_alu instid0(VALU_DEP_3)
	v_cmpx_ne_u32_e64 v148, v149
	s_xor_b32 s13, exec_lo, s13
; %bb.2853:                             ;   in Loop: Header=BB2_2656 Depth=4
	s_delay_alu instid0(VALU_DEP_2) | instskip(SKIP_2) | instid1(VALU_DEP_2)
	v_cmp_lt_u32_e32 vcc_lo, 0xffffff, v147
	v_sub_nc_u32_e32 v131, v148, v149
	v_cndmask_b32_e64 v148, 0, 1, vcc_lo
	v_add_co_ci_u32_e32 v131, vcc_lo, 0, v131, vcc_lo
	s_delay_alu instid0(VALU_DEP_2)
	v_lshrrev_b32_e32 v147, v148, v147
; %bb.2854:                             ;   in Loop: Header=BB2_2656 Depth=4
	s_and_not1_saveexec_b32 s13, s13
; %bb.2855:                             ;   in Loop: Header=BB2_2656 Depth=4
	s_delay_alu instid0(VALU_DEP_1)
	v_bfe_u32 v131, v147, 23, 1
; %bb.2856:                             ;   in Loop: Header=BB2_2656 Depth=4
	s_or_b32 exec_lo, exec_lo, s13
	v_lshrrev_b32_e32 v147, 21, v147
	s_delay_alu instid0(VALU_DEP_2) | instskip(SKIP_2) | instid1(VALU_DEP_2)
	v_cmp_gt_i32_e32 vcc_lo, 32, v131
	v_lshrrev_b32_e32 v146, 24, v146
	v_min_i32_e32 v148, 31, v131
	v_dual_cndmask_b32 v147, 3, v147 :: v_dual_and_b32 v146, 0x80, v146
	s_delay_alu instid0(VALU_DEP_1) | instskip(SKIP_1) | instid1(VALU_DEP_2)
	v_or_b32_e32 v131, v131, v147
	v_and_b32_e32 v149, 3, v147
	v_cmp_ne_u32_e32 vcc_lo, 0, v131
	v_lshlrev_b32_e32 v148, 2, v148
	s_delay_alu instid0(VALU_DEP_1) | instskip(NEXT) | instid1(VALU_DEP_1)
	v_or3_b32 v146, v148, v146, v149
	v_cndmask_b32_e32 v131, 0, v146, vcc_lo
.LBB2_2857:                             ;   in Loop: Header=BB2_2656 Depth=4
	s_or_b32 exec_lo, exec_lo, s35
.LBB2_2858:                             ;   in Loop: Header=BB2_2656 Depth=4
	s_delay_alu instid0(SALU_CYCLE_1) | instskip(SKIP_3) | instid1(VALU_DEP_1)
	s_or_b32 exec_lo, exec_lo, s34
	v_and_b32_e32 v147, 0xff, v130
	s_mov_b32 s13, 0
	s_mov_b32 s35, exec_lo
                                        ; implicit-def: $sgpr34
	v_cmpx_lt_i16_e64 0x7f, v147
	s_xor_b32 s35, exec_lo, s35
	s_cbranch_execnz .LBB2_2971
; %bb.2859:                             ;   in Loop: Header=BB2_2656 Depth=4
	s_or_saveexec_b32 s35, s35
	v_mov_b32_e32 v146, s34
	s_xor_b32 exec_lo, exec_lo, s35
	s_cbranch_execnz .LBB2_2974
.LBB2_2860:                             ;   in Loop: Header=BB2_2656 Depth=4
	s_or_b32 exec_lo, exec_lo, s35
	s_and_saveexec_b32 s34, s13
	s_cbranch_execz .LBB2_2862
.LBB2_2861:                             ;   in Loop: Header=BB2_2656 Depth=4
	v_lshrrev_b16 v149, 2, v130
	s_delay_alu instid0(VALU_DEP_1) | instskip(NEXT) | instid1(VALU_DEP_1)
	v_and_b32_e32 v149, 31, v149
	v_cmp_eq_u32_e32 vcc_lo, 0, v149
	v_and_b32_e32 v146, 3, v130
	s_delay_alu instid0(VALU_DEP_1) | instskip(NEXT) | instid1(VALU_DEP_1)
	v_clz_i32_u32_e32 v147, v146
	v_min_u32_e32 v147, 32, v147
	s_delay_alu instid0(VALU_DEP_1) | instskip(SKIP_1) | instid1(VALU_DEP_1)
	v_subrev_nc_u32_e32 v148, 29, v147
	v_sub_nc_u32_e32 v147, 30, v147
	v_dual_cndmask_b32 v147, v149, v147 :: v_dual_lshlrev_b32 v148, v148, v130
	v_lshlrev_b32_e32 v130, 24, v130
	s_delay_alu instid0(VALU_DEP_2) | instskip(NEXT) | instid1(VALU_DEP_3)
	v_and_b32_e32 v148, 3, v148
	v_lshl_add_u32 v147, v147, 23, 0x37800000
	s_delay_alu instid0(VALU_DEP_3) | instskip(NEXT) | instid1(VALU_DEP_3)
	v_and_b32_e32 v130, 0x80000000, v130
	v_cndmask_b32_e32 v146, v146, v148, vcc_lo
	s_delay_alu instid0(VALU_DEP_1) | instskip(NEXT) | instid1(VALU_DEP_1)
	v_lshlrev_b32_e32 v146, 21, v146
	v_or3_b32 v146, v130, v147, v146
.LBB2_2862:                             ;   in Loop: Header=BB2_2656 Depth=4
	s_or_b32 exec_lo, exec_lo, s34
	s_waitcnt vmcnt(1) lgkmcnt(1)
	v_and_b32_e32 v147, 0xff, v132
	s_mov_b32 s13, 0
	s_mov_b32 s35, exec_lo
                                        ; implicit-def: $sgpr34
	s_delay_alu instid0(VALU_DEP_1)
	v_cmpx_lt_i16_e64 0x7f, v147
	s_xor_b32 s35, exec_lo, s35
	s_cbranch_execnz .LBB2_2975
; %bb.2863:                             ;   in Loop: Header=BB2_2656 Depth=4
	s_or_saveexec_b32 s35, s35
	v_mov_b32_e32 v130, s34
	s_xor_b32 exec_lo, exec_lo, s35
	s_cbranch_execnz .LBB2_2978
.LBB2_2864:                             ;   in Loop: Header=BB2_2656 Depth=4
	s_or_b32 exec_lo, exec_lo, s35
	s_and_saveexec_b32 s34, s13
	s_cbranch_execz .LBB2_2866
.LBB2_2865:                             ;   in Loop: Header=BB2_2656 Depth=4
	v_lshrrev_b16 v149, 2, v132
	s_delay_alu instid0(VALU_DEP_1) | instskip(NEXT) | instid1(VALU_DEP_1)
	v_and_b32_e32 v149, 31, v149
	v_cmp_eq_u32_e32 vcc_lo, 0, v149
	v_and_b32_e32 v130, 3, v132
	s_delay_alu instid0(VALU_DEP_1) | instskip(NEXT) | instid1(VALU_DEP_1)
	v_clz_i32_u32_e32 v147, v130
	v_min_u32_e32 v147, 32, v147
	s_delay_alu instid0(VALU_DEP_1) | instskip(SKIP_1) | instid1(VALU_DEP_1)
	v_subrev_nc_u32_e32 v148, 29, v147
	v_sub_nc_u32_e32 v147, 30, v147
	v_dual_cndmask_b32 v147, v149, v147 :: v_dual_lshlrev_b32 v148, v148, v132
	v_lshlrev_b32_e32 v132, 24, v132
	s_delay_alu instid0(VALU_DEP_2) | instskip(NEXT) | instid1(VALU_DEP_3)
	v_and_b32_e32 v148, 3, v148
	v_lshl_add_u32 v147, v147, 23, 0x37800000
	s_delay_alu instid0(VALU_DEP_3) | instskip(NEXT) | instid1(VALU_DEP_3)
	v_and_b32_e32 v132, 0x80000000, v132
	v_cndmask_b32_e32 v130, v130, v148, vcc_lo
	s_delay_alu instid0(VALU_DEP_1) | instskip(NEXT) | instid1(VALU_DEP_1)
	v_lshlrev_b32_e32 v130, 21, v130
	v_or3_b32 v130, v132, v147, v130
.LBB2_2866:                             ;   in Loop: Header=BB2_2656 Depth=4
	s_or_b32 exec_lo, exec_lo, s34
	s_delay_alu instid0(VALU_DEP_1) | instskip(NEXT) | instid1(VALU_DEP_1)
	v_add_f32_e32 v132, v146, v130
	v_and_b32_e32 v130, 0x7f800000, v132
	s_delay_alu instid0(VALU_DEP_1)
	v_cmp_ne_u32_e32 vcc_lo, 0x7f800000, v130
	v_mov_b32_e32 v130, 0x80
	s_and_saveexec_b32 s34, vcc_lo
	s_cbranch_execz .LBB2_2874
; %bb.2867:                             ;   in Loop: Header=BB2_2656 Depth=4
	v_mov_b32_e32 v130, 0
	s_mov_b32 s35, exec_lo
	v_cmpx_ne_u32_e32 0, v132
	s_cbranch_execz .LBB2_2873
; %bb.2868:                             ;   in Loop: Header=BB2_2656 Depth=4
	v_bfe_u32 v130, v132, 23, 8
	s_delay_alu instid0(VALU_DEP_1) | instskip(SKIP_1) | instid1(VALU_DEP_2)
	v_sub_nc_u32_e32 v147, 0x70, v130
	v_cmp_gt_u32_e32 vcc_lo, 0x71, v130
	v_dual_cndmask_b32 v147, 0, v147 :: v_dual_and_b32 v146, 0x7fffff, v132
	s_delay_alu instid0(VALU_DEP_1) | instskip(SKIP_2) | instid1(VALU_DEP_4)
	v_or_b32_e32 v148, 0x800000, v146
	v_cmp_eq_u32_e32 vcc_lo, 0, v130
	v_add_nc_u32_e32 v130, 0xffffff91, v130
	v_cndmask_b32_e64 v147, v147, 0x6f, vcc_lo
	s_delay_alu instid0(VALU_DEP_4) | instskip(NEXT) | instid1(VALU_DEP_3)
	v_cndmask_b32_e32 v146, v148, v146, vcc_lo
	v_cndmask_b32_e64 v130, v130, 0xffffff92, vcc_lo
	s_delay_alu instid0(VALU_DEP_3) | instskip(NEXT) | instid1(VALU_DEP_3)
	v_lshl_add_u32 v148, 0x200000, v147, -1
	v_lshrrev_b32_e32 v149, v147, v146
	v_lshlrev_b32_e64 v151, v147, 0x100000
	s_delay_alu instid0(VALU_DEP_4) | instskip(NEXT) | instid1(VALU_DEP_4)
	v_add_nc_u32_e32 v147, v147, v130
	v_and_b32_e32 v146, v148, v146
	s_delay_alu instid0(VALU_DEP_4) | instskip(NEXT) | instid1(VALU_DEP_2)
	v_bfe_u32 v150, v149, 21, 1
	v_cmp_eq_u32_e64 s13, v146, v151
	s_delay_alu instid0(VALU_DEP_2) | instskip(NEXT) | instid1(VALU_DEP_1)
	v_add_nc_u32_e32 v148, -1, v150
	v_cndmask_b32_e64 v146, 0, v148, s13
	v_lshrrev_b32_e32 v148, 23, v149
	s_mov_b32 s13, exec_lo
	s_delay_alu instid0(VALU_DEP_2) | instskip(NEXT) | instid1(VALU_DEP_2)
	v_add_nc_u32_e32 v146, v146, v149
	v_xor_b32_e32 v148, 1, v148
	s_delay_alu instid0(VALU_DEP_2) | instskip(NEXT) | instid1(VALU_DEP_1)
	v_and_b32_e32 v130, 0x1fffff, v146
	v_add_nc_u32_e32 v146, v130, v149
                                        ; implicit-def: $vgpr130
	s_delay_alu instid0(VALU_DEP_3)
	v_cmpx_ne_u32_e64 v147, v148
	s_xor_b32 s13, exec_lo, s13
; %bb.2869:                             ;   in Loop: Header=BB2_2656 Depth=4
	s_delay_alu instid0(VALU_DEP_2) | instskip(SKIP_2) | instid1(VALU_DEP_2)
	v_cmp_lt_u32_e32 vcc_lo, 0xffffff, v146
	v_sub_nc_u32_e32 v130, v147, v148
	v_cndmask_b32_e64 v147, 0, 1, vcc_lo
	v_add_co_ci_u32_e32 v130, vcc_lo, 0, v130, vcc_lo
	s_delay_alu instid0(VALU_DEP_2)
	v_lshrrev_b32_e32 v146, v147, v146
; %bb.2870:                             ;   in Loop: Header=BB2_2656 Depth=4
	s_and_not1_saveexec_b32 s13, s13
; %bb.2871:                             ;   in Loop: Header=BB2_2656 Depth=4
	s_delay_alu instid0(VALU_DEP_1)
	v_bfe_u32 v130, v146, 23, 1
; %bb.2872:                             ;   in Loop: Header=BB2_2656 Depth=4
	s_or_b32 exec_lo, exec_lo, s13
	v_lshrrev_b32_e32 v146, 21, v146
	s_delay_alu instid0(VALU_DEP_2) | instskip(SKIP_2) | instid1(VALU_DEP_4)
	v_cmp_gt_i32_e32 vcc_lo, 32, v130
	v_lshrrev_b32_e32 v132, 24, v132
	v_min_i32_e32 v147, 31, v130
	v_cndmask_b32_e32 v146, 3, v146, vcc_lo
	s_delay_alu instid0(VALU_DEP_3) | instskip(NEXT) | instid1(VALU_DEP_3)
	v_and_b32_e32 v132, 0x80, v132
	v_lshlrev_b32_e32 v147, 2, v147
	s_delay_alu instid0(VALU_DEP_3) | instskip(SKIP_1) | instid1(VALU_DEP_2)
	v_and_b32_e32 v148, 3, v146
	v_or_b32_e32 v130, v130, v146
	v_or3_b32 v132, v147, v132, v148
	s_delay_alu instid0(VALU_DEP_2) | instskip(NEXT) | instid1(VALU_DEP_2)
	v_cmp_ne_u32_e32 vcc_lo, 0, v130
	v_cndmask_b32_e32 v130, 0, v132, vcc_lo
.LBB2_2873:                             ;   in Loop: Header=BB2_2656 Depth=4
	s_or_b32 exec_lo, exec_lo, s35
.LBB2_2874:                             ;   in Loop: Header=BB2_2656 Depth=4
	s_delay_alu instid0(SALU_CYCLE_1) | instskip(SKIP_3) | instid1(VALU_DEP_1)
	s_or_b32 exec_lo, exec_lo, s34
	v_and_b32_e32 v146, 0xff, v65
	s_mov_b32 s13, 0
	s_mov_b32 s35, exec_lo
                                        ; implicit-def: $sgpr34
	v_cmpx_lt_i16_e64 0x7f, v146
	s_xor_b32 s35, exec_lo, s35
	s_cbranch_execnz .LBB2_2979
; %bb.2875:                             ;   in Loop: Header=BB2_2656 Depth=4
	s_or_saveexec_b32 s35, s35
	v_mov_b32_e32 v132, s34
	s_xor_b32 exec_lo, exec_lo, s35
	s_cbranch_execnz .LBB2_2982
.LBB2_2876:                             ;   in Loop: Header=BB2_2656 Depth=4
	s_or_b32 exec_lo, exec_lo, s35
	s_and_saveexec_b32 s34, s13
	s_cbranch_execz .LBB2_2878
.LBB2_2877:                             ;   in Loop: Header=BB2_2656 Depth=4
	v_and_b32_e32 v132, 3, v65
	v_lshrrev_b16 v148, 2, v65
	s_delay_alu instid0(VALU_DEP_2) | instskip(NEXT) | instid1(VALU_DEP_2)
	v_clz_i32_u32_e32 v146, v132
	v_and_b32_e32 v148, 31, v148
	s_delay_alu instid0(VALU_DEP_2) | instskip(NEXT) | instid1(VALU_DEP_2)
	v_min_u32_e32 v146, 32, v146
	v_cmp_eq_u32_e32 vcc_lo, 0, v148
	s_delay_alu instid0(VALU_DEP_2) | instskip(SKIP_1) | instid1(VALU_DEP_1)
	v_subrev_nc_u32_e32 v147, 29, v146
	v_sub_nc_u32_e32 v146, 30, v146
	v_dual_cndmask_b32 v146, v148, v146 :: v_dual_lshlrev_b32 v147, v147, v65
	s_delay_alu instid0(VALU_DEP_1) | instskip(SKIP_1) | instid1(VALU_DEP_3)
	v_and_b32_e32 v147, 3, v147
	v_lshlrev_b32_e32 v65, 24, v65
	v_lshl_add_u32 v146, v146, 23, 0x37800000
	s_delay_alu instid0(VALU_DEP_2) | instskip(NEXT) | instid1(VALU_DEP_1)
	v_dual_cndmask_b32 v132, v132, v147 :: v_dual_and_b32 v65, 0x80000000, v65
	v_lshlrev_b32_e32 v132, 21, v132
	s_delay_alu instid0(VALU_DEP_1)
	v_or3_b32 v132, v65, v146, v132
.LBB2_2878:                             ;   in Loop: Header=BB2_2656 Depth=4
	s_or_b32 exec_lo, exec_lo, s34
	s_waitcnt vmcnt(0) lgkmcnt(0)
	v_and_b32_e32 v146, 0xff, v64
	s_mov_b32 s13, 0
	s_mov_b32 s35, exec_lo
                                        ; implicit-def: $sgpr34
	s_delay_alu instid0(VALU_DEP_1)
	v_cmpx_lt_i16_e64 0x7f, v146
	s_xor_b32 s35, exec_lo, s35
	s_cbranch_execnz .LBB2_2983
; %bb.2879:                             ;   in Loop: Header=BB2_2656 Depth=4
	s_or_saveexec_b32 s35, s35
	v_mov_b32_e32 v65, s34
	s_xor_b32 exec_lo, exec_lo, s35
	s_cbranch_execnz .LBB2_2986
.LBB2_2880:                             ;   in Loop: Header=BB2_2656 Depth=4
	s_or_b32 exec_lo, exec_lo, s35
	s_and_saveexec_b32 s34, s13
	s_cbranch_execz .LBB2_2882
.LBB2_2881:                             ;   in Loop: Header=BB2_2656 Depth=4
	v_lshrrev_b16 v148, 2, v64
	s_delay_alu instid0(VALU_DEP_1) | instskip(NEXT) | instid1(VALU_DEP_1)
	v_and_b32_e32 v148, 31, v148
	v_cmp_eq_u32_e32 vcc_lo, 0, v148
	v_and_b32_e32 v65, 3, v64
	s_delay_alu instid0(VALU_DEP_1) | instskip(NEXT) | instid1(VALU_DEP_1)
	v_clz_i32_u32_e32 v146, v65
	v_min_u32_e32 v146, 32, v146
	s_delay_alu instid0(VALU_DEP_1) | instskip(SKIP_1) | instid1(VALU_DEP_1)
	v_subrev_nc_u32_e32 v147, 29, v146
	v_sub_nc_u32_e32 v146, 30, v146
	v_dual_cndmask_b32 v146, v148, v146 :: v_dual_lshlrev_b32 v147, v147, v64
	v_lshlrev_b32_e32 v64, 24, v64
	s_delay_alu instid0(VALU_DEP_2) | instskip(NEXT) | instid1(VALU_DEP_3)
	v_and_b32_e32 v147, 3, v147
	v_lshl_add_u32 v146, v146, 23, 0x37800000
	s_delay_alu instid0(VALU_DEP_2) | instskip(NEXT) | instid1(VALU_DEP_1)
	v_dual_cndmask_b32 v65, v65, v147 :: v_dual_and_b32 v64, 0x80000000, v64
	v_lshlrev_b32_e32 v65, 21, v65
	s_delay_alu instid0(VALU_DEP_1)
	v_or3_b32 v65, v64, v146, v65
.LBB2_2882:                             ;   in Loop: Header=BB2_2656 Depth=4
	s_or_b32 exec_lo, exec_lo, s34
	s_delay_alu instid0(VALU_DEP_1) | instskip(NEXT) | instid1(VALU_DEP_1)
	v_add_f32_e32 v64, v132, v65
	v_and_b32_e32 v65, 0x7f800000, v64
	s_delay_alu instid0(VALU_DEP_1)
	v_cmp_ne_u32_e32 vcc_lo, 0x7f800000, v65
	v_mov_b32_e32 v65, 0x80
	s_and_saveexec_b32 s34, vcc_lo
	s_cbranch_execz .LBB2_2890
; %bb.2883:                             ;   in Loop: Header=BB2_2656 Depth=4
	v_mov_b32_e32 v65, 0
	s_mov_b32 s35, exec_lo
	v_cmpx_ne_u32_e32 0, v64
	s_cbranch_execz .LBB2_2889
; %bb.2884:                             ;   in Loop: Header=BB2_2656 Depth=4
	v_bfe_u32 v65, v64, 23, 8
	v_and_b32_e32 v132, 0x7fffff, v64
	s_delay_alu instid0(VALU_DEP_2) | instskip(SKIP_1) | instid1(VALU_DEP_3)
	v_sub_nc_u32_e32 v146, 0x70, v65
	v_cmp_gt_u32_e32 vcc_lo, 0x71, v65
	v_or_b32_e32 v147, 0x800000, v132
	s_delay_alu instid0(VALU_DEP_3) | instskip(SKIP_2) | instid1(VALU_DEP_3)
	v_cndmask_b32_e32 v146, 0, v146, vcc_lo
	v_cmp_eq_u32_e32 vcc_lo, 0, v65
	v_add_nc_u32_e32 v65, 0xffffff91, v65
	v_cndmask_b32_e64 v146, v146, 0x6f, vcc_lo
	v_cndmask_b32_e32 v132, v147, v132, vcc_lo
	s_delay_alu instid0(VALU_DEP_3) | instskip(NEXT) | instid1(VALU_DEP_3)
	v_cndmask_b32_e64 v65, v65, 0xffffff92, vcc_lo
	v_lshl_add_u32 v147, 0x200000, v146, -1
	s_delay_alu instid0(VALU_DEP_3) | instskip(SKIP_1) | instid1(VALU_DEP_4)
	v_lshrrev_b32_e32 v148, v146, v132
	v_lshlrev_b32_e64 v150, v146, 0x100000
	v_add_nc_u32_e32 v146, v146, v65
	s_delay_alu instid0(VALU_DEP_4) | instskip(NEXT) | instid1(VALU_DEP_4)
	v_and_b32_e32 v132, v147, v132
	v_bfe_u32 v149, v148, 21, 1
	s_delay_alu instid0(VALU_DEP_2) | instskip(NEXT) | instid1(VALU_DEP_2)
	v_cmp_eq_u32_e64 s13, v132, v150
	v_add_nc_u32_e32 v147, -1, v149
	s_delay_alu instid0(VALU_DEP_1) | instskip(SKIP_2) | instid1(VALU_DEP_2)
	v_cndmask_b32_e64 v132, 0, v147, s13
	v_lshrrev_b32_e32 v147, 23, v148
	s_mov_b32 s13, exec_lo
	v_add_nc_u32_e32 v132, v132, v148
	s_delay_alu instid0(VALU_DEP_2) | instskip(NEXT) | instid1(VALU_DEP_2)
	v_xor_b32_e32 v147, 1, v147
	v_and_b32_e32 v65, 0x1fffff, v132
	s_delay_alu instid0(VALU_DEP_1) | instskip(NEXT) | instid1(VALU_DEP_3)
	v_add_nc_u32_e32 v132, v65, v148
                                        ; implicit-def: $vgpr65
	v_cmpx_ne_u32_e64 v146, v147
	s_xor_b32 s13, exec_lo, s13
; %bb.2885:                             ;   in Loop: Header=BB2_2656 Depth=4
	s_delay_alu instid0(VALU_DEP_2) | instskip(SKIP_2) | instid1(VALU_DEP_2)
	v_cmp_lt_u32_e32 vcc_lo, 0xffffff, v132
	v_sub_nc_u32_e32 v65, v146, v147
	v_cndmask_b32_e64 v146, 0, 1, vcc_lo
	v_add_co_ci_u32_e32 v65, vcc_lo, 0, v65, vcc_lo
	s_delay_alu instid0(VALU_DEP_2)
	v_lshrrev_b32_e32 v132, v146, v132
; %bb.2886:                             ;   in Loop: Header=BB2_2656 Depth=4
	s_and_not1_saveexec_b32 s13, s13
; %bb.2887:                             ;   in Loop: Header=BB2_2656 Depth=4
	s_delay_alu instid0(VALU_DEP_1)
	v_bfe_u32 v65, v132, 23, 1
; %bb.2888:                             ;   in Loop: Header=BB2_2656 Depth=4
	s_or_b32 exec_lo, exec_lo, s13
	v_lshrrev_b32_e32 v132, 21, v132
	s_delay_alu instid0(VALU_DEP_2) | instskip(SKIP_2) | instid1(VALU_DEP_4)
	v_cmp_gt_i32_e32 vcc_lo, 32, v65
	v_lshrrev_b32_e32 v64, 24, v64
	v_min_i32_e32 v146, 31, v65
	v_cndmask_b32_e32 v132, 3, v132, vcc_lo
	s_delay_alu instid0(VALU_DEP_3) | instskip(NEXT) | instid1(VALU_DEP_2)
	v_and_b32_e32 v64, 0x80, v64
	v_or_b32_e32 v65, v65, v132
	v_and_b32_e32 v147, 3, v132
	s_delay_alu instid0(VALU_DEP_2) | instskip(SKIP_1) | instid1(VALU_DEP_1)
	v_cmp_ne_u32_e32 vcc_lo, 0, v65
	v_lshlrev_b32_e32 v146, 2, v146
	v_or3_b32 v64, v146, v64, v147
	s_delay_alu instid0(VALU_DEP_1)
	v_cndmask_b32_e32 v65, 0, v64, vcc_lo
.LBB2_2889:                             ;   in Loop: Header=BB2_2656 Depth=4
	s_or_b32 exec_lo, exec_lo, s35
.LBB2_2890:                             ;   in Loop: Header=BB2_2656 Depth=4
	s_delay_alu instid0(SALU_CYCLE_1)
	s_or_b32 exec_lo, exec_lo, s34
	v_add_co_u32 v146, vcc_lo, 0xffffff20, v54
	v_add_co_ci_u32_e32 v147, vcc_lo, -1, v55, vcc_lo
	v_add_co_u32 v148, vcc_lo, 0xffffff40, v54
	v_add_co_ci_u32_e32 v149, vcc_lo, -1, v55, vcc_lo
	v_sub_nc_u32_e32 v2, v2, v71
	flat_store_b8 v[146:147], v129 glc slc dlc
	flat_store_b8 v[148:149], v135 glc slc dlc
	v_add_co_u32 v146, vcc_lo, 0xffffff60, v54
	v_add_co_ci_u32_e32 v147, vcc_lo, -1, v55, vcc_lo
	v_add_co_u32 v148, vcc_lo, 0xffffff80, v54
	v_add_co_ci_u32_e32 v149, vcc_lo, -1, v55, vcc_lo
	;; [unrolled: 2-line block ×5, first 2 shown]
	v_add_co_u32 v8, vcc_lo, v8, v99
	v_add_co_ci_u32_e32 v9, vcc_lo, v9, v100, vcc_lo
	v_add_co_u32 v10, vcc_lo, v10, v99
	v_add_co_ci_u32_e32 v11, vcc_lo, v11, v100, vcc_lo
	flat_store_b8 v[146:147], v145 glc slc dlc
	flat_store_b8 v[148:149], v144 glc slc dlc
	;; [unrolled: 1-line block ×6, first 2 shown]
	v_cmp_gt_i32_e32 vcc_lo, 1, v2
	v_add_co_u32 v54, s13, v54, v99
	s_delay_alu instid0(VALU_DEP_1) | instskip(SKIP_1) | instid1(SALU_CYCLE_1)
	v_add_co_ci_u32_e64 v55, s13, v55, v100, s13
	s_or_b32 s31, vcc_lo, s31
	s_and_not1_b32 exec_lo, exec_lo, s31
	s_cbranch_execnz .LBB2_2656
	s_branch .LBB2_2987
.LBB2_2891:                             ;   in Loop: Header=BB2_2656 Depth=4
	s_mov_b32 s13, -1
	s_mov_b32 s36, exec_lo
                                        ; implicit-def: $sgpr34
	v_cmpx_eq_u16_e32 0x80, v64
; %bb.2892:                             ;   in Loop: Header=BB2_2656 Depth=4
	s_mov_b32 s34, 0x7f800001
	s_xor_b32 s13, exec_lo, -1
; %bb.2893:                             ;   in Loop: Header=BB2_2656 Depth=4
	s_or_b32 exec_lo, exec_lo, s36
	s_delay_alu instid0(SALU_CYCLE_1)
	s_and_b32 s13, s13, exec_lo
	s_or_saveexec_b32 s35, s35
	v_mov_b32_e32 v129, s34
	s_xor_b32 exec_lo, exec_lo, s35
	s_cbranch_execz .LBB2_2668
.LBB2_2894:                             ;   in Loop: Header=BB2_2656 Depth=4
	v_cmp_ne_u16_e32 vcc_lo, 0, v64
	v_mov_b32_e32 v129, 0
	s_and_not1_b32 s13, s13, exec_lo
	s_and_b32 vcc_lo, vcc_lo, exec_lo
	s_delay_alu instid0(SALU_CYCLE_1)
	s_or_b32 s13, s13, vcc_lo
	s_or_b32 exec_lo, exec_lo, s35
	s_and_saveexec_b32 s34, s13
	s_cbranch_execnz .LBB2_2669
	s_branch .LBB2_2670
.LBB2_2895:                             ;   in Loop: Header=BB2_2656 Depth=4
	s_mov_b32 s13, -1
	s_mov_b32 s36, exec_lo
                                        ; implicit-def: $sgpr34
	v_cmpx_eq_u16_e32 0x80, v64
; %bb.2896:                             ;   in Loop: Header=BB2_2656 Depth=4
	s_mov_b32 s34, 0x7f800001
	s_xor_b32 s13, exec_lo, -1
; %bb.2897:                             ;   in Loop: Header=BB2_2656 Depth=4
	s_or_b32 exec_lo, exec_lo, s36
	s_delay_alu instid0(SALU_CYCLE_1)
	s_and_b32 s13, s13, exec_lo
	s_or_saveexec_b32 s35, s35
	v_mov_b32_e32 v130, s34
	s_xor_b32 exec_lo, exec_lo, s35
	s_cbranch_execz .LBB2_2680
.LBB2_2898:                             ;   in Loop: Header=BB2_2656 Depth=4
	v_cmp_ne_u16_e32 vcc_lo, 0, v64
	v_mov_b32_e32 v130, 0
	s_and_not1_b32 s13, s13, exec_lo
	s_and_b32 vcc_lo, vcc_lo, exec_lo
	s_delay_alu instid0(SALU_CYCLE_1)
	s_or_b32 s13, s13, vcc_lo
	s_or_b32 exec_lo, exec_lo, s35
	s_and_saveexec_b32 s34, s13
	s_cbranch_execnz .LBB2_2681
	s_branch .LBB2_2682
.LBB2_2899:                             ;   in Loop: Header=BB2_2656 Depth=4
	s_mov_b32 s13, -1
	s_mov_b32 s36, exec_lo
                                        ; implicit-def: $sgpr34
	v_cmpx_eq_u16_e32 0x80, v64
; %bb.2900:                             ;   in Loop: Header=BB2_2656 Depth=4
	s_mov_b32 s34, 0x7f800001
	s_xor_b32 s13, exec_lo, -1
; %bb.2901:                             ;   in Loop: Header=BB2_2656 Depth=4
	s_or_b32 exec_lo, exec_lo, s36
	s_delay_alu instid0(SALU_CYCLE_1)
	s_and_b32 s13, s13, exec_lo
	s_or_saveexec_b32 s35, s35
	v_mov_b32_e32 v130, s34
	s_xor_b32 exec_lo, exec_lo, s35
	s_cbranch_execz .LBB2_2692
.LBB2_2902:                             ;   in Loop: Header=BB2_2656 Depth=4
	v_cmp_ne_u16_e32 vcc_lo, 0, v64
	v_mov_b32_e32 v130, 0
	s_and_not1_b32 s13, s13, exec_lo
	s_and_b32 vcc_lo, vcc_lo, exec_lo
	s_delay_alu instid0(SALU_CYCLE_1)
	s_or_b32 s13, s13, vcc_lo
	s_or_b32 exec_lo, exec_lo, s35
	s_and_saveexec_b32 s34, s13
	s_cbranch_execnz .LBB2_2693
	s_branch .LBB2_2694
.LBB2_2903:                             ;   in Loop: Header=BB2_2656 Depth=4
	s_mov_b32 s13, -1
	s_mov_b32 s36, exec_lo
                                        ; implicit-def: $sgpr34
	v_cmpx_eq_u16_e32 0x80, v64
; %bb.2904:                             ;   in Loop: Header=BB2_2656 Depth=4
	s_mov_b32 s34, 0x7f800001
	s_xor_b32 s13, exec_lo, -1
; %bb.2905:                             ;   in Loop: Header=BB2_2656 Depth=4
	s_or_b32 exec_lo, exec_lo, s36
	s_delay_alu instid0(SALU_CYCLE_1)
	s_and_b32 s13, s13, exec_lo
	s_or_saveexec_b32 s35, s35
	v_mov_b32_e32 v130, s34
	s_xor_b32 exec_lo, exec_lo, s35
	s_cbranch_execz .LBB2_2704
.LBB2_2906:                             ;   in Loop: Header=BB2_2656 Depth=4
	v_cmp_ne_u16_e32 vcc_lo, 0, v64
	v_mov_b32_e32 v130, 0
	s_and_not1_b32 s13, s13, exec_lo
	s_and_b32 vcc_lo, vcc_lo, exec_lo
	s_delay_alu instid0(SALU_CYCLE_1)
	s_or_b32 s13, s13, vcc_lo
	s_or_b32 exec_lo, exec_lo, s35
	s_and_saveexec_b32 s34, s13
	s_cbranch_execnz .LBB2_2705
	s_branch .LBB2_2706
.LBB2_2907:                             ;   in Loop: Header=BB2_2656 Depth=4
	s_mov_b32 s13, -1
	s_mov_b32 s36, exec_lo
                                        ; implicit-def: $sgpr34
	v_cmpx_eq_u16_e32 0x80, v64
; %bb.2908:                             ;   in Loop: Header=BB2_2656 Depth=4
	s_mov_b32 s34, 0x7f800001
	s_xor_b32 s13, exec_lo, -1
; %bb.2909:                             ;   in Loop: Header=BB2_2656 Depth=4
	s_or_b32 exec_lo, exec_lo, s36
	s_delay_alu instid0(SALU_CYCLE_1)
	s_and_b32 s13, s13, exec_lo
	s_or_saveexec_b32 s35, s35
	v_mov_b32_e32 v130, s34
	s_xor_b32 exec_lo, exec_lo, s35
	s_cbranch_execz .LBB2_2716
.LBB2_2910:                             ;   in Loop: Header=BB2_2656 Depth=4
	v_cmp_ne_u16_e32 vcc_lo, 0, v64
	v_mov_b32_e32 v130, 0
	s_and_not1_b32 s13, s13, exec_lo
	s_and_b32 vcc_lo, vcc_lo, exec_lo
	s_delay_alu instid0(SALU_CYCLE_1)
	s_or_b32 s13, s13, vcc_lo
	s_or_b32 exec_lo, exec_lo, s35
	s_and_saveexec_b32 s34, s13
	s_cbranch_execnz .LBB2_2717
	s_branch .LBB2_2718
.LBB2_2911:                             ;   in Loop: Header=BB2_2656 Depth=4
	s_mov_b32 s13, -1
	s_mov_b32 s36, exec_lo
                                        ; implicit-def: $sgpr34
	v_cmpx_eq_u16_e32 0x80, v64
; %bb.2912:                             ;   in Loop: Header=BB2_2656 Depth=4
	s_mov_b32 s34, 0x7f800001
	s_xor_b32 s13, exec_lo, -1
; %bb.2913:                             ;   in Loop: Header=BB2_2656 Depth=4
	s_or_b32 exec_lo, exec_lo, s36
	s_delay_alu instid0(SALU_CYCLE_1)
	s_and_b32 s13, s13, exec_lo
	s_or_saveexec_b32 s35, s35
	v_mov_b32_e32 v130, s34
	s_xor_b32 exec_lo, exec_lo, s35
	s_cbranch_execz .LBB2_2728
.LBB2_2914:                             ;   in Loop: Header=BB2_2656 Depth=4
	v_cmp_ne_u16_e32 vcc_lo, 0, v64
	v_mov_b32_e32 v130, 0
	s_and_not1_b32 s13, s13, exec_lo
	s_and_b32 vcc_lo, vcc_lo, exec_lo
	s_delay_alu instid0(SALU_CYCLE_1)
	s_or_b32 s13, s13, vcc_lo
	s_or_b32 exec_lo, exec_lo, s35
	s_and_saveexec_b32 s34, s13
	s_cbranch_execnz .LBB2_2729
	s_branch .LBB2_2730
.LBB2_2915:                             ;   in Loop: Header=BB2_2656 Depth=4
	s_mov_b32 s13, -1
	s_mov_b32 s36, exec_lo
                                        ; implicit-def: $sgpr34
	v_cmpx_eq_u16_e32 0x80, v64
; %bb.2916:                             ;   in Loop: Header=BB2_2656 Depth=4
	s_mov_b32 s34, 0x7f800001
	s_xor_b32 s13, exec_lo, -1
; %bb.2917:                             ;   in Loop: Header=BB2_2656 Depth=4
	s_or_b32 exec_lo, exec_lo, s36
	s_delay_alu instid0(SALU_CYCLE_1)
	s_and_b32 s13, s13, exec_lo
	s_or_saveexec_b32 s35, s35
	v_mov_b32_e32 v130, s34
	s_xor_b32 exec_lo, exec_lo, s35
	s_cbranch_execz .LBB2_2740
.LBB2_2918:                             ;   in Loop: Header=BB2_2656 Depth=4
	v_cmp_ne_u16_e32 vcc_lo, 0, v64
	v_mov_b32_e32 v130, 0
	s_and_not1_b32 s13, s13, exec_lo
	s_and_b32 vcc_lo, vcc_lo, exec_lo
	s_delay_alu instid0(SALU_CYCLE_1)
	s_or_b32 s13, s13, vcc_lo
	s_or_b32 exec_lo, exec_lo, s35
	s_and_saveexec_b32 s34, s13
	s_cbranch_execnz .LBB2_2741
	s_branch .LBB2_2742
.LBB2_2919:                             ;   in Loop: Header=BB2_2656 Depth=4
	s_mov_b32 s13, -1
	s_mov_b32 s36, exec_lo
                                        ; implicit-def: $sgpr34
	v_cmpx_eq_u16_e32 0x80, v64
; %bb.2920:                             ;   in Loop: Header=BB2_2656 Depth=4
	s_mov_b32 s34, 0x7f800001
	s_xor_b32 s13, exec_lo, -1
; %bb.2921:                             ;   in Loop: Header=BB2_2656 Depth=4
	s_or_b32 exec_lo, exec_lo, s36
	s_delay_alu instid0(SALU_CYCLE_1)
	s_and_b32 s13, s13, exec_lo
	s_or_saveexec_b32 s35, s35
	v_mov_b32_e32 v132, s34
	s_xor_b32 exec_lo, exec_lo, s35
	s_cbranch_execz .LBB2_2752
.LBB2_2922:                             ;   in Loop: Header=BB2_2656 Depth=4
	v_cmp_ne_u16_e32 vcc_lo, 0, v64
	v_mov_b32_e32 v132, 0
	s_and_not1_b32 s13, s13, exec_lo
	s_and_b32 vcc_lo, vcc_lo, exec_lo
	s_delay_alu instid0(SALU_CYCLE_1)
	s_or_b32 s13, s13, vcc_lo
	s_or_b32 exec_lo, exec_lo, s35
	s_and_saveexec_b32 s34, s13
	s_cbranch_execnz .LBB2_2753
	s_branch .LBB2_2754
.LBB2_2923:                             ;   in Loop: Header=BB2_2656 Depth=4
	s_mov_b32 s13, -1
	s_mov_b32 s36, exec_lo
                                        ; implicit-def: $sgpr34
	v_cmpx_eq_u16_e64 0x80, v161
; %bb.2924:                             ;   in Loop: Header=BB2_2656 Depth=4
	s_mov_b32 s34, 0x7f800001
	s_xor_b32 s13, exec_lo, -1
; %bb.2925:                             ;   in Loop: Header=BB2_2656 Depth=4
	s_or_b32 exec_lo, exec_lo, s36
	s_delay_alu instid0(SALU_CYCLE_1)
	s_and_b32 s13, s13, exec_lo
                                        ; implicit-def: $vgpr161
	s_or_saveexec_b32 s35, s35
	v_mov_b32_e32 v160, s34
	s_xor_b32 exec_lo, exec_lo, s35
	s_cbranch_execz .LBB2_2764
.LBB2_2926:                             ;   in Loop: Header=BB2_2656 Depth=4
	v_cmp_ne_u16_e64 vcc_lo, 0, v161
	v_mov_b32_e32 v160, 0
	s_and_not1_b32 s13, s13, exec_lo
	s_delay_alu instid0(VALU_DEP_2) | instskip(NEXT) | instid1(SALU_CYCLE_1)
	s_and_b32 vcc_lo, vcc_lo, exec_lo
	s_or_b32 s13, s13, vcc_lo
	s_or_b32 exec_lo, exec_lo, s35
	s_and_saveexec_b32 s34, s13
	s_cbranch_execnz .LBB2_2765
	s_branch .LBB2_2766
.LBB2_2927:                             ;   in Loop: Header=BB2_2656 Depth=4
	s_mov_b32 s13, -1
	s_mov_b32 s36, exec_lo
                                        ; implicit-def: $sgpr34
	v_cmpx_eq_u16_e64 0x80, v161
; %bb.2928:                             ;   in Loop: Header=BB2_2656 Depth=4
	s_mov_b32 s34, 0x7f800001
	s_xor_b32 s13, exec_lo, -1
; %bb.2929:                             ;   in Loop: Header=BB2_2656 Depth=4
	s_or_b32 exec_lo, exec_lo, s36
	s_delay_alu instid0(SALU_CYCLE_1)
	s_and_b32 s13, s13, exec_lo
                                        ; implicit-def: $vgpr161
	s_or_saveexec_b32 s35, s35
	v_mov_b32_e32 v129, s34
	s_xor_b32 exec_lo, exec_lo, s35
	s_cbranch_execz .LBB2_2768
.LBB2_2930:                             ;   in Loop: Header=BB2_2656 Depth=4
	v_cmp_ne_u16_e64 vcc_lo, 0, v161
	v_mov_b32_e32 v129, 0
	s_and_not1_b32 s13, s13, exec_lo
	s_delay_alu instid0(VALU_DEP_2) | instskip(NEXT) | instid1(SALU_CYCLE_1)
	s_and_b32 vcc_lo, vcc_lo, exec_lo
	s_or_b32 s13, s13, vcc_lo
	s_or_b32 exec_lo, exec_lo, s35
	s_and_saveexec_b32 s34, s13
	s_cbranch_execnz .LBB2_2769
	s_branch .LBB2_2770
.LBB2_2931:                             ;   in Loop: Header=BB2_2656 Depth=4
	s_mov_b32 s13, -1
	s_mov_b32 s36, exec_lo
                                        ; implicit-def: $sgpr34
	v_cmpx_eq_u16_e64 0x80, v160
; %bb.2932:                             ;   in Loop: Header=BB2_2656 Depth=4
	s_mov_b32 s34, 0x7f800001
	s_xor_b32 s13, exec_lo, -1
; %bb.2933:                             ;   in Loop: Header=BB2_2656 Depth=4
	s_or_b32 exec_lo, exec_lo, s36
	s_delay_alu instid0(SALU_CYCLE_1)
	s_and_b32 s13, s13, exec_lo
                                        ; implicit-def: $vgpr160
	s_or_saveexec_b32 s35, s35
	v_mov_b32_e32 v151, s34
	s_xor_b32 exec_lo, exec_lo, s35
	s_cbranch_execz .LBB2_2780
.LBB2_2934:                             ;   in Loop: Header=BB2_2656 Depth=4
	v_cmp_ne_u16_e64 vcc_lo, 0, v160
	v_mov_b32_e32 v151, 0
	s_and_not1_b32 s13, s13, exec_lo
	s_delay_alu instid0(VALU_DEP_2) | instskip(NEXT) | instid1(SALU_CYCLE_1)
	s_and_b32 vcc_lo, vcc_lo, exec_lo
	s_or_b32 s13, s13, vcc_lo
	s_or_b32 exec_lo, exec_lo, s35
	s_and_saveexec_b32 s34, s13
	s_cbranch_execnz .LBB2_2781
	s_branch .LBB2_2782
.LBB2_2935:                             ;   in Loop: Header=BB2_2656 Depth=4
	s_mov_b32 s13, -1
	s_mov_b32 s36, exec_lo
                                        ; implicit-def: $sgpr34
	v_cmpx_eq_u16_e64 0x80, v160
; %bb.2936:                             ;   in Loop: Header=BB2_2656 Depth=4
	s_mov_b32 s34, 0x7f800001
	s_xor_b32 s13, exec_lo, -1
; %bb.2937:                             ;   in Loop: Header=BB2_2656 Depth=4
	s_or_b32 exec_lo, exec_lo, s36
	s_delay_alu instid0(SALU_CYCLE_1)
	s_and_b32 s13, s13, exec_lo
                                        ; implicit-def: $vgpr160
	s_or_saveexec_b32 s35, s35
	v_mov_b32_e32 v135, s34
	s_xor_b32 exec_lo, exec_lo, s35
	s_cbranch_execz .LBB2_2784
.LBB2_2938:                             ;   in Loop: Header=BB2_2656 Depth=4
	v_cmp_ne_u16_e64 vcc_lo, 0, v160
	v_mov_b32_e32 v135, 0
	s_and_not1_b32 s13, s13, exec_lo
	s_delay_alu instid0(VALU_DEP_2) | instskip(NEXT) | instid1(SALU_CYCLE_1)
	s_and_b32 vcc_lo, vcc_lo, exec_lo
	s_or_b32 s13, s13, vcc_lo
	s_or_b32 exec_lo, exec_lo, s35
	s_and_saveexec_b32 s34, s13
	s_cbranch_execnz .LBB2_2785
	s_branch .LBB2_2786
.LBB2_2939:                             ;   in Loop: Header=BB2_2656 Depth=4
	s_mov_b32 s13, -1
	s_mov_b32 s36, exec_lo
                                        ; implicit-def: $sgpr34
	v_cmpx_eq_u16_e64 0x80, v151
; %bb.2940:                             ;   in Loop: Header=BB2_2656 Depth=4
	s_mov_b32 s34, 0x7f800001
	s_xor_b32 s13, exec_lo, -1
; %bb.2941:                             ;   in Loop: Header=BB2_2656 Depth=4
	s_or_b32 exec_lo, exec_lo, s36
	s_delay_alu instid0(SALU_CYCLE_1)
	s_and_b32 s13, s13, exec_lo
                                        ; implicit-def: $vgpr151
	s_or_saveexec_b32 s35, s35
	v_mov_b32_e32 v150, s34
	s_xor_b32 exec_lo, exec_lo, s35
	s_cbranch_execz .LBB2_2796
.LBB2_2942:                             ;   in Loop: Header=BB2_2656 Depth=4
	v_cmp_ne_u16_e64 vcc_lo, 0, v151
	v_mov_b32_e32 v150, 0
	s_and_not1_b32 s13, s13, exec_lo
	s_delay_alu instid0(VALU_DEP_2) | instskip(NEXT) | instid1(SALU_CYCLE_1)
	s_and_b32 vcc_lo, vcc_lo, exec_lo
	s_or_b32 s13, s13, vcc_lo
	s_or_b32 exec_lo, exec_lo, s35
	s_and_saveexec_b32 s34, s13
	s_cbranch_execnz .LBB2_2797
	s_branch .LBB2_2798
.LBB2_2943:                             ;   in Loop: Header=BB2_2656 Depth=4
	s_mov_b32 s13, -1
	s_mov_b32 s36, exec_lo
                                        ; implicit-def: $sgpr34
	v_cmpx_eq_u16_e64 0x80, v151
; %bb.2944:                             ;   in Loop: Header=BB2_2656 Depth=4
	s_mov_b32 s34, 0x7f800001
	s_xor_b32 s13, exec_lo, -1
; %bb.2945:                             ;   in Loop: Header=BB2_2656 Depth=4
	s_or_b32 exec_lo, exec_lo, s36
	s_delay_alu instid0(SALU_CYCLE_1)
	s_and_b32 s13, s13, exec_lo
                                        ; implicit-def: $vgpr151
	s_or_saveexec_b32 s35, s35
	v_mov_b32_e32 v145, s34
	s_xor_b32 exec_lo, exec_lo, s35
	s_cbranch_execz .LBB2_2800
.LBB2_2946:                             ;   in Loop: Header=BB2_2656 Depth=4
	v_cmp_ne_u16_e64 vcc_lo, 0, v151
	v_mov_b32_e32 v145, 0
	s_and_not1_b32 s13, s13, exec_lo
	s_delay_alu instid0(VALU_DEP_2) | instskip(NEXT) | instid1(SALU_CYCLE_1)
	s_and_b32 vcc_lo, vcc_lo, exec_lo
	s_or_b32 s13, s13, vcc_lo
	s_or_b32 exec_lo, exec_lo, s35
	s_and_saveexec_b32 s34, s13
	s_cbranch_execnz .LBB2_2801
	s_branch .LBB2_2802
.LBB2_2947:                             ;   in Loop: Header=BB2_2656 Depth=4
	s_mov_b32 s13, -1
	s_mov_b32 s36, exec_lo
                                        ; implicit-def: $sgpr34
	v_cmpx_eq_u16_e64 0x80, v150
; %bb.2948:                             ;   in Loop: Header=BB2_2656 Depth=4
	s_mov_b32 s34, 0x7f800001
	s_xor_b32 s13, exec_lo, -1
; %bb.2949:                             ;   in Loop: Header=BB2_2656 Depth=4
	s_or_b32 exec_lo, exec_lo, s36
	s_delay_alu instid0(SALU_CYCLE_1)
	s_and_b32 s13, s13, exec_lo
                                        ; implicit-def: $vgpr150
	s_or_saveexec_b32 s35, s35
	v_mov_b32_e32 v149, s34
	s_xor_b32 exec_lo, exec_lo, s35
	s_cbranch_execz .LBB2_2812
.LBB2_2950:                             ;   in Loop: Header=BB2_2656 Depth=4
	v_cmp_ne_u16_e64 vcc_lo, 0, v150
	v_mov_b32_e32 v149, 0
	s_and_not1_b32 s13, s13, exec_lo
	s_delay_alu instid0(VALU_DEP_2) | instskip(NEXT) | instid1(SALU_CYCLE_1)
	s_and_b32 vcc_lo, vcc_lo, exec_lo
	s_or_b32 s13, s13, vcc_lo
	s_or_b32 exec_lo, exec_lo, s35
	s_and_saveexec_b32 s34, s13
	s_cbranch_execnz .LBB2_2813
	s_branch .LBB2_2814
.LBB2_2951:                             ;   in Loop: Header=BB2_2656 Depth=4
	s_mov_b32 s13, -1
	s_mov_b32 s36, exec_lo
                                        ; implicit-def: $sgpr34
	v_cmpx_eq_u16_e64 0x80, v150
; %bb.2952:                             ;   in Loop: Header=BB2_2656 Depth=4
	s_mov_b32 s34, 0x7f800001
	s_xor_b32 s13, exec_lo, -1
; %bb.2953:                             ;   in Loop: Header=BB2_2656 Depth=4
	s_or_b32 exec_lo, exec_lo, s36
	s_delay_alu instid0(SALU_CYCLE_1)
	s_and_b32 s13, s13, exec_lo
                                        ; implicit-def: $vgpr150
	s_or_saveexec_b32 s35, s35
	v_mov_b32_e32 v144, s34
	s_xor_b32 exec_lo, exec_lo, s35
	s_cbranch_execz .LBB2_2816
.LBB2_2954:                             ;   in Loop: Header=BB2_2656 Depth=4
	v_cmp_ne_u16_e64 vcc_lo, 0, v150
	v_mov_b32_e32 v144, 0
	s_and_not1_b32 s13, s13, exec_lo
	s_delay_alu instid0(VALU_DEP_2) | instskip(NEXT) | instid1(SALU_CYCLE_1)
	s_and_b32 vcc_lo, vcc_lo, exec_lo
	s_or_b32 s13, s13, vcc_lo
	s_or_b32 exec_lo, exec_lo, s35
	s_and_saveexec_b32 s34, s13
	s_cbranch_execnz .LBB2_2817
	s_branch .LBB2_2818
.LBB2_2955:                             ;   in Loop: Header=BB2_2656 Depth=4
	s_mov_b32 s13, -1
	s_mov_b32 s36, exec_lo
                                        ; implicit-def: $sgpr34
	v_cmpx_eq_u16_e64 0x80, v149
; %bb.2956:                             ;   in Loop: Header=BB2_2656 Depth=4
	s_mov_b32 s34, 0x7f800001
	s_xor_b32 s13, exec_lo, -1
; %bb.2957:                             ;   in Loop: Header=BB2_2656 Depth=4
	s_or_b32 exec_lo, exec_lo, s36
	s_delay_alu instid0(SALU_CYCLE_1)
	s_and_b32 s13, s13, exec_lo
                                        ; implicit-def: $vgpr149
	s_or_saveexec_b32 s35, s35
	v_mov_b32_e32 v148, s34
	s_xor_b32 exec_lo, exec_lo, s35
	s_cbranch_execz .LBB2_2828
.LBB2_2958:                             ;   in Loop: Header=BB2_2656 Depth=4
	v_cmp_ne_u16_e64 vcc_lo, 0, v149
	v_mov_b32_e32 v148, 0
	s_and_not1_b32 s13, s13, exec_lo
	s_delay_alu instid0(VALU_DEP_2) | instskip(NEXT) | instid1(SALU_CYCLE_1)
	s_and_b32 vcc_lo, vcc_lo, exec_lo
	s_or_b32 s13, s13, vcc_lo
	s_or_b32 exec_lo, exec_lo, s35
	s_and_saveexec_b32 s34, s13
	s_cbranch_execnz .LBB2_2829
	s_branch .LBB2_2830
.LBB2_2959:                             ;   in Loop: Header=BB2_2656 Depth=4
	s_mov_b32 s13, -1
	s_mov_b32 s36, exec_lo
                                        ; implicit-def: $sgpr34
	v_cmpx_eq_u16_e64 0x80, v149
; %bb.2960:                             ;   in Loop: Header=BB2_2656 Depth=4
	s_mov_b32 s34, 0x7f800001
	s_xor_b32 s13, exec_lo, -1
; %bb.2961:                             ;   in Loop: Header=BB2_2656 Depth=4
	s_or_b32 exec_lo, exec_lo, s36
	s_delay_alu instid0(SALU_CYCLE_1)
	s_and_b32 s13, s13, exec_lo
                                        ; implicit-def: $vgpr149
	s_or_saveexec_b32 s35, s35
	v_mov_b32_e32 v134, s34
	s_xor_b32 exec_lo, exec_lo, s35
	s_cbranch_execz .LBB2_2832
.LBB2_2962:                             ;   in Loop: Header=BB2_2656 Depth=4
	v_cmp_ne_u16_e64 vcc_lo, 0, v149
	v_mov_b32_e32 v134, 0
	s_and_not1_b32 s13, s13, exec_lo
	s_delay_alu instid0(VALU_DEP_2) | instskip(NEXT) | instid1(SALU_CYCLE_1)
	s_and_b32 vcc_lo, vcc_lo, exec_lo
	s_or_b32 s13, s13, vcc_lo
	s_or_b32 exec_lo, exec_lo, s35
	s_and_saveexec_b32 s34, s13
	s_cbranch_execnz .LBB2_2833
	s_branch .LBB2_2834
.LBB2_2963:                             ;   in Loop: Header=BB2_2656 Depth=4
	s_mov_b32 s13, -1
	s_mov_b32 s36, exec_lo
                                        ; implicit-def: $sgpr34
	v_cmpx_eq_u16_e64 0x80, v148
; %bb.2964:                             ;   in Loop: Header=BB2_2656 Depth=4
	s_mov_b32 s34, 0x7f800001
	s_xor_b32 s13, exec_lo, -1
; %bb.2965:                             ;   in Loop: Header=BB2_2656 Depth=4
	s_or_b32 exec_lo, exec_lo, s36
	s_delay_alu instid0(SALU_CYCLE_1)
	s_and_b32 s13, s13, exec_lo
                                        ; implicit-def: $vgpr148
	s_or_saveexec_b32 s35, s35
	v_mov_b32_e32 v147, s34
	s_xor_b32 exec_lo, exec_lo, s35
	s_cbranch_execz .LBB2_2844
.LBB2_2966:                             ;   in Loop: Header=BB2_2656 Depth=4
	v_cmp_ne_u16_e64 vcc_lo, 0, v148
	v_mov_b32_e32 v147, 0
	s_and_not1_b32 s13, s13, exec_lo
	s_delay_alu instid0(VALU_DEP_2) | instskip(NEXT) | instid1(SALU_CYCLE_1)
	s_and_b32 vcc_lo, vcc_lo, exec_lo
	s_or_b32 s13, s13, vcc_lo
	s_or_b32 exec_lo, exec_lo, s35
	s_and_saveexec_b32 s34, s13
	s_cbranch_execnz .LBB2_2845
	s_branch .LBB2_2846
.LBB2_2967:                             ;   in Loop: Header=BB2_2656 Depth=4
	s_mov_b32 s13, -1
	s_mov_b32 s36, exec_lo
                                        ; implicit-def: $sgpr34
	v_cmpx_eq_u16_e64 0x80, v148
; %bb.2968:                             ;   in Loop: Header=BB2_2656 Depth=4
	s_mov_b32 s34, 0x7f800001
	s_xor_b32 s13, exec_lo, -1
; %bb.2969:                             ;   in Loop: Header=BB2_2656 Depth=4
	s_or_b32 exec_lo, exec_lo, s36
	s_delay_alu instid0(SALU_CYCLE_1)
	s_and_b32 s13, s13, exec_lo
                                        ; implicit-def: $vgpr148
	s_or_saveexec_b32 s35, s35
	v_mov_b32_e32 v131, s34
	s_xor_b32 exec_lo, exec_lo, s35
	s_cbranch_execz .LBB2_2848
.LBB2_2970:                             ;   in Loop: Header=BB2_2656 Depth=4
	v_cmp_ne_u16_e64 vcc_lo, 0, v148
	v_mov_b32_e32 v131, 0
	s_and_not1_b32 s13, s13, exec_lo
	s_delay_alu instid0(VALU_DEP_2) | instskip(NEXT) | instid1(SALU_CYCLE_1)
	s_and_b32 vcc_lo, vcc_lo, exec_lo
	s_or_b32 s13, s13, vcc_lo
	s_or_b32 exec_lo, exec_lo, s35
	s_and_saveexec_b32 s34, s13
	s_cbranch_execnz .LBB2_2849
	s_branch .LBB2_2850
.LBB2_2971:                             ;   in Loop: Header=BB2_2656 Depth=4
	s_mov_b32 s13, -1
	s_mov_b32 s36, exec_lo
                                        ; implicit-def: $sgpr34
	v_cmpx_eq_u16_e64 0x80, v147
; %bb.2972:                             ;   in Loop: Header=BB2_2656 Depth=4
	s_mov_b32 s34, 0x7f800001
	s_xor_b32 s13, exec_lo, -1
; %bb.2973:                             ;   in Loop: Header=BB2_2656 Depth=4
	s_or_b32 exec_lo, exec_lo, s36
	s_delay_alu instid0(SALU_CYCLE_1)
	s_and_b32 s13, s13, exec_lo
                                        ; implicit-def: $vgpr147
	s_or_saveexec_b32 s35, s35
	v_mov_b32_e32 v146, s34
	s_xor_b32 exec_lo, exec_lo, s35
	s_cbranch_execz .LBB2_2860
.LBB2_2974:                             ;   in Loop: Header=BB2_2656 Depth=4
	v_cmp_ne_u16_e64 vcc_lo, 0, v147
	v_mov_b32_e32 v146, 0
	s_and_not1_b32 s13, s13, exec_lo
	s_delay_alu instid0(VALU_DEP_2) | instskip(NEXT) | instid1(SALU_CYCLE_1)
	s_and_b32 vcc_lo, vcc_lo, exec_lo
	s_or_b32 s13, s13, vcc_lo
	s_or_b32 exec_lo, exec_lo, s35
	s_and_saveexec_b32 s34, s13
	s_cbranch_execnz .LBB2_2861
	s_branch .LBB2_2862
.LBB2_2975:                             ;   in Loop: Header=BB2_2656 Depth=4
	s_mov_b32 s13, -1
	s_mov_b32 s36, exec_lo
                                        ; implicit-def: $sgpr34
	v_cmpx_eq_u16_e64 0x80, v147
; %bb.2976:                             ;   in Loop: Header=BB2_2656 Depth=4
	s_mov_b32 s34, 0x7f800001
	s_xor_b32 s13, exec_lo, -1
; %bb.2977:                             ;   in Loop: Header=BB2_2656 Depth=4
	s_or_b32 exec_lo, exec_lo, s36
	s_delay_alu instid0(SALU_CYCLE_1)
	s_and_b32 s13, s13, exec_lo
                                        ; implicit-def: $vgpr147
	s_or_saveexec_b32 s35, s35
	v_mov_b32_e32 v130, s34
	s_xor_b32 exec_lo, exec_lo, s35
	s_cbranch_execz .LBB2_2864
.LBB2_2978:                             ;   in Loop: Header=BB2_2656 Depth=4
	v_cmp_ne_u16_e64 vcc_lo, 0, v147
	v_mov_b32_e32 v130, 0
	s_and_not1_b32 s13, s13, exec_lo
	s_delay_alu instid0(VALU_DEP_2) | instskip(NEXT) | instid1(SALU_CYCLE_1)
	s_and_b32 vcc_lo, vcc_lo, exec_lo
	s_or_b32 s13, s13, vcc_lo
	s_or_b32 exec_lo, exec_lo, s35
	s_and_saveexec_b32 s34, s13
	s_cbranch_execnz .LBB2_2865
	s_branch .LBB2_2866
.LBB2_2979:                             ;   in Loop: Header=BB2_2656 Depth=4
	s_mov_b32 s13, -1
	s_mov_b32 s36, exec_lo
                                        ; implicit-def: $sgpr34
	v_cmpx_eq_u16_e64 0x80, v146
; %bb.2980:                             ;   in Loop: Header=BB2_2656 Depth=4
	s_mov_b32 s34, 0x7f800001
	s_xor_b32 s13, exec_lo, -1
; %bb.2981:                             ;   in Loop: Header=BB2_2656 Depth=4
	s_or_b32 exec_lo, exec_lo, s36
	s_delay_alu instid0(SALU_CYCLE_1)
	s_and_b32 s13, s13, exec_lo
                                        ; implicit-def: $vgpr146
	s_or_saveexec_b32 s35, s35
	v_mov_b32_e32 v132, s34
	s_xor_b32 exec_lo, exec_lo, s35
	s_cbranch_execz .LBB2_2876
.LBB2_2982:                             ;   in Loop: Header=BB2_2656 Depth=4
	v_cmp_ne_u16_e64 vcc_lo, 0, v146
	v_mov_b32_e32 v132, 0
	s_and_not1_b32 s13, s13, exec_lo
	s_delay_alu instid0(VALU_DEP_2) | instskip(NEXT) | instid1(SALU_CYCLE_1)
	s_and_b32 vcc_lo, vcc_lo, exec_lo
	s_or_b32 s13, s13, vcc_lo
	s_or_b32 exec_lo, exec_lo, s35
	s_and_saveexec_b32 s34, s13
	s_cbranch_execnz .LBB2_2877
	s_branch .LBB2_2878
.LBB2_2983:                             ;   in Loop: Header=BB2_2656 Depth=4
	s_mov_b32 s13, -1
	s_mov_b32 s36, exec_lo
                                        ; implicit-def: $sgpr34
	v_cmpx_eq_u16_e64 0x80, v146
; %bb.2984:                             ;   in Loop: Header=BB2_2656 Depth=4
	s_mov_b32 s34, 0x7f800001
	s_xor_b32 s13, exec_lo, -1
; %bb.2985:                             ;   in Loop: Header=BB2_2656 Depth=4
	s_or_b32 exec_lo, exec_lo, s36
	s_delay_alu instid0(SALU_CYCLE_1)
	s_and_b32 s13, s13, exec_lo
                                        ; implicit-def: $vgpr146
	s_or_saveexec_b32 s35, s35
	v_mov_b32_e32 v65, s34
	s_xor_b32 exec_lo, exec_lo, s35
	s_cbranch_execz .LBB2_2880
.LBB2_2986:                             ;   in Loop: Header=BB2_2656 Depth=4
	v_cmp_ne_u16_e64 vcc_lo, 0, v146
	v_mov_b32_e32 v65, 0
	s_and_not1_b32 s13, s13, exec_lo
	s_delay_alu instid0(VALU_DEP_2) | instskip(NEXT) | instid1(SALU_CYCLE_1)
	s_and_b32 vcc_lo, vcc_lo, exec_lo
	s_or_b32 s13, s13, vcc_lo
	s_or_b32 exec_lo, exec_lo, s35
	s_and_saveexec_b32 s34, s13
	s_cbranch_execnz .LBB2_2881
	s_branch .LBB2_2882
.LBB2_2987:                             ;   in Loop: Header=BB2_1255 Depth=3
	s_or_b32 exec_lo, exec_lo, s31
.LBB2_2988:                             ;   in Loop: Header=BB2_1255 Depth=3
	s_delay_alu instid0(SALU_CYCLE_1) | instskip(SKIP_2) | instid1(VALU_DEP_1)
	s_or_b32 exec_lo, exec_lo, s30
	v_lshlrev_b32_e32 v8, 8, v128
	s_mov_b32 s30, exec_lo
	v_cmpx_ne_u32_e64 v67, v8
	s_cbranch_execz .LBB2_3043
; %bb.2989:                             ;   in Loop: Header=BB2_1255 Depth=3
	v_ashrrev_i32_e32 v9, 31, v133
	v_lshlrev_b32_e32 v2, 5, v2
	s_delay_alu instid0(VALU_DEP_2) | instskip(NEXT) | instid1(VALU_DEP_1)
	v_lshrrev_b32_e32 v9, 27, v9
	v_add_nc_u32_e32 v9, v133, v9
	s_delay_alu instid0(VALU_DEP_1) | instskip(NEXT) | instid1(VALU_DEP_1)
	v_and_b32_e32 v9, 0xffffffe0, v9
	v_sub_nc_u32_e32 v9, v133, v9
	s_delay_alu instid0(VALU_DEP_1) | instskip(NEXT) | instid1(VALU_DEP_1)
	v_sub_nc_u32_e32 v2, v9, v2
	v_add_nc_u32_e32 v8, v8, v2
	s_delay_alu instid0(VALU_DEP_1) | instskip(NEXT) | instid1(VALU_DEP_1)
	v_sub_nc_u32_e32 v2, v67, v8
	v_cmp_lt_i32_e32 vcc_lo, 0, v2
	s_and_b32 exec_lo, exec_lo, vcc_lo
	s_cbranch_execz .LBB2_3043
; %bb.2990:                             ;   in Loop: Header=BB2_1255 Depth=3
	s_cbranch_execz .LBB2_2991
; %bb.8097:
	s_getpc_b64 s[48:49]
.Lpost_getpc81:
	s_add_u32 s48, s48, (.LBB2_7733-.Lpost_getpc81)&4294967295
	s_addc_u32 s49, s49, (.LBB2_7733-.Lpost_getpc81)>>32
	s_setpc_b64 s[48:49]
.LBB2_2991:                             ;   in Loop: Header=BB2_1255 Depth=3
	ds_load_b128 v[128:131], v0
	ds_load_b64 v[54:55], v0
	v_add_nc_u32_e32 v64, v8, v66
	s_mov_b32 s31, 0
	s_delay_alu instid0(VALU_DEP_1) | instskip(SKIP_2) | instid1(VALU_DEP_2)
	v_ashrrev_i32_e32 v65, 31, v64
	s_waitcnt lgkmcnt(1)
	v_add_co_u32 v8, vcc_lo, v128, v64
	v_add_co_ci_u32_e32 v9, vcc_lo, v129, v65, vcc_lo
	v_add_co_u32 v10, vcc_lo, v130, v64
	v_add_co_ci_u32_e32 v11, vcc_lo, v131, v65, vcc_lo
	s_waitcnt lgkmcnt(0)
	v_add_co_u32 v54, vcc_lo, v54, v64
	v_add_co_ci_u32_e32 v55, vcc_lo, v55, v65, vcc_lo
.LBB2_2992:                             ;   Parent Loop BB2_51 Depth=1
                                        ;     Parent Loop BB2_1253 Depth=2
                                        ;       Parent Loop BB2_1255 Depth=3
                                        ; =>      This Inner Loop Header: Depth=4
	s_cbranch_execz .LBB2_2993
; %bb.8099:
	s_getpc_b64 s[48:49]
.Lpost_getpc82:
	s_add_u32 s48, s48, (.LBB2_7737-.Lpost_getpc82)&4294967295
	s_addc_u32 s49, s49, (.LBB2_7737-.Lpost_getpc82)>>32
	s_setpc_b64 s[48:49]
.LBB2_2993:                             ;   in Loop: Header=BB2_2992 Depth=4
	ds_load_b64 v[64:65], v0
	s_waitcnt lgkmcnt(0)
	v_and_b32_e32 v65, 0xff, v64
	v_readfirstlane_b32 s13, v64
	s_delay_alu instid0(VALU_DEP_2)
	v_cmp_gt_i16_e32 vcc_lo, 0x80, v65
	s_cbranch_vccnz .LBB2_2997
; %bb.2994:                             ;   in Loop: Header=BB2_2992 Depth=4
	v_cmp_eq_u16_e32 vcc_lo, 0x80, v65
	s_mov_b32 s34, -1
                                        ; implicit-def: $sgpr35
	s_cbranch_vccz .LBB2_2996
; %bb.2995:                             ;   in Loop: Header=BB2_2992 Depth=4
	s_mov_b32 s34, 0
	s_mov_b32 s35, 0x7f800001
.LBB2_2996:                             ;   in Loop: Header=BB2_2992 Depth=4
	s_mov_b32 vcc_lo, 0
	s_branch .LBB2_2998
.LBB2_2997:                             ;   in Loop: Header=BB2_2992 Depth=4
	s_mov_b32 vcc_lo, -1
	s_mov_b32 s34, 0
                                        ; implicit-def: $sgpr35
.LBB2_2998:                             ;   in Loop: Header=BB2_2992 Depth=4
	s_and_b32 vcc_lo, exec_lo, vcc_lo
	s_cbranch_vccz .LBB2_3000
; %bb.2999:                             ;   in Loop: Header=BB2_2992 Depth=4
	v_cmp_ne_u16_e64 s34, 0, v65
	s_mov_b32 s35, 0
.LBB2_3000:                             ;   in Loop: Header=BB2_2992 Depth=4
	s_delay_alu instid0(SALU_CYCLE_1) | instskip(NEXT) | instid1(VALU_DEP_2)
	v_mov_b32_e32 v65, s35
	s_and_not1_b32 vcc_lo, exec_lo, s34
	s_cbranch_vccnz .LBB2_3002
; %bb.3001:                             ;   in Loop: Header=BB2_2992 Depth=4
	s_and_b32 vcc_lo, s13, 3
	s_bfe_u32 s35, s13, 0x50002
	s_clz_i32_u32 s34, vcc_lo
	v_lshlrev_b32_e32 v64, 24, v64
	s_min_u32 s34, s34, 32
	s_delay_alu instid0(SALU_CYCLE_1)
	s_sub_i32 s36, s34, 29
	s_sub_i32 s34, 30, s34
	s_lshl_b32 s13, s13, s36
	v_and_b32_e32 v64, 0x80000000, v64
	s_and_b32 s13, s13, 3
	s_cmp_eq_u32 s35, 0
	s_cselect_b32 s34, s34, s35
	s_cselect_b32 s13, s13, vcc_lo
	s_lshl_b32 vcc_lo, s34, 23
	s_lshl_b32 s13, s13, 21
	s_add_i32 vcc_lo, vcc_lo, 0x37800000
	s_delay_alu instid0(SALU_CYCLE_1) | instskip(NEXT) | instid1(VALU_DEP_1)
	v_or_b32_e32 v64, vcc_lo, v64
	v_or_b32_e32 v65, s13, v64
.LBB2_3002:                             ;   in Loop: Header=BB2_2992 Depth=4
	flat_load_u8 v64, v[8:9] slc dlc
	s_mov_b32 s13, 0
	s_mov_b32 s35, exec_lo
                                        ; implicit-def: $sgpr34
	s_waitcnt vmcnt(0) lgkmcnt(0)
	v_cmpx_lt_i16_e32 0x7f, v64
	s_xor_b32 s35, exec_lo, s35
	s_cbranch_execnz .LBB2_3031
; %bb.3003:                             ;   in Loop: Header=BB2_2992 Depth=4
	s_or_saveexec_b32 s35, s35
	v_mov_b32_e32 v66, s34
	s_xor_b32 exec_lo, exec_lo, s35
	s_cbranch_execnz .LBB2_3034
.LBB2_3004:                             ;   in Loop: Header=BB2_2992 Depth=4
	s_or_b32 exec_lo, exec_lo, s35
	s_and_saveexec_b32 s34, s13
	s_cbranch_execz .LBB2_3006
.LBB2_3005:                             ;   in Loop: Header=BB2_2992 Depth=4
	v_and_b32_e32 v66, 0xffff, v64
	v_lshlrev_b32_e32 v64, 24, v64
	s_delay_alu instid0(VALU_DEP_2) | instskip(NEXT) | instid1(VALU_DEP_2)
	v_and_b32_e32 v67, 3, v66
	v_and_b32_e32 v64, 0x80000000, v64
	s_delay_alu instid0(VALU_DEP_2) | instskip(NEXT) | instid1(VALU_DEP_1)
	v_clz_i32_u32_e32 v128, v67
	v_min_u32_e32 v128, 32, v128
	s_delay_alu instid0(VALU_DEP_1) | instskip(SKIP_1) | instid1(VALU_DEP_2)
	v_subrev_nc_u32_e32 v129, 29, v128
	v_sub_nc_u32_e32 v128, 30, v128
	v_lshlrev_b32_e32 v129, v129, v66
	v_bfe_u32 v66, v66, 2, 5
	s_delay_alu instid0(VALU_DEP_2) | instskip(NEXT) | instid1(VALU_DEP_2)
	v_and_b32_e32 v129, 3, v129
	v_cmp_eq_u32_e32 vcc_lo, 0, v66
	s_delay_alu instid0(VALU_DEP_2) | instskip(NEXT) | instid1(VALU_DEP_1)
	v_dual_cndmask_b32 v66, v66, v128 :: v_dual_cndmask_b32 v67, v67, v129
	v_lshl_add_u32 v66, v66, 23, 0x37800000
	s_delay_alu instid0(VALU_DEP_2) | instskip(NEXT) | instid1(VALU_DEP_1)
	v_lshlrev_b32_e32 v67, 21, v67
	v_or3_b32 v66, v64, v66, v67
.LBB2_3006:                             ;   in Loop: Header=BB2_2992 Depth=4
	s_or_b32 exec_lo, exec_lo, s34
	s_delay_alu instid0(VALU_DEP_1) | instskip(SKIP_2) | instid1(VALU_DEP_2)
	v_mul_f32_e32 v64, v65, v66
	v_mov_b32_e32 v66, 0x80
	s_mov_b32 s34, exec_lo
	v_and_b32_e32 v65, 0x7f800000, v64
	s_delay_alu instid0(VALU_DEP_1)
	v_cmpx_ne_u32_e32 0x7f800000, v65
	s_cbranch_execz .LBB2_3014
; %bb.3007:                             ;   in Loop: Header=BB2_2992 Depth=4
	v_mov_b32_e32 v66, 0
	s_mov_b32 s35, exec_lo
	v_cmpx_ne_u32_e32 0, v64
	s_cbranch_execz .LBB2_3013
; %bb.3008:                             ;   in Loop: Header=BB2_2992 Depth=4
	v_bfe_u32 v65, v64, 23, 8
	s_delay_alu instid0(VALU_DEP_1) | instskip(SKIP_1) | instid1(VALU_DEP_2)
	v_sub_nc_u32_e32 v67, 0x70, v65
	v_cmp_gt_u32_e32 vcc_lo, 0x71, v65
	v_dual_cndmask_b32 v67, 0, v67 :: v_dual_and_b32 v66, 0x7fffff, v64
	s_delay_alu instid0(VALU_DEP_1) | instskip(SKIP_2) | instid1(VALU_DEP_4)
	v_or_b32_e32 v128, 0x800000, v66
	v_cmp_eq_u32_e32 vcc_lo, 0, v65
	v_add_nc_u32_e32 v65, 0xffffff91, v65
	v_cndmask_b32_e64 v67, v67, 0x6f, vcc_lo
	s_delay_alu instid0(VALU_DEP_4) | instskip(NEXT) | instid1(VALU_DEP_3)
	v_cndmask_b32_e32 v66, v128, v66, vcc_lo
	v_cndmask_b32_e64 v65, v65, 0xffffff92, vcc_lo
	s_delay_alu instid0(VALU_DEP_3) | instskip(NEXT) | instid1(VALU_DEP_3)
	v_lshl_add_u32 v128, 0x200000, v67, -1
	v_lshrrev_b32_e32 v129, v67, v66
	v_lshlrev_b32_e64 v131, v67, 0x100000
	s_delay_alu instid0(VALU_DEP_4) | instskip(NEXT) | instid1(VALU_DEP_4)
	v_add_nc_u32_e32 v67, v67, v65
	v_and_b32_e32 v66, v128, v66
	s_delay_alu instid0(VALU_DEP_4) | instskip(NEXT) | instid1(VALU_DEP_2)
	v_bfe_u32 v130, v129, 21, 1
	v_cmp_eq_u32_e64 s13, v66, v131
	s_delay_alu instid0(VALU_DEP_2) | instskip(NEXT) | instid1(VALU_DEP_1)
	v_add_nc_u32_e32 v128, -1, v130
	v_cndmask_b32_e64 v66, 0, v128, s13
	v_lshrrev_b32_e32 v128, 23, v129
	s_mov_b32 s13, exec_lo
	s_delay_alu instid0(VALU_DEP_2) | instskip(NEXT) | instid1(VALU_DEP_2)
	v_add_nc_u32_e32 v66, v66, v129
	v_xor_b32_e32 v128, 1, v128
	s_delay_alu instid0(VALU_DEP_2) | instskip(NEXT) | instid1(VALU_DEP_1)
	v_and_b32_e32 v65, 0x1fffff, v66
	v_add_nc_u32_e32 v66, v65, v129
                                        ; implicit-def: $vgpr65
	s_delay_alu instid0(VALU_DEP_3)
	v_cmpx_ne_u32_e64 v67, v128
	s_xor_b32 s13, exec_lo, s13
; %bb.3009:                             ;   in Loop: Header=BB2_2992 Depth=4
	s_delay_alu instid0(VALU_DEP_2) | instskip(SKIP_2) | instid1(VALU_DEP_2)
	v_cmp_lt_u32_e32 vcc_lo, 0xffffff, v66
	v_sub_nc_u32_e32 v65, v67, v128
	v_cndmask_b32_e64 v67, 0, 1, vcc_lo
	v_add_co_ci_u32_e32 v65, vcc_lo, 0, v65, vcc_lo
	s_delay_alu instid0(VALU_DEP_2)
	v_lshrrev_b32_e32 v66, v67, v66
; %bb.3010:                             ;   in Loop: Header=BB2_2992 Depth=4
	s_and_not1_saveexec_b32 s13, s13
; %bb.3011:                             ;   in Loop: Header=BB2_2992 Depth=4
	s_delay_alu instid0(VALU_DEP_1)
	v_bfe_u32 v65, v66, 23, 1
; %bb.3012:                             ;   in Loop: Header=BB2_2992 Depth=4
	s_or_b32 exec_lo, exec_lo, s13
	v_lshrrev_b32_e32 v66, 21, v66
	s_delay_alu instid0(VALU_DEP_2) | instskip(SKIP_2) | instid1(VALU_DEP_4)
	v_cmp_gt_i32_e32 vcc_lo, 32, v65
	v_lshrrev_b32_e32 v64, 24, v64
	v_min_i32_e32 v67, 31, v65
	v_cndmask_b32_e32 v66, 3, v66, vcc_lo
	s_delay_alu instid0(VALU_DEP_3) | instskip(NEXT) | instid1(VALU_DEP_3)
	v_and_b32_e32 v64, 0x80, v64
	v_lshlrev_b32_e32 v67, 2, v67
	s_delay_alu instid0(VALU_DEP_3) | instskip(SKIP_1) | instid1(VALU_DEP_2)
	v_and_b32_e32 v128, 3, v66
	v_or_b32_e32 v65, v65, v66
	v_or3_b32 v64, v67, v64, v128
	s_delay_alu instid0(VALU_DEP_2) | instskip(NEXT) | instid1(VALU_DEP_2)
	v_cmp_ne_u32_e32 vcc_lo, 0, v65
	v_cndmask_b32_e32 v66, 0, v64, vcc_lo
.LBB2_3013:                             ;   in Loop: Header=BB2_2992 Depth=4
	s_or_b32 exec_lo, exec_lo, s35
.LBB2_3014:                             ;   in Loop: Header=BB2_2992 Depth=4
	s_delay_alu instid0(SALU_CYCLE_1) | instskip(SKIP_4) | instid1(VALU_DEP_1)
	s_or_b32 exec_lo, exec_lo, s34
	flat_load_u8 v64, v[10:11] slc dlc
	v_and_b32_e32 v67, 0xff, v66
	s_mov_b32 s13, 0
	s_mov_b32 s35, exec_lo
                                        ; implicit-def: $sgpr34
	v_cmpx_lt_i16_e32 0x7f, v67
	s_xor_b32 s35, exec_lo, s35
	s_cbranch_execnz .LBB2_3035
; %bb.3015:                             ;   in Loop: Header=BB2_2992 Depth=4
	s_or_saveexec_b32 s35, s35
	v_mov_b32_e32 v65, s34
	s_xor_b32 exec_lo, exec_lo, s35
	s_cbranch_execnz .LBB2_3038
.LBB2_3016:                             ;   in Loop: Header=BB2_2992 Depth=4
	s_or_b32 exec_lo, exec_lo, s35
	s_and_saveexec_b32 s34, s13
	s_cbranch_execz .LBB2_3018
.LBB2_3017:                             ;   in Loop: Header=BB2_2992 Depth=4
	v_and_b32_e32 v65, 3, v66
	v_lshrrev_b16 v129, 2, v66
	s_delay_alu instid0(VALU_DEP_2) | instskip(NEXT) | instid1(VALU_DEP_2)
	v_clz_i32_u32_e32 v67, v65
	v_and_b32_e32 v129, 31, v129
	s_delay_alu instid0(VALU_DEP_2) | instskip(NEXT) | instid1(VALU_DEP_2)
	v_min_u32_e32 v67, 32, v67
	v_cmp_eq_u32_e32 vcc_lo, 0, v129
	s_delay_alu instid0(VALU_DEP_2) | instskip(SKIP_1) | instid1(VALU_DEP_1)
	v_subrev_nc_u32_e32 v128, 29, v67
	v_sub_nc_u32_e32 v67, 30, v67
	v_dual_cndmask_b32 v67, v129, v67 :: v_dual_lshlrev_b32 v128, v128, v66
	s_delay_alu instid0(VALU_DEP_1) | instskip(SKIP_1) | instid1(VALU_DEP_3)
	v_and_b32_e32 v128, 3, v128
	v_lshlrev_b32_e32 v66, 24, v66
	v_lshl_add_u32 v67, v67, 23, 0x37800000
	s_delay_alu instid0(VALU_DEP_2) | instskip(NEXT) | instid1(VALU_DEP_1)
	v_dual_cndmask_b32 v65, v65, v128 :: v_dual_and_b32 v66, 0x80000000, v66
	v_lshlrev_b32_e32 v65, 21, v65
	s_delay_alu instid0(VALU_DEP_1)
	v_or3_b32 v65, v66, v67, v65
.LBB2_3018:                             ;   in Loop: Header=BB2_2992 Depth=4
	s_or_b32 exec_lo, exec_lo, s34
	s_waitcnt vmcnt(0) lgkmcnt(0)
	v_and_b32_e32 v67, 0xff, v64
	s_mov_b32 s13, 0
	s_mov_b32 s35, exec_lo
                                        ; implicit-def: $sgpr34
	s_delay_alu instid0(VALU_DEP_1)
	v_cmpx_lt_i16_e32 0x7f, v67
	s_xor_b32 s35, exec_lo, s35
	s_cbranch_execnz .LBB2_3039
; %bb.3019:                             ;   in Loop: Header=BB2_2992 Depth=4
	s_or_saveexec_b32 s35, s35
	v_mov_b32_e32 v66, s34
	s_xor_b32 exec_lo, exec_lo, s35
	s_cbranch_execnz .LBB2_3042
.LBB2_3020:                             ;   in Loop: Header=BB2_2992 Depth=4
	s_or_b32 exec_lo, exec_lo, s35
	s_and_saveexec_b32 s34, s13
	s_cbranch_execz .LBB2_3022
.LBB2_3021:                             ;   in Loop: Header=BB2_2992 Depth=4
	v_lshrrev_b16 v129, 2, v64
	s_delay_alu instid0(VALU_DEP_1) | instskip(NEXT) | instid1(VALU_DEP_1)
	v_and_b32_e32 v129, 31, v129
	v_cmp_eq_u32_e32 vcc_lo, 0, v129
	v_and_b32_e32 v66, 3, v64
	s_delay_alu instid0(VALU_DEP_1) | instskip(NEXT) | instid1(VALU_DEP_1)
	v_clz_i32_u32_e32 v67, v66
	v_min_u32_e32 v67, 32, v67
	s_delay_alu instid0(VALU_DEP_1) | instskip(SKIP_1) | instid1(VALU_DEP_1)
	v_subrev_nc_u32_e32 v128, 29, v67
	v_sub_nc_u32_e32 v67, 30, v67
	v_dual_cndmask_b32 v67, v129, v67 :: v_dual_lshlrev_b32 v128, v128, v64
	v_lshlrev_b32_e32 v64, 24, v64
	s_delay_alu instid0(VALU_DEP_2) | instskip(NEXT) | instid1(VALU_DEP_3)
	v_and_b32_e32 v128, 3, v128
	v_lshl_add_u32 v67, v67, 23, 0x37800000
	s_delay_alu instid0(VALU_DEP_3) | instskip(NEXT) | instid1(VALU_DEP_3)
	v_and_b32_e32 v64, 0x80000000, v64
	v_cndmask_b32_e32 v66, v66, v128, vcc_lo
	s_delay_alu instid0(VALU_DEP_1) | instskip(NEXT) | instid1(VALU_DEP_1)
	v_lshlrev_b32_e32 v66, 21, v66
	v_or3_b32 v66, v64, v67, v66
.LBB2_3022:                             ;   in Loop: Header=BB2_2992 Depth=4
	s_or_b32 exec_lo, exec_lo, s34
	s_delay_alu instid0(VALU_DEP_1) | instskip(NEXT) | instid1(VALU_DEP_1)
	v_add_f32_e32 v64, v65, v66
	v_and_b32_e32 v65, 0x7f800000, v64
	s_delay_alu instid0(VALU_DEP_1)
	v_cmp_ne_u32_e32 vcc_lo, 0x7f800000, v65
	v_mov_b32_e32 v65, 0x80
	s_and_saveexec_b32 s34, vcc_lo
	s_cbranch_execz .LBB2_3030
; %bb.3023:                             ;   in Loop: Header=BB2_2992 Depth=4
	v_mov_b32_e32 v65, 0
	s_mov_b32 s35, exec_lo
	v_cmpx_ne_u32_e32 0, v64
	s_cbranch_execz .LBB2_3029
; %bb.3024:                             ;   in Loop: Header=BB2_2992 Depth=4
	v_bfe_u32 v65, v64, 23, 8
	s_delay_alu instid0(VALU_DEP_1) | instskip(SKIP_1) | instid1(VALU_DEP_2)
	v_sub_nc_u32_e32 v67, 0x70, v65
	v_cmp_gt_u32_e32 vcc_lo, 0x71, v65
	v_dual_cndmask_b32 v67, 0, v67 :: v_dual_and_b32 v66, 0x7fffff, v64
	s_delay_alu instid0(VALU_DEP_1) | instskip(SKIP_2) | instid1(VALU_DEP_4)
	v_or_b32_e32 v128, 0x800000, v66
	v_cmp_eq_u32_e32 vcc_lo, 0, v65
	v_add_nc_u32_e32 v65, 0xffffff91, v65
	v_cndmask_b32_e64 v67, v67, 0x6f, vcc_lo
	s_delay_alu instid0(VALU_DEP_4) | instskip(NEXT) | instid1(VALU_DEP_3)
	v_cndmask_b32_e32 v66, v128, v66, vcc_lo
	v_cndmask_b32_e64 v65, v65, 0xffffff92, vcc_lo
	s_delay_alu instid0(VALU_DEP_3) | instskip(NEXT) | instid1(VALU_DEP_3)
	v_lshl_add_u32 v128, 0x200000, v67, -1
	v_lshrrev_b32_e32 v129, v67, v66
	v_lshlrev_b32_e64 v131, v67, 0x100000
	s_delay_alu instid0(VALU_DEP_4) | instskip(NEXT) | instid1(VALU_DEP_4)
	v_add_nc_u32_e32 v67, v67, v65
	v_and_b32_e32 v66, v128, v66
	s_delay_alu instid0(VALU_DEP_4) | instskip(NEXT) | instid1(VALU_DEP_2)
	v_bfe_u32 v130, v129, 21, 1
	v_cmp_eq_u32_e64 s13, v66, v131
	s_delay_alu instid0(VALU_DEP_2) | instskip(NEXT) | instid1(VALU_DEP_1)
	v_add_nc_u32_e32 v128, -1, v130
	v_cndmask_b32_e64 v66, 0, v128, s13
	v_lshrrev_b32_e32 v128, 23, v129
	s_mov_b32 s13, exec_lo
	s_delay_alu instid0(VALU_DEP_2) | instskip(NEXT) | instid1(VALU_DEP_2)
	v_add_nc_u32_e32 v66, v66, v129
	v_xor_b32_e32 v128, 1, v128
	s_delay_alu instid0(VALU_DEP_2) | instskip(NEXT) | instid1(VALU_DEP_1)
	v_and_b32_e32 v65, 0x1fffff, v66
	v_add_nc_u32_e32 v66, v65, v129
                                        ; implicit-def: $vgpr65
	s_delay_alu instid0(VALU_DEP_3)
	v_cmpx_ne_u32_e64 v67, v128
	s_xor_b32 s13, exec_lo, s13
; %bb.3025:                             ;   in Loop: Header=BB2_2992 Depth=4
	s_delay_alu instid0(VALU_DEP_2) | instskip(SKIP_2) | instid1(VALU_DEP_2)
	v_cmp_lt_u32_e32 vcc_lo, 0xffffff, v66
	v_sub_nc_u32_e32 v65, v67, v128
	v_cndmask_b32_e64 v67, 0, 1, vcc_lo
	v_add_co_ci_u32_e32 v65, vcc_lo, 0, v65, vcc_lo
	s_delay_alu instid0(VALU_DEP_2)
	v_lshrrev_b32_e32 v66, v67, v66
; %bb.3026:                             ;   in Loop: Header=BB2_2992 Depth=4
	s_and_not1_saveexec_b32 s13, s13
; %bb.3027:                             ;   in Loop: Header=BB2_2992 Depth=4
	s_delay_alu instid0(VALU_DEP_1)
	v_bfe_u32 v65, v66, 23, 1
; %bb.3028:                             ;   in Loop: Header=BB2_2992 Depth=4
	s_or_b32 exec_lo, exec_lo, s13
	v_lshrrev_b32_e32 v66, 21, v66
	s_delay_alu instid0(VALU_DEP_2) | instskip(SKIP_2) | instid1(VALU_DEP_2)
	v_cmp_gt_i32_e32 vcc_lo, 32, v65
	v_min_i32_e32 v67, 31, v65
	v_lshrrev_b32_e32 v64, 24, v64
	v_dual_cndmask_b32 v66, 3, v66 :: v_dual_lshlrev_b32 v67, 2, v67
	s_delay_alu instid0(VALU_DEP_2) | instskip(NEXT) | instid1(VALU_DEP_2)
	v_and_b32_e32 v64, 0x80, v64
	v_or_b32_e32 v65, v65, v66
	s_delay_alu instid0(VALU_DEP_1) | instskip(SKIP_1) | instid1(VALU_DEP_1)
	v_cmp_ne_u32_e32 vcc_lo, 0, v65
	v_and_b32_e32 v128, 3, v66
	v_or3_b32 v64, v67, v64, v128
	s_delay_alu instid0(VALU_DEP_1)
	v_cndmask_b32_e32 v65, 0, v64, vcc_lo
.LBB2_3029:                             ;   in Loop: Header=BB2_2992 Depth=4
	s_or_b32 exec_lo, exec_lo, s35
.LBB2_3030:                             ;   in Loop: Header=BB2_2992 Depth=4
	s_delay_alu instid0(SALU_CYCLE_1)
	s_or_b32 exec_lo, exec_lo, s34
	v_add_co_u32 v8, vcc_lo, v8, v102
	v_sub_nc_u32_e32 v2, v2, v87
	v_add_co_ci_u32_e32 v9, vcc_lo, v9, v103, vcc_lo
	v_add_co_u32 v10, vcc_lo, v10, v102
	v_add_co_ci_u32_e32 v11, vcc_lo, v11, v103, vcc_lo
	flat_store_b8 v[54:55], v65 glc slc dlc
	v_cmp_gt_i32_e32 vcc_lo, 1, v2
	v_add_co_u32 v54, s13, v54, v102
	s_delay_alu instid0(VALU_DEP_1) | instskip(SKIP_1) | instid1(SALU_CYCLE_1)
	v_add_co_ci_u32_e64 v55, s13, v55, v103, s13
	s_or_b32 s31, vcc_lo, s31
	s_and_not1_b32 exec_lo, exec_lo, s31
	s_cbranch_execnz .LBB2_2992
	s_branch .LBB2_3043
.LBB2_3031:                             ;   in Loop: Header=BB2_2992 Depth=4
	s_mov_b32 s13, -1
	s_mov_b32 s36, exec_lo
                                        ; implicit-def: $sgpr34
	v_cmpx_eq_u16_e32 0x80, v64
; %bb.3032:                             ;   in Loop: Header=BB2_2992 Depth=4
	s_mov_b32 s34, 0x7f800001
	s_xor_b32 s13, exec_lo, -1
; %bb.3033:                             ;   in Loop: Header=BB2_2992 Depth=4
	s_or_b32 exec_lo, exec_lo, s36
	s_delay_alu instid0(SALU_CYCLE_1)
	s_and_b32 s13, s13, exec_lo
	s_or_saveexec_b32 s35, s35
	v_mov_b32_e32 v66, s34
	s_xor_b32 exec_lo, exec_lo, s35
	s_cbranch_execz .LBB2_3004
.LBB2_3034:                             ;   in Loop: Header=BB2_2992 Depth=4
	v_cmp_ne_u16_e32 vcc_lo, 0, v64
	v_mov_b32_e32 v66, 0
	s_and_not1_b32 s13, s13, exec_lo
	s_and_b32 vcc_lo, vcc_lo, exec_lo
	s_delay_alu instid0(SALU_CYCLE_1)
	s_or_b32 s13, s13, vcc_lo
	s_or_b32 exec_lo, exec_lo, s35
	s_and_saveexec_b32 s34, s13
	s_cbranch_execnz .LBB2_3005
	s_branch .LBB2_3006
.LBB2_3035:                             ;   in Loop: Header=BB2_2992 Depth=4
	s_mov_b32 s13, -1
	s_mov_b32 s36, exec_lo
                                        ; implicit-def: $sgpr34
	v_cmpx_eq_u16_e32 0x80, v67
; %bb.3036:                             ;   in Loop: Header=BB2_2992 Depth=4
	s_mov_b32 s34, 0x7f800001
	s_xor_b32 s13, exec_lo, -1
; %bb.3037:                             ;   in Loop: Header=BB2_2992 Depth=4
	s_or_b32 exec_lo, exec_lo, s36
	s_delay_alu instid0(SALU_CYCLE_1)
	s_and_b32 s13, s13, exec_lo
                                        ; implicit-def: $vgpr67
	s_or_saveexec_b32 s35, s35
	v_mov_b32_e32 v65, s34
	s_xor_b32 exec_lo, exec_lo, s35
	s_cbranch_execz .LBB2_3016
.LBB2_3038:                             ;   in Loop: Header=BB2_2992 Depth=4
	v_cmp_ne_u16_e32 vcc_lo, 0, v67
	v_mov_b32_e32 v65, 0
	s_and_not1_b32 s13, s13, exec_lo
	s_and_b32 vcc_lo, vcc_lo, exec_lo
	s_delay_alu instid0(SALU_CYCLE_1)
	s_or_b32 s13, s13, vcc_lo
	s_or_b32 exec_lo, exec_lo, s35
	s_and_saveexec_b32 s34, s13
	s_cbranch_execnz .LBB2_3017
	s_branch .LBB2_3018
.LBB2_3039:                             ;   in Loop: Header=BB2_2992 Depth=4
	s_mov_b32 s13, -1
	s_mov_b32 s36, exec_lo
                                        ; implicit-def: $sgpr34
	v_cmpx_eq_u16_e32 0x80, v67
; %bb.3040:                             ;   in Loop: Header=BB2_2992 Depth=4
	s_mov_b32 s34, 0x7f800001
	s_xor_b32 s13, exec_lo, -1
; %bb.3041:                             ;   in Loop: Header=BB2_2992 Depth=4
	s_or_b32 exec_lo, exec_lo, s36
	s_delay_alu instid0(SALU_CYCLE_1)
	s_and_b32 s13, s13, exec_lo
                                        ; implicit-def: $vgpr67
	s_or_saveexec_b32 s35, s35
	v_mov_b32_e32 v66, s34
	s_xor_b32 exec_lo, exec_lo, s35
	s_cbranch_execz .LBB2_3020
.LBB2_3042:                             ;   in Loop: Header=BB2_2992 Depth=4
	v_cmp_ne_u16_e32 vcc_lo, 0, v67
	v_mov_b32_e32 v66, 0
	s_and_not1_b32 s13, s13, exec_lo
	s_and_b32 vcc_lo, vcc_lo, exec_lo
	s_delay_alu instid0(SALU_CYCLE_1)
	s_or_b32 s13, s13, vcc_lo
	s_or_b32 exec_lo, exec_lo, s35
	s_and_saveexec_b32 s34, s13
	s_cbranch_execnz .LBB2_3021
	s_branch .LBB2_3022
.LBB2_3043:                             ;   in Loop: Header=BB2_1255 Depth=3
	s_or_b32 exec_lo, exec_lo, s30
.LBB2_3044:                             ;   in Loop: Header=BB2_1255 Depth=3
	s_delay_alu instid0(SALU_CYCLE_1)
	s_or_b32 exec_lo, exec_lo, s14
.LBB2_3045:                             ;   in Loop: Header=BB2_1255 Depth=3
	s_and_saveexec_b32 s13, s3
	s_cbranch_execz .LBB2_3067
; %bb.3046:                             ;   in Loop: Header=BB2_1255 Depth=3
	s_and_saveexec_b32 s14, s4
	s_delay_alu instid0(SALU_CYCLE_1)
	s_xor_b32 s14, exec_lo, s14
	s_cbranch_execz .LBB2_3064
; %bb.3047:                             ;   in Loop: Header=BB2_1255 Depth=3
	s_and_saveexec_b32 s30, s1
	s_cbranch_execz .LBB2_3063
; %bb.3048:                             ;   in Loop: Header=BB2_1255 Depth=3
	s_mov_b32 s34, exec_lo
	s_mov_b32 s31, exec_lo
	v_mbcnt_lo_u32_b32 v2, s34, 0
	s_waitcnt lgkmcnt(0)
	s_waitcnt_vscnt null, 0x0
	buffer_gl1_inv
	buffer_gl0_inv
	v_cmpx_eq_u32_e32 0, v2
	s_cbranch_execz .LBB2_3050
; %bb.3049:                             ;   in Loop: Header=BB2_1255 Depth=3
	s_bcnt1_i32_b32 vcc_lo, s34
	s_delay_alu instid0(SALU_CYCLE_1)
	v_mov_b32_e32 v2, vcc_lo
	ds_add_u64 v0, v[2:3]
	s_cbranch_execz .LBB2_3050
; %bb.8101:
	s_getpc_b64 s[48:49]
.Lpost_getpc83:
	s_add_u32 s48, s48, (.LBB2_7695-.Lpost_getpc83)&4294967295
	s_addc_u32 s49, s49, (.LBB2_7695-.Lpost_getpc83)>>32
	s_setpc_b64 s[48:49]
.LBB2_3050:                             ;   in Loop: Header=BB2_1255 Depth=3
	s_or_b32 exec_lo, exec_lo, s31
	s_cbranch_execz .LBB2_3051
; %bb.8103:
	s_getpc_b64 s[48:49]
.Lpost_getpc84:
	s_add_u32 s48, s48, (.LBB2_7671-.Lpost_getpc84)&4294967295
	s_addc_u32 s49, s49, (.LBB2_7671-.Lpost_getpc84)>>32
	s_setpc_b64 s[48:49]
.LBB2_3051:                             ;   in Loop: Header=BB2_1255 Depth=3
	ds_load_b64 v[8:9], v0
	v_add_co_u32 v12, vcc_lo, v12, v71
	v_add_co_ci_u32_e32 v13, vcc_lo, 0, v13, vcc_lo
	s_mov_b32 s31, exec_lo
	s_waitcnt lgkmcnt(0)
	s_delay_alu instid0(VALU_DEP_1)
	v_cmpx_lt_u64_e64 v[8:9], v[12:13]
	s_cbranch_execz .LBB2_3062
; %bb.3052:                             ;   in Loop: Header=BB2_1255 Depth=3
	s_mov_b32 s34, 0
	s_mov_b32 s37, 0
                                        ; implicit-def: $sgpr35
                                        ; implicit-def: $sgpr36
	s_branch .LBB2_3054
.LBB2_3053:                             ;   in Loop: Header=BB2_3054 Depth=4
	s_or_b32 exec_lo, exec_lo, s39
	s_delay_alu instid0(SALU_CYCLE_1) | instskip(NEXT) | instid1(SALU_CYCLE_1)
	s_and_b32 vcc_lo, exec_lo, vcc_lo
	s_or_b32 s34, vcc_lo, s34
	s_and_not1_b32 vcc_lo, s35, exec_lo
	s_and_b32 s35, s36, exec_lo
	s_delay_alu instid0(SALU_CYCLE_1)
	s_or_b32 s35, vcc_lo, s35
	s_and_not1_b32 exec_lo, exec_lo, s34
	s_cbranch_execz .LBB2_3060
.LBB2_3054:                             ;   Parent Loop BB2_51 Depth=1
                                        ;     Parent Loop BB2_1253 Depth=2
                                        ;       Parent Loop BB2_1255 Depth=3
                                        ; =>      This Inner Loop Header: Depth=4
	s_add_i32 s37, s37, 1
                                        ; implicit-def: $sgpr39
	s_delay_alu instid0(SALU_CYCLE_1) | instskip(SKIP_1) | instid1(SALU_CYCLE_1)
	s_cmpk_lg_i32 s37, 0x2710
	s_cselect_b32 s38, -1, 0
	s_and_b32 vcc_lo, exec_lo, s38
	s_cbranch_vccz .LBB2_3058
.LBB2_3055:                             ;   in Loop: Header=BB2_3054 Depth=4
	s_and_not1_b32 s36, s36, exec_lo
	s_and_b32 s39, s39, exec_lo
	s_mov_b32 vcc_lo, -1
	s_or_b32 s36, s36, s39
	s_and_saveexec_b32 s39, s38
	s_cbranch_execz .LBB2_3053
; %bb.3056:                             ;   in Loop: Header=BB2_3054 Depth=4
	s_sleep 1
	s_cbranch_execz .LBB2_3057
; %bb.8105:
	s_getpc_b64 s[48:49]
.Lpost_getpc85:
	s_add_u32 s48, s48, (.LBB2_7753-.Lpost_getpc85)&4294967295
	s_addc_u32 s49, s49, (.LBB2_7753-.Lpost_getpc85)>>32
	s_setpc_b64 s[48:49]
.LBB2_3057:                             ;   in Loop: Header=BB2_3054 Depth=4
	ds_load_b64 v[8:9], v0
	s_and_not1_b32 s36, s36, exec_lo
	s_waitcnt lgkmcnt(0)
	v_cmp_ge_u64_e32 vcc_lo, v[8:9], v[12:13]
	s_or_not1_b32 vcc_lo, vcc_lo, exec_lo
	s_branch .LBB2_3053
.LBB2_3058:                             ;   in Loop: Header=BB2_3054 Depth=4
	s_cbranch_execz .LBB2_3059
; %bb.8107:
	s_getpc_b64 s[48:49]
.Lpost_getpc86:
	s_add_u32 s48, s48, (.LBB2_7767-.Lpost_getpc86)&4294967295
	s_addc_u32 s49, s49, (.LBB2_7767-.Lpost_getpc86)>>32
	s_setpc_b64 s[48:49]
.LBB2_3059:                             ;   in Loop: Header=BB2_3054 Depth=4
	ds_load_b64 v[8:9], v0
	s_and_not1_b32 s38, s38, exec_lo
	s_mov_b32 s37, 0
	s_mov_b32 s39, -1
	s_waitcnt lgkmcnt(0)
	flat_load_b32 v2, v[8:9] glc
	s_waitcnt vmcnt(0) lgkmcnt(0)
	buffer_gl1_inv
	buffer_gl0_inv
	v_cmp_eq_u32_e32 vcc_lo, 0, v2
	s_and_b32 vcc_lo, vcc_lo, exec_lo
	s_delay_alu instid0(SALU_CYCLE_1)
	s_or_b32 s38, s38, vcc_lo
	s_branch .LBB2_3055
.LBB2_3060:                             ;   in Loop: Header=BB2_1255 Depth=3
	s_or_b32 exec_lo, exec_lo, s34
	s_and_saveexec_b32 vcc_lo, s35
	s_delay_alu instid0(SALU_CYCLE_1)
	s_xor_b32 vcc_lo, exec_lo, vcc_lo
	s_cbranch_execz .LBB2_3062
; %bb.3061:                             ;   in Loop: Header=BB2_1255 Depth=3
	ds_store_b32 v0, v115
	s_cbranch_execz .LBB2_3062
; %bb.8109:
	s_getpc_b64 s[48:49]
.Lpost_getpc87:
	s_add_u32 s48, s48, (.LBB2_7903-.Lpost_getpc87)&4294967295
	s_addc_u32 s49, s49, (.LBB2_7903-.Lpost_getpc87)>>32
	s_setpc_b64 s[48:49]
.LBB2_3062:                             ;   in Loop: Header=BB2_1255 Depth=3
	s_or_b32 exec_lo, exec_lo, s31
	;;#ASMSTART
	s_wakeup
	;;#ASMEND
.LBB2_3063:                             ;   in Loop: Header=BB2_1255 Depth=3
	s_or_b32 exec_lo, exec_lo, s30
.LBB2_3064:                             ;   in Loop: Header=BB2_1255 Depth=3
	s_and_not1_saveexec_b32 s14, s14
	s_cbranch_execz .LBB2_3066
; %bb.3065:                             ;   in Loop: Header=BB2_1255 Depth=3
	s_waitcnt lgkmcnt(0)
	s_waitcnt_vscnt null, 0x0
	buffer_gl1_inv
	buffer_gl0_inv
	s_barrier
.LBB2_3066:                             ;   in Loop: Header=BB2_1255 Depth=3
	s_or_b32 exec_lo, exec_lo, s14
.LBB2_3067:                             ;   in Loop: Header=BB2_1255 Depth=3
	s_delay_alu instid0(SALU_CYCLE_1) | instskip(SKIP_1) | instid1(SALU_CYCLE_1)
	s_or_b32 exec_lo, exec_lo, s13
                                        ; implicit-def: $vgpr2
	s_and_saveexec_b32 s13, s7
	s_xor_b32 s14, exec_lo, s13
	s_cbranch_execz .LBB2_3071
; %bb.3068:                             ;   in Loop: Header=BB2_1255 Depth=3
	v_and_b32_e32 v2, 16, v30
	v_cmp_lt_i32_e32 vcc_lo, 0, v51
	s_delay_alu instid0(VALU_DEP_2) | instskip(SKIP_1) | instid1(VALU_DEP_2)
	v_cmp_ne_u32_e64 s13, 0, v2
	v_and_b32_e32 v2, 16, v30
	s_and_b32 vcc_lo, s13, vcc_lo
	s_delay_alu instid0(SALU_CYCLE_1)
	s_and_saveexec_b32 s13, vcc_lo
	s_cbranch_execz .LBB2_3070
; %bb.3069:                             ;   in Loop: Header=BB2_1255 Depth=3
	v_mov_b32_e32 v2, 1
	s_waitcnt lgkmcnt(0)
	s_waitcnt_vscnt null, 0x0
	buffer_gl1_inv
	buffer_gl0_inv
.LBB2_3070:                             ;   in Loop: Header=BB2_1255 Depth=3
	s_or_b32 exec_lo, exec_lo, s13
.LBB2_3071:                             ;   in Loop: Header=BB2_1255 Depth=3
	s_and_not1_saveexec_b32 s13, s14
	s_cbranch_execz .LBB2_3093
; %bb.3072:                             ;   in Loop: Header=BB2_1255 Depth=3
	s_and_saveexec_b32 s14, s4
	s_delay_alu instid0(SALU_CYCLE_1)
	s_xor_b32 s14, exec_lo, s14
	s_cbranch_execz .LBB2_3090
; %bb.3073:                             ;   in Loop: Header=BB2_1255 Depth=3
	s_and_saveexec_b32 s30, s1
	s_cbranch_execz .LBB2_3089
; %bb.3074:                             ;   in Loop: Header=BB2_1255 Depth=3
	s_mov_b32 s34, exec_lo
	s_mov_b32 s31, exec_lo
	v_mbcnt_lo_u32_b32 v2, s34, 0
	;;#ASMSTART
	s_waitcnt lgkmcnt(0) vmcnt(0)
	;;#ASMEND
	s_delay_alu instid0(VALU_DEP_1)
	v_cmpx_eq_u32_e32 0, v2
	s_cbranch_execz .LBB2_3076
; %bb.3075:                             ;   in Loop: Header=BB2_1255 Depth=3
	s_bcnt1_i32_b32 vcc_lo, s34
	s_delay_alu instid0(SALU_CYCLE_1)
	v_mov_b32_e32 v2, vcc_lo
	ds_add_u64 v0, v[2:3]
	s_cbranch_execz .LBB2_3076
; %bb.8111:
	s_getpc_b64 s[48:49]
.Lpost_getpc88:
	s_add_u32 s48, s48, (.LBB2_7705-.Lpost_getpc88)&4294967295
	s_addc_u32 s49, s49, (.LBB2_7705-.Lpost_getpc88)>>32
	s_setpc_b64 s[48:49]
.LBB2_3076:                             ;   in Loop: Header=BB2_1255 Depth=3
	s_or_b32 exec_lo, exec_lo, s31
	s_cbranch_execz .LBB2_3077
; %bb.8113:
	s_getpc_b64 s[48:49]
.Lpost_getpc89:
	s_add_u32 s48, s48, (.LBB2_7681-.Lpost_getpc89)&4294967295
	s_addc_u32 s49, s49, (.LBB2_7681-.Lpost_getpc89)>>32
	s_setpc_b64 s[48:49]
.LBB2_3077:                             ;   in Loop: Header=BB2_1255 Depth=3
	ds_load_b64 v[8:9], v0
	v_add_co_u32 v12, vcc_lo, v12, v71
	v_add_co_ci_u32_e32 v13, vcc_lo, 0, v13, vcc_lo
	s_mov_b32 s31, exec_lo
	s_waitcnt lgkmcnt(0)
	s_delay_alu instid0(VALU_DEP_1)
	v_cmpx_lt_u64_e64 v[8:9], v[12:13]
	s_cbranch_execz .LBB2_3088
; %bb.3078:                             ;   in Loop: Header=BB2_1255 Depth=3
	s_mov_b32 s34, 0
	s_mov_b32 s37, 0
                                        ; implicit-def: $sgpr35
                                        ; implicit-def: $sgpr36
	s_branch .LBB2_3080
.LBB2_3079:                             ;   in Loop: Header=BB2_3080 Depth=4
	s_or_b32 exec_lo, exec_lo, s39
	s_delay_alu instid0(SALU_CYCLE_1) | instskip(NEXT) | instid1(SALU_CYCLE_1)
	s_and_b32 vcc_lo, exec_lo, vcc_lo
	s_or_b32 s34, vcc_lo, s34
	s_and_not1_b32 vcc_lo, s35, exec_lo
	s_and_b32 s35, s36, exec_lo
	s_delay_alu instid0(SALU_CYCLE_1)
	s_or_b32 s35, vcc_lo, s35
	s_and_not1_b32 exec_lo, exec_lo, s34
	s_cbranch_execz .LBB2_3086
.LBB2_3080:                             ;   Parent Loop BB2_51 Depth=1
                                        ;     Parent Loop BB2_1253 Depth=2
                                        ;       Parent Loop BB2_1255 Depth=3
                                        ; =>      This Inner Loop Header: Depth=4
	s_add_i32 s37, s37, 1
                                        ; implicit-def: $sgpr39
	s_delay_alu instid0(SALU_CYCLE_1) | instskip(SKIP_1) | instid1(SALU_CYCLE_1)
	s_cmpk_lg_i32 s37, 0x2710
	s_cselect_b32 s38, -1, 0
	s_and_b32 vcc_lo, exec_lo, s38
	s_cbranch_vccz .LBB2_3084
.LBB2_3081:                             ;   in Loop: Header=BB2_3080 Depth=4
	s_and_not1_b32 s36, s36, exec_lo
	s_and_b32 s39, s39, exec_lo
	s_mov_b32 vcc_lo, -1
	s_or_b32 s36, s36, s39
	s_and_saveexec_b32 s39, s38
	s_cbranch_execz .LBB2_3079
; %bb.3082:                             ;   in Loop: Header=BB2_3080 Depth=4
	s_sleep 1
	s_cbranch_execz .LBB2_3083
; %bb.8115:
	s_getpc_b64 s[48:49]
.Lpost_getpc90:
	s_add_u32 s48, s48, (.LBB2_7759-.Lpost_getpc90)&4294967295
	s_addc_u32 s49, s49, (.LBB2_7759-.Lpost_getpc90)>>32
	s_setpc_b64 s[48:49]
.LBB2_3083:                             ;   in Loop: Header=BB2_3080 Depth=4
	ds_load_b64 v[8:9], v0
	s_and_not1_b32 s36, s36, exec_lo
	s_waitcnt lgkmcnt(0)
	v_cmp_ge_u64_e32 vcc_lo, v[8:9], v[12:13]
	s_or_not1_b32 vcc_lo, vcc_lo, exec_lo
	s_branch .LBB2_3079
.LBB2_3084:                             ;   in Loop: Header=BB2_3080 Depth=4
	s_cbranch_execz .LBB2_3085
; %bb.8117:
	s_getpc_b64 s[48:49]
.Lpost_getpc91:
	s_add_u32 s48, s48, (.LBB2_7781-.Lpost_getpc91)&4294967295
	s_addc_u32 s49, s49, (.LBB2_7781-.Lpost_getpc91)>>32
	s_setpc_b64 s[48:49]
.LBB2_3085:                             ;   in Loop: Header=BB2_3080 Depth=4
	ds_load_b64 v[8:9], v0
	s_and_not1_b32 s38, s38, exec_lo
	s_mov_b32 s37, 0
	s_mov_b32 s39, -1
	s_waitcnt lgkmcnt(0)
	s_waitcnt_vscnt null, 0x0
	flat_load_b32 v2, v[8:9] glc
	s_waitcnt vmcnt(0) lgkmcnt(0)
	buffer_gl1_inv
	buffer_gl0_inv
	v_cmp_eq_u32_e32 vcc_lo, 0, v2
	s_and_b32 vcc_lo, vcc_lo, exec_lo
	s_delay_alu instid0(SALU_CYCLE_1)
	s_or_b32 s38, s38, vcc_lo
	s_branch .LBB2_3081
.LBB2_3086:                             ;   in Loop: Header=BB2_1255 Depth=3
	s_or_b32 exec_lo, exec_lo, s34
	s_and_saveexec_b32 vcc_lo, s35
	s_delay_alu instid0(SALU_CYCLE_1)
	s_xor_b32 vcc_lo, exec_lo, vcc_lo
	s_cbranch_execz .LBB2_3088
; %bb.3087:                             ;   in Loop: Header=BB2_1255 Depth=3
	ds_store_b32 v0, v115
	s_cbranch_execz .LBB2_3088
; %bb.8119:
	s_getpc_b64 s[48:49]
.Lpost_getpc92:
	s_add_u32 s48, s48, (.LBB2_7907-.Lpost_getpc92)&4294967295
	s_addc_u32 s49, s49, (.LBB2_7907-.Lpost_getpc92)>>32
	s_setpc_b64 s[48:49]
.LBB2_3088:                             ;   in Loop: Header=BB2_1255 Depth=3
	s_or_b32 exec_lo, exec_lo, s31
	;;#ASMSTART
	s_wakeup
	;;#ASMEND
.LBB2_3089:                             ;   in Loop: Header=BB2_1255 Depth=3
	s_or_b32 exec_lo, exec_lo, s30
.LBB2_3090:                             ;   in Loop: Header=BB2_1255 Depth=3
	s_and_not1_saveexec_b32 s14, s14
	s_cbranch_execz .LBB2_3092
; %bb.3091:                             ;   in Loop: Header=BB2_1255 Depth=3
	;;#ASMSTART
	s_waitcnt lgkmcnt(0) vmcnt(0)
	;;#ASMEND
	s_waitcnt lgkmcnt(0)
	s_waitcnt_vscnt null, 0x0
	s_barrier
.LBB2_3092:                             ;   in Loop: Header=BB2_1255 Depth=3
	s_or_b32 exec_lo, exec_lo, s14
	v_and_b32_e32 v2, 16, v30
.LBB2_3093:                             ;   in Loop: Header=BB2_1255 Depth=3
	s_or_b32 exec_lo, exec_lo, s13
	s_delay_alu instid0(VALU_DEP_1) | instskip(SKIP_1) | instid1(SALU_CYCLE_1)
	v_cmp_ne_u32_e32 vcc_lo, 0, v2
	s_xor_b32 s13, s10, -1
	s_and_b32 s14, vcc_lo, s13
	s_delay_alu instid0(SALU_CYCLE_1)
	s_and_saveexec_b32 s13, s14
	s_cbranch_execz .LBB2_3095
; %bb.3094:                             ;   in Loop: Header=BB2_1255 Depth=3
	s_waitcnt lgkmcnt(0)
	s_waitcnt_vscnt null, 0x0
	flat_store_b32 v[26:27], v115
.LBB2_3095:                             ;   in Loop: Header=BB2_1255 Depth=3
	s_or_b32 exec_lo, exec_lo, s13
	v_and_b32_e32 v2, 48, v30
	s_mov_b32 s13, exec_lo
	s_delay_alu instid0(VALU_DEP_1)
	v_cmpx_ne_u32_e32 0, v2
	s_cbranch_execz .LBB2_3097
; %bb.3096:                             ;   in Loop: Header=BB2_1255 Depth=3
	v_add_co_u32 v22, vcc_lo, v22, 2
	v_add_co_ci_u32_e32 v23, vcc_lo, 0, v23, vcc_lo
	s_waitcnt lgkmcnt(0)
	s_waitcnt_vscnt null, 0x0
	flat_store_b64 v[20:21], v[22:23]
.LBB2_3097:                             ;   in Loop: Header=BB2_1255 Depth=3
	s_or_b32 exec_lo, exec_lo, s13
	v_add_nc_u32_e32 v119, v50, v119
	v_readlane_b32 s13, v46, 10
	v_readlane_b32 s35, v46, 5
	;; [unrolled: 1-line block ×4, first 2 shown]
	v_cmp_ge_i32_e32 vcc_lo, v119, v118
	s_xor_b32 s13, s13, -1
	v_readlane_b32 s31, v46, 1
	s_mov_b32 s36, 0
	s_mov_b32 s37, 2
	s_or_b32 s13, s13, vcc_lo
	s_delay_alu instid0(SALU_CYCLE_1) | instskip(SKIP_3) | instid1(VALU_DEP_2)
	s_and_b32 s14, exec_lo, s13
	v_readlane_b32 s13, v46, 11
	s_or_b32 s17, s14, s17
	v_readlane_b32 s14, v46, 3
	v_mov_b32_e32 v2, s13
	s_and_not1_b32 exec_lo, exec_lo, s17
	s_cbranch_execnz .LBB2_1255
; %bb.3098:                             ;   in Loop: Header=BB2_1253 Depth=2
	s_or_b32 exec_lo, exec_lo, s17
.LBB2_3099:                             ;   in Loop: Header=BB2_1253 Depth=2
	s_delay_alu instid0(SALU_CYCLE_1) | instskip(NEXT) | instid1(SALU_CYCLE_1)
	s_or_b32 exec_lo, exec_lo, s16
	s_mov_b32 s16, exec_lo
	v_cmpx_gt_i32_e32 2, v2
	s_cbranch_execz .LBB2_3183
; %bb.3100:                             ;   in Loop: Header=BB2_1253 Depth=2
	v_cmp_eq_u32_e64 s13, 0, v2
	s_mov_b32 s17, 0
.LBB2_3101:                             ;   Parent Loop BB2_51 Depth=1
                                        ;     Parent Loop BB2_1253 Depth=2
                                        ; =>    This Loop Header: Depth=3
                                        ;         Child Loop BB2_3107 Depth 4
                                        ;         Child Loop BB2_3137 Depth 4
	;; [unrolled: 1-line block ×3, first 2 shown]
	v_and_b32_e32 v2, 12, v30
	s_mov_b32 s37, -1
	s_mov_b32 s36, exec_lo
	s_delay_alu instid0(VALU_DEP_1)
	v_cmpx_ne_u32_e32 0, v2
	s_cbranch_execz .LBB2_3115
; %bb.3102:                             ;   in Loop: Header=BB2_3101 Depth=3
	v_and_b32_e32 v2, 8, v30
	s_delay_alu instid0(VALU_DEP_1) | instskip(SKIP_3) | instid1(VALU_DEP_1)
	v_add_co_u32 v10, vcc_lo, v28, v2
	v_add_co_ci_u32_e32 v11, vcc_lo, 0, v29, vcc_lo
	v_add_co_u32 v8, vcc_lo, v22, 2
	v_add_co_ci_u32_e32 v9, vcc_lo, 0, v23, vcc_lo
	v_cmp_lt_u64_e32 vcc_lo, v[10:11], v[8:9]
	v_mov_b32_e32 v10, 1
	s_and_saveexec_b32 s37, vcc_lo
	s_cbranch_execz .LBB2_3114
; %bb.3103:                             ;   in Loop: Header=BB2_3101 Depth=3
	v_mov_b32_e32 v10, 0
	s_mov_b32 s38, 0
                                        ; implicit-def: $sgpr39
	s_branch .LBB2_3107
.LBB2_3104:                             ;   in Loop: Header=BB2_3107 Depth=4
	s_or_b32 exec_lo, exec_lo, s43
	v_mov_b32_e32 v11, 0
	s_or_not1_b32 s42, s42, exec_lo
.LBB2_3105:                             ;   in Loop: Header=BB2_3107 Depth=4
	s_or_b32 exec_lo, exec_lo, s41
	s_delay_alu instid0(VALU_DEP_1) | instskip(SKIP_2) | instid1(SALU_CYCLE_1)
	v_mov_b32_e32 v10, v11
	s_and_not1_b32 vcc_lo, s39, exec_lo
	s_and_b32 s39, s42, exec_lo
	s_or_b32 s39, vcc_lo, s39
.LBB2_3106:                             ;   in Loop: Header=BB2_3107 Depth=4
	s_or_b32 exec_lo, exec_lo, s40
	s_waitcnt vmcnt(0) lgkmcnt(0)
	v_add_co_u32 v51, vcc_lo, v28, v2
	v_add_co_ci_u32_e32 v52, vcc_lo, 0, v29, vcc_lo
	s_xor_b32 s40, s39, -1
	s_delay_alu instid0(VALU_DEP_1) | instskip(SKIP_1) | instid1(SALU_CYCLE_1)
	v_cmp_ge_u64_e32 vcc_lo, v[51:52], v[8:9]
	s_or_b32 vcc_lo, s40, vcc_lo
	s_and_b32 vcc_lo, exec_lo, vcc_lo
	s_delay_alu instid0(SALU_CYCLE_1) | instskip(NEXT) | instid1(SALU_CYCLE_1)
	s_or_b32 s38, vcc_lo, s38
	s_and_not1_b32 exec_lo, exec_lo, s38
	s_cbranch_execz .LBB2_3113
.LBB2_3107:                             ;   Parent Loop BB2_51 Depth=1
                                        ;     Parent Loop BB2_1253 Depth=2
                                        ;       Parent Loop BB2_3101 Depth=3
                                        ; =>      This Inner Loop Header: Depth=4
	s_sleep 1
	flat_load_b64 v[28:29], v[20:21] glc
	v_and_b32_e32 v11, 64, v30
	s_and_not1_b32 s39, s39, exec_lo
	s_mov_b32 s40, exec_lo
	s_delay_alu instid0(VALU_DEP_1)
	v_cmpx_eq_u32_e32 0, v11
	s_cbranch_execz .LBB2_3106
; %bb.3108:                             ;   in Loop: Header=BB2_3107 Depth=4
	v_add_nc_u32_e32 v11, 1, v10
	s_mov_b32 s42, -1
	s_mov_b32 s41, exec_lo
	v_cmpx_lt_i32_e32 0x270e, v10
	s_cbranch_execz .LBB2_3105
; %bb.3109:                             ;   in Loop: Header=BB2_3107 Depth=4
	s_cbranch_execz .LBB2_3110
; %bb.8121:
	s_getpc_b64 s[48:49]
.Lpost_getpc93:
	s_add_u32 s48, s48, (.LBB2_7489-.Lpost_getpc93)&4294967295
	s_addc_u32 s49, s49, (.LBB2_7489-.Lpost_getpc93)>>32
	s_setpc_b64 s[48:49]
.LBB2_3110:                             ;   in Loop: Header=BB2_3107 Depth=4
	ds_load_b64 v[10:11], v0
	s_mov_b32 s43, exec_lo
	s_waitcnt vmcnt(0) lgkmcnt(0)
	s_waitcnt_vscnt null, 0x0
	flat_load_b32 v10, v[10:11] glc
	s_waitcnt vmcnt(0) lgkmcnt(0)
	buffer_gl1_inv
	buffer_gl0_inv
	v_cmpx_ne_u32_e32 0, v10
	s_cbranch_execz .LBB2_3104
; %bb.3111:                             ;   in Loop: Header=BB2_3107 Depth=4
	ds_store_b32 v0, v10
	s_cbranch_execz .LBB2_3112
; %bb.8123:
	s_getpc_b64 s[48:49]
.Lpost_getpc94:
	s_add_u32 s48, s48, (.LBB2_7539-.Lpost_getpc94)&4294967295
	s_addc_u32 s49, s49, (.LBB2_7539-.Lpost_getpc94)>>32
	s_setpc_b64 s[48:49]
.LBB2_3112:                             ;   in Loop: Header=BB2_3107 Depth=4
	v_or_b32_e32 v30, 64, v30
	s_xor_b32 s42, exec_lo, -1
	s_branch .LBB2_3104
.LBB2_3113:                             ;   in Loop: Header=BB2_3101 Depth=3
	s_or_b32 exec_lo, exec_lo, s38
	v_and_b32_e32 v10, 12, v30
.LBB2_3114:                             ;   in Loop: Header=BB2_3101 Depth=3
	s_or_b32 exec_lo, exec_lo, s37
	s_delay_alu instid0(VALU_DEP_1)
	v_cmp_eq_u32_e32 vcc_lo, 0, v10
	;;#ASMSTART
	s_wakeup
	;;#ASMEND
	s_or_not1_b32 s37, vcc_lo, exec_lo
.LBB2_3115:                             ;   in Loop: Header=BB2_3101 Depth=3
	s_or_b32 exec_lo, exec_lo, s36
	v_sub_nc_u32_e32 v2, v118, v119
	s_xor_b32 s13, s13, -1
	s_delay_alu instid0(SALU_CYCLE_1) | instskip(NEXT) | instid1(SALU_CYCLE_1)
	s_and_b32 s13, exec_lo, s13
	s_or_b32 s17, s13, s17
	s_delay_alu instid0(VALU_DEP_1) | instskip(SKIP_1) | instid1(SALU_CYCLE_1)
	v_min_i32_e32 v50, v50, v2
	s_xor_b32 s13, s37, -1
	s_and_saveexec_b32 s36, s13
	s_cbranch_execz .LBB2_3128
; %bb.3116:                             ;   in Loop: Header=BB2_3101 Depth=3
	v_and_b32_e32 v2, 0x108, v30
	s_delay_alu instid0(VALU_DEP_1) | instskip(SKIP_2) | instid1(SALU_CYCLE_1)
	v_cmp_ne_u32_e32 vcc_lo, 0x108, v2
	v_and_b32_e32 v2, 7, v22
	s_and_saveexec_b32 s13, vcc_lo
	s_xor_b32 s13, exec_lo, s13
	s_delay_alu instid0(SALU_CYCLE_1)
	s_and_not1_saveexec_b32 s13, s13
	s_cbranch_execz .LBB2_3118
; %bb.3117:                             ;   in Loop: Header=BB2_3101 Depth=3
	v_mad_u64_u32 v[8:9], null, v2, 24, v[6:7]
	v_ashrrev_i32_e32 v51, 31, v50
	flat_store_b64 v[8:9], v[50:51] offset:8
.LBB2_3118:                             ;   in Loop: Header=BB2_3101 Depth=3
	s_or_b32 exec_lo, exec_lo, s13
	v_and_b32_e32 v8, 0x100, v30
	s_mov_b32 s13, -1
	s_delay_alu instid0(VALU_DEP_1)
	v_cmp_ne_u32_e32 vcc_lo, 0, v8
                                        ; implicit-def: $vgpr8_vgpr9
	s_and_saveexec_b32 s37, vcc_lo
	s_cbranch_execnz .LBB2_3121
; %bb.3119:                             ;   in Loop: Header=BB2_3101 Depth=3
	s_or_b32 exec_lo, exec_lo, s37
	s_and_saveexec_b32 vcc_lo, s13
	s_cbranch_execnz .LBB2_3124
.LBB2_3120:                             ;   in Loop: Header=BB2_3101 Depth=3
	s_or_b32 exec_lo, exec_lo, vcc_lo
	s_cbranch_execz .LBB2_3125
; %bb.8125:
	s_getpc_b64 s[48:49]
.Lpost_getpc95:
	s_add_u32 s48, s48, (.LBB2_7481-.Lpost_getpc95)&4294967295
	s_addc_u32 s49, s49, (.LBB2_7481-.Lpost_getpc95)>>32
	s_setpc_b64 s[48:49]
.LBB2_3121:                             ;   in Loop: Header=BB2_3101 Depth=3
	v_mad_u64_u32 v[10:11], null, v2, 24, v[6:7]
	s_delay_alu instid0(VALU_DEP_1) | instskip(NEXT) | instid1(VALU_DEP_1)
	v_mov_b32_e32 v8, v11
	v_mad_u64_u32 v[51:52], null, v3, 24, v[8:9]
	s_delay_alu instid0(VALU_DEP_1) | instskip(SKIP_4) | instid1(VALU_DEP_1)
	v_mov_b32_e32 v11, v51
	flat_load_b32 v8, v[10:11]
	s_waitcnt vmcnt(0) lgkmcnt(0)
	v_cmp_ne_u32_e32 vcc_lo, 1, v8
	v_cmp_eq_u32_e64 s13, 1, v8
                                        ; implicit-def: $vgpr8_vgpr9
	s_and_saveexec_b32 s38, s13
	s_cbranch_execz .LBB2_3123
; %bb.3122:                             ;   in Loop: Header=BB2_3101 Depth=3
	flat_load_b32 v8, v[10:11] offset:4 glc
	s_waitcnt vmcnt(0) lgkmcnt(0)
	v_ashrrev_i32_e32 v9, 31, v8
.LBB2_3123:                             ;   in Loop: Header=BB2_3101 Depth=3
	s_or_b32 exec_lo, exec_lo, s38
	s_delay_alu instid0(SALU_CYCLE_1)
	s_or_not1_b32 s13, vcc_lo, exec_lo
	s_or_b32 exec_lo, exec_lo, s37
	s_and_saveexec_b32 vcc_lo, s13
	s_cbranch_execz .LBB2_3120
.LBB2_3124:                             ;   in Loop: Header=BB2_3101 Depth=3
	v_mul_lo_u32 v10, v3, v68
	v_mul_lo_u32 v11, v2, v70
	v_mad_u64_u32 v[8:9], null, v2, v68, 0
	s_delay_alu instid0(VALU_DEP_1)
	v_add3_u32 v9, v9, v11, v10
	s_or_b32 exec_lo, exec_lo, vcc_lo
	s_cbranch_execz .LBB2_3125
; %bb.8127:
	s_getpc_b64 s[48:49]
.Lpost_getpc96:
	s_add_u32 s48, s48, (.LBB2_7481-.Lpost_getpc96)&4294967295
	s_addc_u32 s49, s49, (.LBB2_7481-.Lpost_getpc96)>>32
	s_setpc_b64 s[48:49]
.LBB2_3125:                             ;   in Loop: Header=BB2_3101 Depth=3
	s_delay_alu instid0(VALU_DEP_2)
	v_add_co_u32 v8, vcc_lo, v24, v8
	v_and_b32_e32 v2, 0x2000, v30
	v_add_co_ci_u32_e32 v9, vcc_lo, v25, v9, vcc_lo
	s_mov_b32 s13, exec_lo
	ds_store_b64 v0, v[8:9]
	v_cmpx_ne_u32_e32 0, v2
	s_cbranch_execz .LBB2_3127
; %bb.3126:                             ;   in Loop: Header=BB2_3101 Depth=3
	ds_load_b64 v[8:9], v0 offset:584
	s_waitcnt lgkmcnt(0)
	v_add_co_u32 v8, vcc_lo, v8, 1
	v_add_co_ci_u32_e32 v9, vcc_lo, 0, v9, vcc_lo
	ds_store_b64 v0, v[8:9] offset:584
.LBB2_3127:                             ;   in Loop: Header=BB2_3101 Depth=3
	s_or_b32 exec_lo, exec_lo, s13
	v_add_co_u32 v22, vcc_lo, v22, 2
	v_add_co_ci_u32_e32 v23, vcc_lo, 0, v23, vcc_lo
.LBB2_3128:                             ;   in Loop: Header=BB2_3101 Depth=3
	s_or_b32 exec_lo, exec_lo, s36
	s_and_saveexec_b32 s13, s3
	s_cbranch_execz .LBB2_3150
; %bb.3129:                             ;   in Loop: Header=BB2_3101 Depth=3
	s_and_saveexec_b32 vcc_lo, s4
	s_delay_alu instid0(SALU_CYCLE_1)
	s_xor_b32 s36, exec_lo, vcc_lo
	s_cbranch_execz .LBB2_3147
; %bb.3130:                             ;   in Loop: Header=BB2_3101 Depth=3
	s_and_saveexec_b32 s37, s1
	s_cbranch_execz .LBB2_3146
; %bb.3131:                             ;   in Loop: Header=BB2_3101 Depth=3
	s_mov_b32 s39, exec_lo
	s_mov_b32 s38, exec_lo
	v_mbcnt_lo_u32_b32 v2, s39, 0
	s_waitcnt lgkmcnt(0)
	s_waitcnt_vscnt null, 0x0
	buffer_gl1_inv
	buffer_gl0_inv
	v_cmpx_eq_u32_e32 0, v2
	s_cbranch_execz .LBB2_3133
; %bb.3132:                             ;   in Loop: Header=BB2_3101 Depth=3
	s_bcnt1_i32_b32 vcc_lo, s39
	s_delay_alu instid0(SALU_CYCLE_1)
	v_mov_b32_e32 v2, vcc_lo
	ds_add_u64 v0, v[2:3]
	s_cbranch_execz .LBB2_3133
; %bb.8129:
	s_getpc_b64 s[48:49]
.Lpost_getpc97:
	s_add_u32 s48, s48, (.LBB2_7591-.Lpost_getpc97)&4294967295
	s_addc_u32 s49, s49, (.LBB2_7591-.Lpost_getpc97)>>32
	s_setpc_b64 s[48:49]
.LBB2_3133:                             ;   in Loop: Header=BB2_3101 Depth=3
	s_or_b32 exec_lo, exec_lo, s38
	s_cbranch_execz .LBB2_3134
; %bb.8131:
	s_getpc_b64 s[48:49]
.Lpost_getpc98:
	s_add_u32 s48, s48, (.LBB2_7559-.Lpost_getpc98)&4294967295
	s_addc_u32 s49, s49, (.LBB2_7559-.Lpost_getpc98)>>32
	s_setpc_b64 s[48:49]
.LBB2_3134:                             ;   in Loop: Header=BB2_3101 Depth=3
	ds_load_b64 v[8:9], v0
	v_add_co_u32 v12, vcc_lo, v12, v71
	v_add_co_ci_u32_e32 v13, vcc_lo, 0, v13, vcc_lo
	s_mov_b32 s38, exec_lo
	s_waitcnt lgkmcnt(0)
	s_delay_alu instid0(VALU_DEP_1)
	v_cmpx_lt_u64_e64 v[8:9], v[12:13]
	s_cbranch_execz .LBB2_3145
; %bb.3135:                             ;   in Loop: Header=BB2_3101 Depth=3
	s_mov_b32 s39, 0
	s_mov_b32 s42, 0
                                        ; implicit-def: $sgpr40
                                        ; implicit-def: $sgpr41
	s_branch .LBB2_3137
.LBB2_3136:                             ;   in Loop: Header=BB2_3137 Depth=4
	s_or_b32 exec_lo, exec_lo, s44
	s_delay_alu instid0(SALU_CYCLE_1) | instskip(NEXT) | instid1(SALU_CYCLE_1)
	s_and_b32 vcc_lo, exec_lo, vcc_lo
	s_or_b32 s39, vcc_lo, s39
	s_and_not1_b32 vcc_lo, s40, exec_lo
	s_and_b32 s40, s41, exec_lo
	s_delay_alu instid0(SALU_CYCLE_1)
	s_or_b32 s40, vcc_lo, s40
	s_and_not1_b32 exec_lo, exec_lo, s39
	s_cbranch_execz .LBB2_3143
.LBB2_3137:                             ;   Parent Loop BB2_51 Depth=1
                                        ;     Parent Loop BB2_1253 Depth=2
                                        ;       Parent Loop BB2_3101 Depth=3
                                        ; =>      This Inner Loop Header: Depth=4
	s_add_i32 s42, s42, 1
                                        ; implicit-def: $sgpr44
	s_delay_alu instid0(SALU_CYCLE_1) | instskip(SKIP_1) | instid1(SALU_CYCLE_1)
	s_cmpk_lg_i32 s42, 0x2710
	s_cselect_b32 s43, -1, 0
	s_and_b32 vcc_lo, exec_lo, s43
	s_cbranch_vccz .LBB2_3141
.LBB2_3138:                             ;   in Loop: Header=BB2_3137 Depth=4
	s_and_not1_b32 s41, s41, exec_lo
	s_and_b32 s44, s44, exec_lo
	s_mov_b32 vcc_lo, -1
	s_or_b32 s41, s41, s44
	s_and_saveexec_b32 s44, s43
	s_cbranch_execz .LBB2_3136
; %bb.3139:                             ;   in Loop: Header=BB2_3137 Depth=4
	s_sleep 1
	s_cbranch_execz .LBB2_3140
; %bb.8133:
	s_getpc_b64 s[48:49]
.Lpost_getpc99:
	s_add_u32 s48, s48, (.LBB2_7641-.Lpost_getpc99)&4294967295
	s_addc_u32 s49, s49, (.LBB2_7641-.Lpost_getpc99)>>32
	s_setpc_b64 s[48:49]
.LBB2_3140:                             ;   in Loop: Header=BB2_3137 Depth=4
	ds_load_b64 v[8:9], v0
	s_and_not1_b32 s41, s41, exec_lo
	s_waitcnt lgkmcnt(0)
	v_cmp_ge_u64_e32 vcc_lo, v[8:9], v[12:13]
	s_or_not1_b32 vcc_lo, vcc_lo, exec_lo
	s_branch .LBB2_3136
.LBB2_3141:                             ;   in Loop: Header=BB2_3137 Depth=4
	s_cbranch_execz .LBB2_3142
; %bb.8135:
	s_getpc_b64 s[48:49]
.Lpost_getpc100:
	s_add_u32 s48, s48, (.LBB2_7655-.Lpost_getpc100)&4294967295
	s_addc_u32 s49, s49, (.LBB2_7655-.Lpost_getpc100)>>32
	s_setpc_b64 s[48:49]
.LBB2_3142:                             ;   in Loop: Header=BB2_3137 Depth=4
	ds_load_b64 v[8:9], v0
	s_and_not1_b32 s43, s43, exec_lo
	s_mov_b32 s42, 0
	s_mov_b32 s44, -1
	s_waitcnt lgkmcnt(0)
	flat_load_b32 v2, v[8:9] glc
	s_waitcnt vmcnt(0) lgkmcnt(0)
	buffer_gl1_inv
	buffer_gl0_inv
	v_cmp_eq_u32_e32 vcc_lo, 0, v2
	s_and_b32 vcc_lo, vcc_lo, exec_lo
	s_delay_alu instid0(SALU_CYCLE_1)
	s_or_b32 s43, s43, vcc_lo
	s_branch .LBB2_3138
.LBB2_3143:                             ;   in Loop: Header=BB2_3101 Depth=3
	s_or_b32 exec_lo, exec_lo, s39
	s_and_saveexec_b32 vcc_lo, s40
	s_delay_alu instid0(SALU_CYCLE_1)
	s_xor_b32 vcc_lo, exec_lo, vcc_lo
	s_cbranch_execz .LBB2_3145
; %bb.3144:                             ;   in Loop: Header=BB2_3101 Depth=3
	ds_store_b32 v0, v115
	s_cbranch_execz .LBB2_3145
; %bb.8137:
	s_getpc_b64 s[48:49]
.Lpost_getpc101:
	s_add_u32 s48, s48, (.LBB2_7865-.Lpost_getpc101)&4294967295
	s_addc_u32 s49, s49, (.LBB2_7865-.Lpost_getpc101)>>32
	s_setpc_b64 s[48:49]
.LBB2_3145:                             ;   in Loop: Header=BB2_3101 Depth=3
	s_or_b32 exec_lo, exec_lo, s38
	;;#ASMSTART
	s_wakeup
	;;#ASMEND
.LBB2_3146:                             ;   in Loop: Header=BB2_3101 Depth=3
	s_or_b32 exec_lo, exec_lo, s37
.LBB2_3147:                             ;   in Loop: Header=BB2_3101 Depth=3
	s_and_not1_saveexec_b32 vcc_lo, s36
	s_cbranch_execz .LBB2_3149
; %bb.3148:                             ;   in Loop: Header=BB2_3101 Depth=3
	s_waitcnt lgkmcnt(0)
	s_waitcnt_vscnt null, 0x0
	buffer_gl1_inv
	buffer_gl0_inv
	s_barrier
.LBB2_3149:                             ;   in Loop: Header=BB2_3101 Depth=3
	s_or_b32 exec_lo, exec_lo, vcc_lo
.LBB2_3150:                             ;   in Loop: Header=BB2_3101 Depth=3
	s_delay_alu instid0(SALU_CYCLE_1) | instskip(SKIP_1) | instid1(SALU_CYCLE_1)
	s_or_b32 exec_lo, exec_lo, s13
                                        ; implicit-def: $vgpr2
	s_and_saveexec_b32 s13, vcc_hi
	s_xor_b32 s13, exec_lo, s13
	s_cbranch_execz .LBB2_3172
; %bb.3151:                             ;   in Loop: Header=BB2_3101 Depth=3
	s_and_saveexec_b32 vcc_lo, s4
	s_delay_alu instid0(SALU_CYCLE_1)
	s_xor_b32 s36, exec_lo, vcc_lo
	s_cbranch_execz .LBB2_3169
; %bb.3152:                             ;   in Loop: Header=BB2_3101 Depth=3
	s_and_saveexec_b32 s37, s1
	s_cbranch_execz .LBB2_3168
; %bb.3153:                             ;   in Loop: Header=BB2_3101 Depth=3
	s_mov_b32 s39, exec_lo
	s_mov_b32 s38, exec_lo
	v_mbcnt_lo_u32_b32 v2, s39, 0
	;;#ASMSTART
	s_waitcnt lgkmcnt(0) vmcnt(0)
	;;#ASMEND
	s_delay_alu instid0(VALU_DEP_1)
	v_cmpx_eq_u32_e32 0, v2
	s_cbranch_execz .LBB2_3155
; %bb.3154:                             ;   in Loop: Header=BB2_3101 Depth=3
	s_bcnt1_i32_b32 vcc_lo, s39
	s_delay_alu instid0(SALU_CYCLE_1)
	v_mov_b32_e32 v2, vcc_lo
	ds_add_u64 v0, v[2:3]
	s_cbranch_execz .LBB2_3155
; %bb.8139:
	s_getpc_b64 s[48:49]
.Lpost_getpc102:
	s_add_u32 s48, s48, (.LBB2_7599-.Lpost_getpc102)&4294967295
	s_addc_u32 s49, s49, (.LBB2_7599-.Lpost_getpc102)>>32
	s_setpc_b64 s[48:49]
.LBB2_3155:                             ;   in Loop: Header=BB2_3101 Depth=3
	s_or_b32 exec_lo, exec_lo, s38
	s_cbranch_execz .LBB2_3156
; %bb.8141:
	s_getpc_b64 s[48:49]
.Lpost_getpc103:
	s_add_u32 s48, s48, (.LBB2_7567-.Lpost_getpc103)&4294967295
	s_addc_u32 s49, s49, (.LBB2_7567-.Lpost_getpc103)>>32
	s_setpc_b64 s[48:49]
.LBB2_3156:                             ;   in Loop: Header=BB2_3101 Depth=3
	ds_load_b64 v[8:9], v0
	v_add_co_u32 v12, vcc_lo, v12, v71
	v_add_co_ci_u32_e32 v13, vcc_lo, 0, v13, vcc_lo
	s_mov_b32 s38, exec_lo
	s_waitcnt lgkmcnt(0)
	s_delay_alu instid0(VALU_DEP_1)
	v_cmpx_lt_u64_e64 v[8:9], v[12:13]
	s_cbranch_execz .LBB2_3167
; %bb.3157:                             ;   in Loop: Header=BB2_3101 Depth=3
	s_mov_b32 s39, 0
	s_mov_b32 s42, 0
                                        ; implicit-def: $sgpr40
                                        ; implicit-def: $sgpr41
	s_branch .LBB2_3159
.LBB2_3158:                             ;   in Loop: Header=BB2_3159 Depth=4
	s_or_b32 exec_lo, exec_lo, s44
	s_delay_alu instid0(SALU_CYCLE_1) | instskip(NEXT) | instid1(SALU_CYCLE_1)
	s_and_b32 vcc_lo, exec_lo, vcc_lo
	s_or_b32 s39, vcc_lo, s39
	s_and_not1_b32 vcc_lo, s40, exec_lo
	s_and_b32 s40, s41, exec_lo
	s_delay_alu instid0(SALU_CYCLE_1)
	s_or_b32 s40, vcc_lo, s40
	s_and_not1_b32 exec_lo, exec_lo, s39
	s_cbranch_execz .LBB2_3165
.LBB2_3159:                             ;   Parent Loop BB2_51 Depth=1
                                        ;     Parent Loop BB2_1253 Depth=2
                                        ;       Parent Loop BB2_3101 Depth=3
                                        ; =>      This Inner Loop Header: Depth=4
	s_add_i32 s42, s42, 1
                                        ; implicit-def: $sgpr44
	s_delay_alu instid0(SALU_CYCLE_1) | instskip(SKIP_1) | instid1(SALU_CYCLE_1)
	s_cmpk_lg_i32 s42, 0x2710
	s_cselect_b32 s43, -1, 0
	s_and_b32 vcc_lo, exec_lo, s43
	s_cbranch_vccz .LBB2_3163
.LBB2_3160:                             ;   in Loop: Header=BB2_3159 Depth=4
	s_and_not1_b32 s41, s41, exec_lo
	s_and_b32 s44, s44, exec_lo
	s_mov_b32 vcc_lo, -1
	s_or_b32 s41, s41, s44
	s_and_saveexec_b32 s44, s43
	s_cbranch_execz .LBB2_3158
; %bb.3161:                             ;   in Loop: Header=BB2_3159 Depth=4
	s_sleep 1
	s_cbranch_execz .LBB2_3162
; %bb.8143:
	s_getpc_b64 s[48:49]
.Lpost_getpc104:
	s_add_u32 s48, s48, (.LBB2_7647-.Lpost_getpc104)&4294967295
	s_addc_u32 s49, s49, (.LBB2_7647-.Lpost_getpc104)>>32
	s_setpc_b64 s[48:49]
.LBB2_3162:                             ;   in Loop: Header=BB2_3159 Depth=4
	ds_load_b64 v[8:9], v0
	s_and_not1_b32 s41, s41, exec_lo
	s_waitcnt lgkmcnt(0)
	v_cmp_ge_u64_e32 vcc_lo, v[8:9], v[12:13]
	s_or_not1_b32 vcc_lo, vcc_lo, exec_lo
	s_branch .LBB2_3158
.LBB2_3163:                             ;   in Loop: Header=BB2_3159 Depth=4
	s_cbranch_execz .LBB2_3164
; %bb.8145:
	s_getpc_b64 s[48:49]
.Lpost_getpc105:
	s_add_u32 s48, s48, (.LBB2_7667-.Lpost_getpc105)&4294967295
	s_addc_u32 s49, s49, (.LBB2_7667-.Lpost_getpc105)>>32
	s_setpc_b64 s[48:49]
.LBB2_3164:                             ;   in Loop: Header=BB2_3159 Depth=4
	ds_load_b64 v[8:9], v0
	s_and_not1_b32 s43, s43, exec_lo
	s_mov_b32 s42, 0
	s_mov_b32 s44, -1
	s_waitcnt lgkmcnt(0)
	s_waitcnt_vscnt null, 0x0
	flat_load_b32 v2, v[8:9] glc
	s_waitcnt vmcnt(0) lgkmcnt(0)
	buffer_gl1_inv
	buffer_gl0_inv
	v_cmp_eq_u32_e32 vcc_lo, 0, v2
	s_and_b32 vcc_lo, vcc_lo, exec_lo
	s_delay_alu instid0(SALU_CYCLE_1)
	s_or_b32 s43, s43, vcc_lo
	s_branch .LBB2_3160
.LBB2_3165:                             ;   in Loop: Header=BB2_3101 Depth=3
	s_or_b32 exec_lo, exec_lo, s39
	s_and_saveexec_b32 vcc_lo, s40
	s_delay_alu instid0(SALU_CYCLE_1)
	s_xor_b32 vcc_lo, exec_lo, vcc_lo
	s_cbranch_execz .LBB2_3167
; %bb.3166:                             ;   in Loop: Header=BB2_3101 Depth=3
	ds_store_b32 v0, v115
	s_cbranch_execz .LBB2_3167
; %bb.8147:
	s_getpc_b64 s[48:49]
.Lpost_getpc106:
	s_add_u32 s48, s48, (.LBB2_7869-.Lpost_getpc106)&4294967295
	s_addc_u32 s49, s49, (.LBB2_7869-.Lpost_getpc106)>>32
	s_setpc_b64 s[48:49]
.LBB2_3167:                             ;   in Loop: Header=BB2_3101 Depth=3
	s_or_b32 exec_lo, exec_lo, s38
	;;#ASMSTART
	s_wakeup
	;;#ASMEND
.LBB2_3168:                             ;   in Loop: Header=BB2_3101 Depth=3
	s_or_b32 exec_lo, exec_lo, s37
.LBB2_3169:                             ;   in Loop: Header=BB2_3101 Depth=3
	s_and_not1_saveexec_b32 vcc_lo, s36
	s_cbranch_execz .LBB2_3171
; %bb.3170:                             ;   in Loop: Header=BB2_3101 Depth=3
	;;#ASMSTART
	s_waitcnt lgkmcnt(0) vmcnt(0)
	;;#ASMEND
	s_waitcnt lgkmcnt(0)
	s_waitcnt_vscnt null, 0x0
	s_barrier
.LBB2_3171:                             ;   in Loop: Header=BB2_3101 Depth=3
	s_or_b32 exec_lo, exec_lo, vcc_lo
	v_and_b32_e32 v2, 16, v30
.LBB2_3172:                             ;   in Loop: Header=BB2_3101 Depth=3
	s_and_not1_saveexec_b32 s36, s13
	s_cbranch_execz .LBB2_3177
; %bb.3173:                             ;   in Loop: Header=BB2_3101 Depth=3
	s_cbranch_execz .LBB2_3174
; %bb.8149:
	s_getpc_b64 s[48:49]
.Lpost_getpc107:
	s_add_u32 s48, s48, (.LBB2_7503-.Lpost_getpc107)&4294967295
	s_addc_u32 s49, s49, (.LBB2_7503-.Lpost_getpc107)>>32
	s_setpc_b64 s[48:49]
.LBB2_3174:                             ;   in Loop: Header=BB2_3101 Depth=3
	ds_load_b32 v2, v0
	v_cmp_lt_i32_e32 vcc_lo, 0, v50
	s_waitcnt lgkmcnt(0)
	v_readfirstlane_b32 s13, v2
	v_and_b32_e32 v2, 16, v30
	s_delay_alu instid0(VALU_DEP_2) | instskip(NEXT) | instid1(VALU_DEP_1)
	s_cmp_eq_u32 s13, 0
	v_cmp_ne_u32_e64 s13, 0, v2
	s_cselect_b32 s37, -1, 0
	v_and_b32_e32 v2, 16, v30
	s_and_b32 vcc_lo, vcc_lo, s37
	s_delay_alu instid0(VALU_DEP_2) | instid1(SALU_CYCLE_1)
	s_and_b32 vcc_lo, s13, vcc_lo
	s_delay_alu instid0(SALU_CYCLE_1)
	s_and_saveexec_b32 s13, vcc_lo
	s_cbranch_execz .LBB2_3176
; %bb.3175:                             ;   in Loop: Header=BB2_3101 Depth=3
	v_mov_b32_e32 v2, 1
	s_waitcnt_vscnt null, 0x0
	buffer_gl1_inv
	buffer_gl0_inv
.LBB2_3176:                             ;   in Loop: Header=BB2_3101 Depth=3
	s_or_b32 exec_lo, exec_lo, s13
.LBB2_3177:                             ;   in Loop: Header=BB2_3101 Depth=3
	s_delay_alu instid0(SALU_CYCLE_1) | instskip(NEXT) | instid1(VALU_DEP_1)
	s_or_b32 exec_lo, exec_lo, s36
	v_cmp_ne_u32_e32 vcc_lo, 0, v2
	s_xor_b32 s13, s10, -1
	s_delay_alu instid0(SALU_CYCLE_1) | instskip(NEXT) | instid1(SALU_CYCLE_1)
	s_and_b32 vcc_lo, vcc_lo, s13
	s_and_saveexec_b32 s13, vcc_lo
	s_cbranch_execz .LBB2_3179
; %bb.3178:                             ;   in Loop: Header=BB2_3101 Depth=3
	s_waitcnt lgkmcnt(0)
	s_waitcnt_vscnt null, 0x0
	flat_store_b32 v[26:27], v115
.LBB2_3179:                             ;   in Loop: Header=BB2_3101 Depth=3
	s_or_b32 exec_lo, exec_lo, s13
	v_and_b32_e32 v2, 48, v30
	s_mov_b32 s13, exec_lo
	s_delay_alu instid0(VALU_DEP_1)
	v_cmpx_ne_u32_e32 0, v2
	s_cbranch_execz .LBB2_3181
; %bb.3180:                             ;   in Loop: Header=BB2_3101 Depth=3
	v_add_co_u32 v22, vcc_lo, v22, 2
	v_add_co_ci_u32_e32 v23, vcc_lo, 0, v23, vcc_lo
	s_waitcnt lgkmcnt(0)
	s_waitcnt_vscnt null, 0x0
	flat_store_b64 v[20:21], v[22:23]
.LBB2_3181:                             ;   in Loop: Header=BB2_3101 Depth=3
	s_or_b32 exec_lo, exec_lo, s13
	v_add_nc_u32_e32 v119, v50, v119
	s_mov_b32 s13, 0
	s_and_not1_b32 exec_lo, exec_lo, s17
	s_cbranch_execnz .LBB2_3101
; %bb.3182:                             ;   in Loop: Header=BB2_1253 Depth=2
	s_or_b32 exec_lo, exec_lo, s17
.LBB2_3183:                             ;   in Loop: Header=BB2_1253 Depth=2
	s_delay_alu instid0(SALU_CYCLE_1) | instskip(SKIP_1) | instid1(SALU_CYCLE_1)
	s_or_b32 exec_lo, exec_lo, s16
	s_add_i32 s15, s15, 1
	s_cmp_eq_u32 s15, s19
	s_cbranch_scc0 .LBB2_1253
.LBB2_3184:                             ;   in Loop: Header=BB2_51 Depth=1
	v_mul_lo_u32 v2, v39, s19
	v_mul_lo_u32 v10, v38, s21
	v_mad_u64_u32 v[8:9], null, v38, s19, 0
	v_mov_b32_e32 v118, 0
	s_mov_b32 s37, 0
	s_delay_alu instid0(VALU_DEP_2) | instskip(NEXT) | instid1(VALU_DEP_3)
	v_add3_u32 v9, v9, v10, v2
	v_sub_co_u32 v10, vcc_lo, v48, v8
	s_delay_alu instid0(VALU_DEP_2) | instskip(NEXT) | instid1(VALU_DEP_1)
	v_sub_co_ci_u32_e32 v11, vcc_lo, v49, v9, vcc_lo
	v_cmp_lt_i64_e32 vcc_lo, v[38:39], v[10:11]
	v_cndmask_b32_e32 v10, v10, v38, vcc_lo
	s_delay_alu instid0(VALU_DEP_1) | instskip(SKIP_1) | instid1(VALU_DEP_2)
	v_max_i32_e32 v55, 0, v10
	v_cmp_lt_i32_e32 vcc_lo, 0, v10
	v_add_nc_u32_e32 v2, 31, v55
	s_and_b32 s15, s30, vcc_lo
	s_delay_alu instid0(VALU_DEP_1) | instskip(NEXT) | instid1(VALU_DEP_1)
	v_lshrrev_b32_e32 v2, 1, v2
	v_dual_mov_b32 v2, 0 :: v_dual_and_b32 v11, 0x3ffffff0, v2
	s_delay_alu instid0(VALU_DEP_1)
	v_max_i32_e32 v50, s28, v11
	s_and_saveexec_b32 s13, s15
	s_cbranch_execnz .LBB2_3185
; %bb.8151:                             ;   in Loop: Header=BB2_51 Depth=1
	s_getpc_b64 s[48:49]
.Lpost_getpc108:
	s_add_u32 s48, s48, (.LBB2_6749-.Lpost_getpc108)&4294967295
	s_addc_u32 s49, s49, (.LBB2_6749-.Lpost_getpc108)>>32
	s_setpc_b64 s[48:49]
.LBB2_3185:                             ;   in Loop: Header=BB2_51 Depth=1
	v_add_co_u32 v119, vcc_lo, v8, v116
	v_add_co_ci_u32_e32 v128, vcc_lo, v9, v117, vcc_lo
	v_mov_b32_e32 v118, 0
	s_mov_b32 s17, 1
	s_mov_b32 s16, -1
	v_writelane_b32 v46, s13, 6
.LBB2_3186:                             ;   Parent Loop BB2_51 Depth=1
                                        ; =>  This Loop Header: Depth=2
                                        ;       Child Loop BB2_3195 Depth 3
                                        ;       Child Loop BB2_3225 Depth 3
	;; [unrolled: 1-line block ×4, first 2 shown]
                                        ;         Child Loop BB2_3731 Depth 4
                                        ;       Child Loop BB2_3931 Depth 3
                                        ;         Child Loop BB2_4389 Depth 4
                                        ;       Child Loop BB2_4592 Depth 3
                                        ;       Child Loop BB2_4928 Depth 3
                                        ;         Child Loop BB2_4967 Depth 4
                                        ;       Child Loop BB2_4995 Depth 3
                                        ;       Child Loop BB2_5650 Depth 3
	;; [unrolled: 1-line block ×6, first 2 shown]
	s_and_saveexec_b32 s15, s0
	s_cbranch_execz .LBB2_3189
; %bb.3187:                             ;   in Loop: Header=BB2_3186 Depth=2
	s_cbranch_execz .LBB2_3188
; %bb.8153:
	s_getpc_b64 s[48:49]
.Lpost_getpc109:
	s_add_u32 s48, s48, (.LBB2_7471-.Lpost_getpc109)&4294967295
	s_addc_u32 s49, s49, (.LBB2_7471-.Lpost_getpc109)>>32
	s_setpc_b64 s[48:49]
.LBB2_3188:                             ;   in Loop: Header=BB2_3186 Depth=2
	ds_load_2addr_b64 v[8:11], v0 offset1:1
	ds_load_b64 v[51:52], v0
	v_ashrrev_i32_e32 v2, 31, v118
	s_waitcnt lgkmcnt(1)
	v_add_co_u32 v8, vcc_lo, v8, v119
	v_add_co_ci_u32_e32 v9, vcc_lo, v9, v128, vcc_lo
	v_add_co_u32 v10, vcc_lo, v10, v119
	v_add_co_ci_u32_e32 v11, vcc_lo, v11, v128, vcc_lo
	s_waitcnt lgkmcnt(0)
	v_add_co_u32 v53, vcc_lo, v51, v119
	v_add_co_ci_u32_e32 v54, vcc_lo, v52, v128, vcc_lo
	v_add_co_u32 v8, vcc_lo, v8, v118
	v_add_co_ci_u32_e32 v9, vcc_lo, v9, v2, vcc_lo
	s_delay_alu instid0(VALU_DEP_4) | instskip(NEXT) | instid1(VALU_DEP_4)
	v_add_co_u32 v53, vcc_lo, v53, v118
	v_add_co_ci_u32_e32 v54, vcc_lo, v54, v2, vcc_lo
	v_cmp_ne_u64_e32 vcc_lo, 0, v[51:52]
	v_add_co_u32 v10, s13, v10, v118
	s_delay_alu instid0(VALU_DEP_1) | instskip(NEXT) | instid1(VALU_DEP_4)
	v_add_co_ci_u32_e64 v11, s13, v11, v2, s13
	v_dual_cndmask_b32 v52, 0, v54 :: v_dual_cndmask_b32 v51, 0, v53
	ds_store_b64 v0, v[8:9]
	ds_store_b64 v0, v[10:11]
	;; [unrolled: 1-line block ×3, first 2 shown]
.LBB2_3189:                             ;   in Loop: Header=BB2_3186 Depth=2
	s_or_b32 exec_lo, exec_lo, s15
	v_and_b32_e32 v2, 12, v30
	s_mov_b32 s36, -1
	s_mov_b32 s13, exec_lo
	s_delay_alu instid0(VALU_DEP_1)
	v_cmpx_ne_u32_e32 0, v2
	s_cbranch_execz .LBB2_3203
; %bb.3190:                             ;   in Loop: Header=BB2_3186 Depth=2
	v_and_b32_e32 v2, 8, v30
	s_mov_b32 s15, s17
	s_mov_b32 s17, s37
	s_delay_alu instid0(VALU_DEP_1) | instskip(SKIP_3) | instid1(VALU_DEP_1)
	v_add_co_u32 v10, vcc_lo, v28, v2
	v_add_co_ci_u32_e32 v11, vcc_lo, 0, v29, vcc_lo
	v_add_co_u32 v8, vcc_lo, v22, 2
	v_add_co_ci_u32_e32 v9, vcc_lo, 0, v23, vcc_lo
	v_cmp_lt_u64_e32 vcc_lo, v[10:11], v[8:9]
	v_mov_b32_e32 v10, 1
	s_and_saveexec_b32 s36, vcc_lo
	s_cbranch_execz .LBB2_3202
; %bb.3191:                             ;   in Loop: Header=BB2_3186 Depth=2
	v_mov_b32_e32 v10, 0
	s_mov_b32 s37, 0
                                        ; implicit-def: $sgpr38
	s_branch .LBB2_3195
.LBB2_3192:                             ;   in Loop: Header=BB2_3195 Depth=3
	s_or_b32 exec_lo, exec_lo, s42
	v_mov_b32_e32 v11, 0
	s_or_not1_b32 s41, s41, exec_lo
.LBB2_3193:                             ;   in Loop: Header=BB2_3195 Depth=3
	s_or_b32 exec_lo, exec_lo, s40
	s_delay_alu instid0(VALU_DEP_1) | instskip(SKIP_2) | instid1(SALU_CYCLE_1)
	v_mov_b32_e32 v10, v11
	s_and_not1_b32 vcc_lo, s38, exec_lo
	s_and_b32 s38, s41, exec_lo
	s_or_b32 s38, vcc_lo, s38
.LBB2_3194:                             ;   in Loop: Header=BB2_3195 Depth=3
	s_or_b32 exec_lo, exec_lo, s39
	s_waitcnt vmcnt(0) lgkmcnt(0)
	v_add_co_u32 v51, vcc_lo, v28, v2
	v_add_co_ci_u32_e32 v52, vcc_lo, 0, v29, vcc_lo
	s_xor_b32 s39, s38, -1
	s_delay_alu instid0(VALU_DEP_1) | instskip(SKIP_1) | instid1(SALU_CYCLE_1)
	v_cmp_ge_u64_e32 vcc_lo, v[51:52], v[8:9]
	s_or_b32 vcc_lo, s39, vcc_lo
	s_and_b32 vcc_lo, exec_lo, vcc_lo
	s_delay_alu instid0(SALU_CYCLE_1) | instskip(NEXT) | instid1(SALU_CYCLE_1)
	s_or_b32 s37, vcc_lo, s37
	s_and_not1_b32 exec_lo, exec_lo, s37
	s_cbranch_execz .LBB2_3201
.LBB2_3195:                             ;   Parent Loop BB2_51 Depth=1
                                        ;     Parent Loop BB2_3186 Depth=2
                                        ; =>    This Inner Loop Header: Depth=3
	s_sleep 1
	flat_load_b64 v[28:29], v[20:21] glc
	v_and_b32_e32 v11, 64, v30
	s_and_not1_b32 s38, s38, exec_lo
	s_mov_b32 s39, exec_lo
	s_delay_alu instid0(VALU_DEP_1)
	v_cmpx_eq_u32_e32 0, v11
	s_cbranch_execz .LBB2_3194
; %bb.3196:                             ;   in Loop: Header=BB2_3195 Depth=3
	v_add_nc_u32_e32 v11, 1, v10
	s_mov_b32 s41, -1
	s_mov_b32 s40, exec_lo
	v_cmpx_lt_i32_e32 0x270e, v10
	s_cbranch_execz .LBB2_3193
; %bb.3197:                             ;   in Loop: Header=BB2_3195 Depth=3
	s_cbranch_execz .LBB2_3198
; %bb.8155:
	s_getpc_b64 s[48:49]
.Lpost_getpc110:
	s_add_u32 s48, s48, (.LBB2_7497-.Lpost_getpc110)&4294967295
	s_addc_u32 s49, s49, (.LBB2_7497-.Lpost_getpc110)>>32
	s_setpc_b64 s[48:49]
.LBB2_3198:                             ;   in Loop: Header=BB2_3195 Depth=3
	ds_load_b64 v[10:11], v0
	s_mov_b32 s42, exec_lo
	s_waitcnt vmcnt(0) lgkmcnt(0)
	s_waitcnt_vscnt null, 0x0
	flat_load_b32 v10, v[10:11] glc
	s_waitcnt vmcnt(0) lgkmcnt(0)
	buffer_gl1_inv
	buffer_gl0_inv
	v_cmpx_ne_u32_e32 0, v10
	s_cbranch_execz .LBB2_3192
; %bb.3199:                             ;   in Loop: Header=BB2_3195 Depth=3
	ds_store_b32 v0, v10
	s_cbranch_execz .LBB2_3200
; %bb.8157:
	s_getpc_b64 s[48:49]
.Lpost_getpc111:
	s_add_u32 s48, s48, (.LBB2_7551-.Lpost_getpc111)&4294967295
	s_addc_u32 s49, s49, (.LBB2_7551-.Lpost_getpc111)>>32
	s_setpc_b64 s[48:49]
.LBB2_3200:                             ;   in Loop: Header=BB2_3195 Depth=3
	v_or_b32_e32 v30, 64, v30
	s_xor_b32 s41, exec_lo, -1
	s_branch .LBB2_3192
.LBB2_3201:                             ;   in Loop: Header=BB2_3186 Depth=2
	s_or_b32 exec_lo, exec_lo, s37
	v_and_b32_e32 v10, 12, v30
.LBB2_3202:                             ;   in Loop: Header=BB2_3186 Depth=2
	s_or_b32 exec_lo, exec_lo, s36
	s_delay_alu instid0(VALU_DEP_1)
	v_cmp_eq_u32_e32 vcc_lo, 0, v10
	s_mov_b32 s37, s17
	s_mov_b32 s17, s15
	;;#ASMSTART
	s_wakeup
	;;#ASMEND
	s_or_not1_b32 s36, vcc_lo, exec_lo
.LBB2_3203:                             ;   in Loop: Header=BB2_3186 Depth=2
	s_or_b32 exec_lo, exec_lo, s13
	v_sub_nc_u32_e32 v2, v55, v118
	s_xor_b32 s13, s36, -1
	s_delay_alu instid0(VALU_DEP_1)
	v_min_i32_e32 v50, v50, v2
	s_and_saveexec_b32 s15, s13
	s_cbranch_execz .LBB2_3216
; %bb.3204:                             ;   in Loop: Header=BB2_3186 Depth=2
	v_and_b32_e32 v2, 0x108, v30
	s_mov_b32 s36, s16
	s_mov_b32 s16, s37
	s_delay_alu instid0(VALU_DEP_1) | instskip(SKIP_2) | instid1(SALU_CYCLE_1)
	v_cmp_ne_u32_e32 vcc_lo, 0x108, v2
	v_and_b32_e32 v2, 7, v22
	s_and_saveexec_b32 s13, vcc_lo
	s_xor_b32 s13, exec_lo, s13
	s_delay_alu instid0(SALU_CYCLE_1)
	s_and_not1_saveexec_b32 s13, s13
	s_cbranch_execz .LBB2_3206
; %bb.3205:                             ;   in Loop: Header=BB2_3186 Depth=2
	v_mad_u64_u32 v[8:9], null, v2, 24, v[6:7]
	v_ashrrev_i32_e32 v51, 31, v50
	flat_store_b64 v[8:9], v[50:51] offset:8
.LBB2_3206:                             ;   in Loop: Header=BB2_3186 Depth=2
	s_or_b32 exec_lo, exec_lo, s13
	v_and_b32_e32 v8, 0x100, v30
	s_mov_b32 s13, -1
	s_delay_alu instid0(VALU_DEP_1)
	v_cmp_ne_u32_e32 vcc_lo, 0, v8
                                        ; implicit-def: $vgpr8_vgpr9
	s_and_saveexec_b32 s37, vcc_lo
	s_cbranch_execnz .LBB2_3209
; %bb.3207:                             ;   in Loop: Header=BB2_3186 Depth=2
	s_or_b32 exec_lo, exec_lo, s37
	s_and_saveexec_b32 vcc_lo, s13
	s_cbranch_execnz .LBB2_3212
.LBB2_3208:                             ;   in Loop: Header=BB2_3186 Depth=2
	s_or_b32 exec_lo, exec_lo, vcc_lo
	s_cbranch_execz .LBB2_3213
; %bb.8159:
	s_getpc_b64 s[48:49]
.Lpost_getpc112:
	s_add_u32 s48, s48, (.LBB2_7491-.Lpost_getpc112)&4294967295
	s_addc_u32 s49, s49, (.LBB2_7491-.Lpost_getpc112)>>32
	s_setpc_b64 s[48:49]
.LBB2_3209:                             ;   in Loop: Header=BB2_3186 Depth=2
	v_mad_u64_u32 v[10:11], null, v2, 24, v[6:7]
	s_delay_alu instid0(VALU_DEP_1) | instskip(NEXT) | instid1(VALU_DEP_1)
	v_mov_b32_e32 v8, v11
	v_mad_u64_u32 v[51:52], null, v3, 24, v[8:9]
	s_delay_alu instid0(VALU_DEP_1) | instskip(SKIP_4) | instid1(VALU_DEP_1)
	v_mov_b32_e32 v11, v51
	flat_load_b32 v8, v[10:11]
	s_waitcnt vmcnt(0) lgkmcnt(0)
	v_cmp_ne_u32_e32 vcc_lo, 1, v8
	v_cmp_eq_u32_e64 s13, 1, v8
                                        ; implicit-def: $vgpr8_vgpr9
	s_and_saveexec_b32 s38, s13
	s_cbranch_execz .LBB2_3211
; %bb.3210:                             ;   in Loop: Header=BB2_3186 Depth=2
	flat_load_b32 v8, v[10:11] offset:4 glc
	s_waitcnt vmcnt(0) lgkmcnt(0)
	v_ashrrev_i32_e32 v9, 31, v8
.LBB2_3211:                             ;   in Loop: Header=BB2_3186 Depth=2
	s_or_b32 exec_lo, exec_lo, s38
	s_delay_alu instid0(SALU_CYCLE_1)
	s_or_not1_b32 s13, vcc_lo, exec_lo
	s_or_b32 exec_lo, exec_lo, s37
	s_and_saveexec_b32 vcc_lo, s13
	s_cbranch_execz .LBB2_3208
.LBB2_3212:                             ;   in Loop: Header=BB2_3186 Depth=2
	v_mul_lo_u32 v10, v3, v68
	v_mul_lo_u32 v11, v2, v70
	v_mad_u64_u32 v[8:9], null, v2, v68, 0
	s_delay_alu instid0(VALU_DEP_1)
	v_add3_u32 v9, v9, v11, v10
	s_or_b32 exec_lo, exec_lo, vcc_lo
	s_cbranch_execz .LBB2_3213
; %bb.8161:
	s_getpc_b64 s[48:49]
.Lpost_getpc113:
	s_add_u32 s48, s48, (.LBB2_7491-.Lpost_getpc113)&4294967295
	s_addc_u32 s49, s49, (.LBB2_7491-.Lpost_getpc113)>>32
	s_setpc_b64 s[48:49]
.LBB2_3213:                             ;   in Loop: Header=BB2_3186 Depth=2
	s_delay_alu instid0(VALU_DEP_2)
	v_add_co_u32 v8, vcc_lo, v24, v8
	v_and_b32_e32 v2, 0x2000, v30
	v_add_co_ci_u32_e32 v9, vcc_lo, v25, v9, vcc_lo
	s_mov_b32 s13, exec_lo
	ds_store_b64 v0, v[8:9]
	v_cmpx_ne_u32_e32 0, v2
	s_cbranch_execz .LBB2_3215
; %bb.3214:                             ;   in Loop: Header=BB2_3186 Depth=2
	ds_load_b64 v[8:9], v0 offset:584
	s_waitcnt lgkmcnt(0)
	v_add_co_u32 v8, vcc_lo, v8, 1
	v_add_co_ci_u32_e32 v9, vcc_lo, 0, v9, vcc_lo
	ds_store_b64 v0, v[8:9] offset:584
.LBB2_3215:                             ;   in Loop: Header=BB2_3186 Depth=2
	s_or_b32 exec_lo, exec_lo, s13
	v_add_co_u32 v22, vcc_lo, v22, 2
	v_add_co_ci_u32_e32 v23, vcc_lo, 0, v23, vcc_lo
	s_mov_b32 s37, s16
	s_mov_b32 s16, s36
.LBB2_3216:                             ;   in Loop: Header=BB2_3186 Depth=2
	s_delay_alu instid0(SALU_CYCLE_1)
	v_writelane_b32 v46, s16, 7
	v_writelane_b32 v46, s17, 8
	;; [unrolled: 1-line block ×8, first 2 shown]
	s_or_b32 exec_lo, exec_lo, s15
	s_and_saveexec_b32 s13, s3
	s_cbranch_execz .LBB2_3238
; %bb.3217:                             ;   in Loop: Header=BB2_3186 Depth=2
	s_and_saveexec_b32 s14, s4
	s_delay_alu instid0(SALU_CYCLE_1)
	s_xor_b32 s14, exec_lo, s14
	s_cbranch_execz .LBB2_3235
; %bb.3218:                             ;   in Loop: Header=BB2_3186 Depth=2
	s_and_saveexec_b32 s15, s1
	s_cbranch_execz .LBB2_3234
; %bb.3219:                             ;   in Loop: Header=BB2_3186 Depth=2
	s_mov_b32 s17, exec_lo
	s_mov_b32 s16, exec_lo
	v_mbcnt_lo_u32_b32 v2, s17, 0
	s_waitcnt lgkmcnt(0)
	s_waitcnt_vscnt null, 0x0
	buffer_gl1_inv
	buffer_gl0_inv
	v_cmpx_eq_u32_e32 0, v2
	s_cbranch_execz .LBB2_3221
; %bb.3220:                             ;   in Loop: Header=BB2_3186 Depth=2
	s_bcnt1_i32_b32 s17, s17
	s_delay_alu instid0(SALU_CYCLE_1)
	v_mov_b32_e32 v2, s17
	ds_add_u64 v0, v[2:3]
	s_cbranch_execz .LBB2_3221
; %bb.8163:
	s_getpc_b64 s[48:49]
.Lpost_getpc114:
	s_add_u32 s48, s48, (.LBB2_7605-.Lpost_getpc114)&4294967295
	s_addc_u32 s49, s49, (.LBB2_7605-.Lpost_getpc114)>>32
	s_setpc_b64 s[48:49]
.LBB2_3221:                             ;   in Loop: Header=BB2_3186 Depth=2
	s_or_b32 exec_lo, exec_lo, s16
	s_cbranch_execz .LBB2_3222
; %bb.8165:
	s_getpc_b64 s[48:49]
.Lpost_getpc115:
	s_add_u32 s48, s48, (.LBB2_7581-.Lpost_getpc115)&4294967295
	s_addc_u32 s49, s49, (.LBB2_7581-.Lpost_getpc115)>>32
	s_setpc_b64 s[48:49]
.LBB2_3222:                             ;   in Loop: Header=BB2_3186 Depth=2
	ds_load_b64 v[8:9], v0
	v_add_co_u32 v12, vcc_lo, v12, v71
	v_add_co_ci_u32_e32 v13, vcc_lo, 0, v13, vcc_lo
	s_mov_b32 s16, exec_lo
	s_waitcnt lgkmcnt(0)
	s_delay_alu instid0(VALU_DEP_1)
	v_cmpx_lt_u64_e64 v[8:9], v[12:13]
	s_cbranch_execz .LBB2_3233
; %bb.3223:                             ;   in Loop: Header=BB2_3186 Depth=2
	s_mov_b32 s17, 0
	s_mov_b32 s34, 0
                                        ; implicit-def: $sgpr30
                                        ; implicit-def: $sgpr31
	s_branch .LBB2_3225
.LBB2_3224:                             ;   in Loop: Header=BB2_3225 Depth=3
	s_or_b32 exec_lo, exec_lo, s36
	s_delay_alu instid0(SALU_CYCLE_1) | instskip(NEXT) | instid1(SALU_CYCLE_1)
	s_and_b32 vcc_lo, exec_lo, vcc_lo
	s_or_b32 s17, vcc_lo, s17
	s_and_not1_b32 vcc_lo, s30, exec_lo
	s_and_b32 s30, s31, exec_lo
	s_delay_alu instid0(SALU_CYCLE_1)
	s_or_b32 s30, vcc_lo, s30
	s_and_not1_b32 exec_lo, exec_lo, s17
	s_cbranch_execz .LBB2_3231
.LBB2_3225:                             ;   Parent Loop BB2_51 Depth=1
                                        ;     Parent Loop BB2_3186 Depth=2
                                        ; =>    This Inner Loop Header: Depth=3
	s_add_i32 s34, s34, 1
                                        ; implicit-def: $sgpr36
	s_delay_alu instid0(SALU_CYCLE_1) | instskip(SKIP_1) | instid1(SALU_CYCLE_1)
	s_cmpk_lg_i32 s34, 0x2710
	s_cselect_b32 s35, -1, 0
	s_and_b32 vcc_lo, exec_lo, s35
	s_cbranch_vccz .LBB2_3229
.LBB2_3226:                             ;   in Loop: Header=BB2_3225 Depth=3
	s_and_not1_b32 s31, s31, exec_lo
	s_and_b32 s36, s36, exec_lo
	s_mov_b32 vcc_lo, -1
	s_or_b32 s31, s31, s36
	s_and_saveexec_b32 s36, s35
	s_cbranch_execz .LBB2_3224
; %bb.3227:                             ;   in Loop: Header=BB2_3225 Depth=3
	s_sleep 1
	s_cbranch_execz .LBB2_3228
; %bb.8167:
	s_getpc_b64 s[48:49]
.Lpost_getpc116:
	s_add_u32 s48, s48, (.LBB2_7659-.Lpost_getpc116)&4294967295
	s_addc_u32 s49, s49, (.LBB2_7659-.Lpost_getpc116)>>32
	s_setpc_b64 s[48:49]
.LBB2_3228:                             ;   in Loop: Header=BB2_3225 Depth=3
	ds_load_b64 v[8:9], v0
	s_and_not1_b32 s31, s31, exec_lo
	s_waitcnt lgkmcnt(0)
	v_cmp_ge_u64_e32 vcc_lo, v[8:9], v[12:13]
	s_or_not1_b32 vcc_lo, vcc_lo, exec_lo
	s_branch .LBB2_3224
.LBB2_3229:                             ;   in Loop: Header=BB2_3225 Depth=3
	s_cbranch_execz .LBB2_3230
; %bb.8169:
	s_getpc_b64 s[48:49]
.Lpost_getpc117:
	s_add_u32 s48, s48, (.LBB2_7673-.Lpost_getpc117)&4294967295
	s_addc_u32 s49, s49, (.LBB2_7673-.Lpost_getpc117)>>32
	s_setpc_b64 s[48:49]
.LBB2_3230:                             ;   in Loop: Header=BB2_3225 Depth=3
	ds_load_b64 v[8:9], v0
	s_and_not1_b32 s35, s35, exec_lo
	s_mov_b32 s34, 0
	s_mov_b32 s36, -1
	s_waitcnt lgkmcnt(0)
	flat_load_b32 v2, v[8:9] glc
	s_waitcnt vmcnt(0) lgkmcnt(0)
	buffer_gl1_inv
	buffer_gl0_inv
	v_cmp_eq_u32_e32 vcc_lo, 0, v2
	s_and_b32 vcc_lo, vcc_lo, exec_lo
	s_delay_alu instid0(SALU_CYCLE_1)
	s_or_b32 s35, s35, vcc_lo
	s_branch .LBB2_3226
.LBB2_3231:                             ;   in Loop: Header=BB2_3186 Depth=2
	s_or_b32 exec_lo, exec_lo, s17
	s_and_saveexec_b32 s17, s30
	s_delay_alu instid0(SALU_CYCLE_1)
	s_xor_b32 s17, exec_lo, s17
	s_cbranch_execz .LBB2_3233
; %bb.3232:                             ;   in Loop: Header=BB2_3186 Depth=2
	ds_store_b32 v0, v115
	s_cbranch_execz .LBB2_3233
; %bb.8171:
	s_getpc_b64 s[48:49]
.Lpost_getpc118:
	s_add_u32 s48, s48, (.LBB2_7875-.Lpost_getpc118)&4294967295
	s_addc_u32 s49, s49, (.LBB2_7875-.Lpost_getpc118)>>32
	s_setpc_b64 s[48:49]
.LBB2_3233:                             ;   in Loop: Header=BB2_3186 Depth=2
	s_or_b32 exec_lo, exec_lo, s16
	;;#ASMSTART
	s_wakeup
	;;#ASMEND
.LBB2_3234:                             ;   in Loop: Header=BB2_3186 Depth=2
	s_or_b32 exec_lo, exec_lo, s15
.LBB2_3235:                             ;   in Loop: Header=BB2_3186 Depth=2
	s_and_not1_saveexec_b32 s14, s14
	s_cbranch_execz .LBB2_3237
; %bb.3236:                             ;   in Loop: Header=BB2_3186 Depth=2
	s_waitcnt lgkmcnt(0)
	s_waitcnt_vscnt null, 0x0
	buffer_gl1_inv
	buffer_gl0_inv
	s_barrier
.LBB2_3237:                             ;   in Loop: Header=BB2_3186 Depth=2
	s_or_b32 exec_lo, exec_lo, s14
.LBB2_3238:                             ;   in Loop: Header=BB2_3186 Depth=2
	s_delay_alu instid0(SALU_CYCLE_1)
	s_or_b32 exec_lo, exec_lo, s13
	s_cbranch_execz .LBB2_3239
; %bb.8173:
	s_getpc_b64 s[48:49]
.Lpost_getpc119:
	s_add_u32 s48, s48, (.LBB2_7477-.Lpost_getpc119)&4294967295
	s_addc_u32 s49, s49, (.LBB2_7477-.Lpost_getpc119)>>32
	s_setpc_b64 s[48:49]
.LBB2_3239:                             ;   in Loop: Header=BB2_3186 Depth=2
	ds_load_b32 v8, v0
	v_and_b32_e32 v2, 0x4000, v30
	s_xor_b32 s13, s2, -1
	s_delay_alu instid0(VALU_DEP_1) | instskip(SKIP_1) | instid1(SALU_CYCLE_1)
	v_cmp_ne_u32_e32 vcc_lo, 0, v2
	s_and_b32 s14, s13, vcc_lo
	s_and_saveexec_b32 s13, s14
	s_cbranch_execz .LBB2_3261
; %bb.3240:                             ;   in Loop: Header=BB2_3186 Depth=2
	s_and_saveexec_b32 s14, s4
	s_delay_alu instid0(SALU_CYCLE_1)
	s_xor_b32 s14, exec_lo, s14
	s_cbranch_execz .LBB2_3258
; %bb.3241:                             ;   in Loop: Header=BB2_3186 Depth=2
	s_and_saveexec_b32 s15, s1
	s_cbranch_execz .LBB2_3257
; %bb.3242:                             ;   in Loop: Header=BB2_3186 Depth=2
	s_mov_b32 s17, exec_lo
	s_mov_b32 s16, exec_lo
	v_mbcnt_lo_u32_b32 v2, s17, 0
	s_waitcnt lgkmcnt(0)
	s_waitcnt_vscnt null, 0x0
	buffer_gl1_inv
	buffer_gl0_inv
	v_cmpx_eq_u32_e32 0, v2
	s_cbranch_execz .LBB2_3244
; %bb.3243:                             ;   in Loop: Header=BB2_3186 Depth=2
	s_bcnt1_i32_b32 s17, s17
	s_delay_alu instid0(SALU_CYCLE_1)
	v_mov_b32_e32 v2, s17
	ds_add_u64 v0, v[2:3]
	s_cbranch_execz .LBB2_3244
; %bb.8175:
	s_getpc_b64 s[48:49]
.Lpost_getpc120:
	s_add_u32 s48, s48, (.LBB2_7651-.Lpost_getpc120)&4294967295
	s_addc_u32 s49, s49, (.LBB2_7651-.Lpost_getpc120)>>32
	s_setpc_b64 s[48:49]
.LBB2_3244:                             ;   in Loop: Header=BB2_3186 Depth=2
	s_or_b32 exec_lo, exec_lo, s16
	s_cbranch_execz .LBB2_3245
; %bb.8177:
	s_getpc_b64 s[48:49]
.Lpost_getpc121:
	s_add_u32 s48, s48, (.LBB2_7619-.Lpost_getpc121)&4294967295
	s_addc_u32 s49, s49, (.LBB2_7619-.Lpost_getpc121)>>32
	s_setpc_b64 s[48:49]
.LBB2_3245:                             ;   in Loop: Header=BB2_3186 Depth=2
	ds_load_b64 v[9:10], v0
	v_add_co_u32 v12, vcc_lo, v12, v71
	v_add_co_ci_u32_e32 v13, vcc_lo, 0, v13, vcc_lo
	s_mov_b32 s16, exec_lo
	s_waitcnt lgkmcnt(0)
	s_delay_alu instid0(VALU_DEP_1)
	v_cmpx_lt_u64_e64 v[9:10], v[12:13]
	s_cbranch_execz .LBB2_3256
; %bb.3246:                             ;   in Loop: Header=BB2_3186 Depth=2
	s_mov_b32 s17, 0
	s_mov_b32 s34, 0
                                        ; implicit-def: $sgpr30
                                        ; implicit-def: $sgpr31
	s_branch .LBB2_3248
.LBB2_3247:                             ;   in Loop: Header=BB2_3248 Depth=3
	s_or_b32 exec_lo, exec_lo, s36
	s_delay_alu instid0(SALU_CYCLE_1) | instskip(NEXT) | instid1(SALU_CYCLE_1)
	s_and_b32 vcc_lo, exec_lo, vcc_lo
	s_or_b32 s17, vcc_lo, s17
	s_and_not1_b32 vcc_lo, s30, exec_lo
	s_and_b32 s30, s31, exec_lo
	s_delay_alu instid0(SALU_CYCLE_1)
	s_or_b32 s30, vcc_lo, s30
	s_and_not1_b32 exec_lo, exec_lo, s17
	s_cbranch_execz .LBB2_3254
.LBB2_3248:                             ;   Parent Loop BB2_51 Depth=1
                                        ;     Parent Loop BB2_3186 Depth=2
                                        ; =>    This Inner Loop Header: Depth=3
	s_add_i32 s34, s34, 1
                                        ; implicit-def: $sgpr36
	s_delay_alu instid0(SALU_CYCLE_1) | instskip(SKIP_1) | instid1(SALU_CYCLE_1)
	s_cmpk_lg_i32 s34, 0x2710
	s_cselect_b32 s35, -1, 0
	s_and_b32 vcc_lo, exec_lo, s35
	s_cbranch_vccz .LBB2_3252
.LBB2_3249:                             ;   in Loop: Header=BB2_3248 Depth=3
	s_and_not1_b32 s31, s31, exec_lo
	s_and_b32 s36, s36, exec_lo
	s_mov_b32 vcc_lo, -1
	s_or_b32 s31, s31, s36
	s_and_saveexec_b32 s36, s35
	s_cbranch_execz .LBB2_3247
; %bb.3250:                             ;   in Loop: Header=BB2_3248 Depth=3
	s_sleep 1
	s_cbranch_execz .LBB2_3251
; %bb.8179:
	s_getpc_b64 s[48:49]
.Lpost_getpc122:
	s_add_u32 s48, s48, (.LBB2_7709-.Lpost_getpc122)&4294967295
	s_addc_u32 s49, s49, (.LBB2_7709-.Lpost_getpc122)>>32
	s_setpc_b64 s[48:49]
.LBB2_3251:                             ;   in Loop: Header=BB2_3248 Depth=3
	ds_load_b64 v[9:10], v0
	s_and_not1_b32 s31, s31, exec_lo
	s_waitcnt lgkmcnt(0)
	v_cmp_ge_u64_e32 vcc_lo, v[9:10], v[12:13]
	s_or_not1_b32 vcc_lo, vcc_lo, exec_lo
	s_branch .LBB2_3247
.LBB2_3252:                             ;   in Loop: Header=BB2_3248 Depth=3
	s_cbranch_execz .LBB2_3253
; %bb.8181:
	s_getpc_b64 s[48:49]
.Lpost_getpc123:
	s_add_u32 s48, s48, (.LBB2_7725-.Lpost_getpc123)&4294967295
	s_addc_u32 s49, s49, (.LBB2_7725-.Lpost_getpc123)>>32
	s_setpc_b64 s[48:49]
.LBB2_3253:                             ;   in Loop: Header=BB2_3248 Depth=3
	ds_load_b64 v[9:10], v0
	s_and_not1_b32 s35, s35, exec_lo
	s_mov_b32 s34, 0
	s_mov_b32 s36, -1
	s_waitcnt lgkmcnt(0)
	flat_load_b32 v2, v[9:10] glc
	s_waitcnt vmcnt(0) lgkmcnt(0)
	buffer_gl1_inv
	buffer_gl0_inv
	v_cmp_eq_u32_e32 vcc_lo, 0, v2
	s_and_b32 vcc_lo, vcc_lo, exec_lo
	s_delay_alu instid0(SALU_CYCLE_1)
	s_or_b32 s35, s35, vcc_lo
	s_branch .LBB2_3249
.LBB2_3254:                             ;   in Loop: Header=BB2_3186 Depth=2
	s_or_b32 exec_lo, exec_lo, s17
	s_and_saveexec_b32 s17, s30
	s_delay_alu instid0(SALU_CYCLE_1)
	s_xor_b32 s17, exec_lo, s17
	s_cbranch_execz .LBB2_3256
; %bb.3255:                             ;   in Loop: Header=BB2_3186 Depth=2
	ds_store_b32 v0, v115
	s_cbranch_execz .LBB2_3256
; %bb.8183:
	s_getpc_b64 s[48:49]
.Lpost_getpc124:
	s_add_u32 s48, s48, (.LBB2_7899-.Lpost_getpc124)&4294967295
	s_addc_u32 s49, s49, (.LBB2_7899-.Lpost_getpc124)>>32
	s_setpc_b64 s[48:49]
.LBB2_3256:                             ;   in Loop: Header=BB2_3186 Depth=2
	s_or_b32 exec_lo, exec_lo, s16
	;;#ASMSTART
	s_wakeup
	;;#ASMEND
.LBB2_3257:                             ;   in Loop: Header=BB2_3186 Depth=2
	s_or_b32 exec_lo, exec_lo, s15
.LBB2_3258:                             ;   in Loop: Header=BB2_3186 Depth=2
	s_and_not1_saveexec_b32 s14, s14
	s_cbranch_execz .LBB2_3260
; %bb.3259:                             ;   in Loop: Header=BB2_3186 Depth=2
	s_waitcnt lgkmcnt(0)
	s_waitcnt_vscnt null, 0x0
	buffer_gl1_inv
	buffer_gl0_inv
	s_barrier
.LBB2_3260:                             ;   in Loop: Header=BB2_3186 Depth=2
	s_or_b32 exec_lo, exec_lo, s14
.LBB2_3261:                             ;   in Loop: Header=BB2_3186 Depth=2
	s_delay_alu instid0(SALU_CYCLE_1)
	s_or_b32 exec_lo, exec_lo, s13
	s_cbranch_execz .LBB2_3262
; %bb.8185:
	s_getpc_b64 s[48:49]
.Lpost_getpc125:
	s_add_u32 s48, s48, (.LBB2_7511-.Lpost_getpc125)&4294967295
	s_addc_u32 s49, s49, (.LBB2_7511-.Lpost_getpc125)>>32
	s_setpc_b64 s[48:49]
.LBB2_3262:                             ;   in Loop: Header=BB2_3186 Depth=2
	ds_load_b64 v[9:10], v0
	v_mov_b32_e32 v129, 0
	s_waitcnt lgkmcnt(0)
	v_cmp_eq_u64_e32 vcc_lo, 0, v[9:10]
	s_or_b32 s13, vcc_lo, vcc_lo
	s_delay_alu instid0(SALU_CYCLE_1)
	s_and_b32 vcc_lo, exec_lo, s13
	s_cbranch_vccz .LBB2_3263
; %bb.8187:                             ;   in Loop: Header=BB2_3186 Depth=2
	s_getpc_b64 s[48:49]
.Lpost_getpc126:
	s_add_u32 s48, s48, (.LBB2_6695-.Lpost_getpc126)&4294967295
	s_addc_u32 s49, s49, (.LBB2_6695-.Lpost_getpc126)>>32
	s_setpc_b64 s[48:49]
.LBB2_3263:                             ;   in Loop: Header=BB2_3186 Depth=2
	v_cmp_eq_u32_e32 vcc_lo, 0, v8
	s_cbranch_execz .LBB2_3264
; %bb.8189:
	s_getpc_b64 s[48:49]
.Lpost_getpc127:
	s_add_u32 s48, s48, (.LBB2_7571-.Lpost_getpc127)&4294967295
	s_addc_u32 s49, s49, (.LBB2_7571-.Lpost_getpc127)>>32
	s_setpc_b64 s[48:49]
.LBB2_3264:                             ;   in Loop: Header=BB2_3186 Depth=2
	ds_load_b64 v[8:9], v0
	v_cndmask_b32_e32 v129, 0, v50, vcc_lo
	s_waitcnt lgkmcnt(0)
	v_cmp_ne_u64_e64 s13, 0, v[8:9]
	s_delay_alu instid0(VALU_DEP_1)
	s_and_b32 vcc_lo, exec_lo, s13
	s_cbranch_vccz .LBB2_3925
; %bb.3265:                             ;   in Loop: Header=BB2_3186 Depth=2
	s_mov_b32 s13, -1
	s_and_saveexec_b32 s14, s12
	s_cbranch_execz .LBB2_3267
; %bb.3266:                             ;   in Loop: Header=BB2_3186 Depth=2
	ds_load_b32 v2, v0 offset:720
	s_waitcnt lgkmcnt(0)
	v_and_b32_e32 v2, 15, v2
	s_delay_alu instid0(VALU_DEP_1)
	v_cmp_eq_u32_e32 vcc_lo, 0, v2
	s_or_not1_b32 s13, vcc_lo, exec_lo
.LBB2_3267:                             ;   in Loop: Header=BB2_3186 Depth=2
	s_or_b32 exec_lo, exec_lo, s14
	s_and_saveexec_b32 s14, s12
	s_cbranch_execz .LBB2_3269
; %bb.3268:                             ;   in Loop: Header=BB2_3186 Depth=2
	ds_load_b32 v2, v0 offset:784
	s_waitcnt lgkmcnt(0)
	v_and_b32_e32 v2, 15, v2
	s_delay_alu instid0(VALU_DEP_1) | instskip(SKIP_3) | instid1(SALU_CYCLE_1)
	v_cmp_eq_u32_e32 vcc_lo, 0, v2
	s_and_b32 s15, s13, vcc_lo
	s_and_not1_b32 s13, s13, exec_lo
	s_and_b32 s15, s15, exec_lo
	s_or_b32 s13, s13, s15
.LBB2_3269:                             ;   in Loop: Header=BB2_3186 Depth=2
	s_or_b32 exec_lo, exec_lo, s14
	s_xor_b32 s13, s13, -1
	v_dual_mov_b32 v66, 0 :: v_dual_mov_b32 v67, v129
	v_cndmask_b32_e64 v2, 0, 1, s13
	;;#ASMSTART
	;;#ASMEND
	s_delay_alu instid0(VALU_DEP_1)
	v_cmp_ne_u32_e32 vcc_lo, 0, v2
	v_mov_b32_e32 v135, v0
	v_mov_b32_e32 v8, v80
	s_mov_b32 s14, -1
	s_cbranch_vccnz .LBB2_4588
; %bb.3270:                             ;   in Loop: Header=BB2_3186 Depth=2
	v_ashrrev_i32_e32 v2, 31, v129
	v_sub_nc_u32_e32 v130, v129, v112
	s_mov_b32 s16, exec_lo
	s_delay_alu instid0(VALU_DEP_2) | instskip(NEXT) | instid1(VALU_DEP_1)
	v_lshrrev_b32_e32 v2, 23, v2
	v_add_nc_u32_e32 v8, v129, v2
	s_delay_alu instid0(VALU_DEP_1) | instskip(SKIP_1) | instid1(VALU_DEP_2)
	v_and_b32_e32 v2, 0xfffffe00, v8
	v_ashrrev_i32_e32 v8, 9, v8
	v_sub_nc_u32_e32 v131, v129, v2
	s_delay_alu instid0(VALU_DEP_1) | instskip(NEXT) | instid1(VALU_DEP_1)
	v_cmp_lt_i32_e64 s13, 15, v131
	v_add_co_ci_u32_e64 v132, vcc_lo, v8, v113, s13
	v_cmpx_lt_i32_e32 15, v130
	s_cbranch_execz .LBB2_3927
; %bb.3271:                             ;   in Loop: Header=BB2_3186 Depth=2
	s_cbranch_execz .LBB2_3272
; %bb.8191:
	s_getpc_b64 s[48:49]
.Lpost_getpc128:
	s_add_u32 s48, s48, (.LBB2_7751-.Lpost_getpc128)&4294967295
	s_addc_u32 s49, s49, (.LBB2_7751-.Lpost_getpc128)>>32
	s_setpc_b64 s[48:49]
.LBB2_3272:                             ;   in Loop: Header=BB2_3186 Depth=2
	ds_load_b64 v[64:65], v0
	ds_load_b128 v[8:11], v0
	s_waitcnt lgkmcnt(1)
	v_readfirstlane_b32 s14, v64
	s_waitcnt lgkmcnt(0)
	v_add_co_u32 v51, vcc_lo, v8, v112
	v_add_co_ci_u32_e32 v52, vcc_lo, v9, v114, vcc_lo
	s_delay_alu instid0(VALU_DEP_3)
	s_and_b32 s15, s14, 3
	v_add_co_u32 v53, vcc_lo, v10, v112
	s_clz_i32_u32 s17, s15
	v_add_co_ci_u32_e32 v54, vcc_lo, v11, v114, vcc_lo
	s_min_u32 s17, s17, 32
	s_bfe_u32 s30, s14, 0x50002
	s_sub_i32 vcc_lo, s17, 29
	s_sub_i32 s17, 30, s17
	s_lshl_b32 vcc_lo, s14, vcc_lo
	v_and_b32_e32 v133, 0xff, v64
	s_and_b32 vcc_lo, vcc_lo, 3
	s_cmp_eq_u32 s30, 0
	v_mov_b32_e32 v65, v52
	s_cselect_b32 s17, s17, s30
	s_cselect_b32 s15, vcc_lo, s15
	s_lshl_b32 s14, s14, 24
	s_lshl_b32 s17, s17, 23
	s_and_b32 s14, s14, 0x80000000
	s_add_i32 s17, s17, 0x37800000
	v_dual_mov_b32 v67, v54 :: v_dual_mov_b32 v66, v53
	v_mov_b32_e32 v64, v51
	s_lshl_b32 s15, s15, 21
	s_or_b32 s14, s14, s17
	s_mov_b32 s17, 0
	s_or_b32 s30, s14, s15
.LBB2_3273:                             ;   Parent Loop BB2_51 Depth=1
                                        ;     Parent Loop BB2_3186 Depth=2
                                        ; =>    This Loop Header: Depth=3
                                        ;         Child Loop BB2_3731 Depth 4
	v_cmp_gt_i16_e64 vcc_lo, 0x80, v133
	s_delay_alu instid0(VALU_DEP_1)
	s_and_b32 vcc_lo, exec_lo, vcc_lo
	s_cbranch_vccnz .LBB2_3277
; %bb.3274:                             ;   in Loop: Header=BB2_3273 Depth=3
	v_cmp_eq_u16_e64 vcc_lo, 0x80, v133
	s_mov_b32 s14, -1
                                        ; implicit-def: $sgpr15
	s_delay_alu instid0(VALU_DEP_1)
	s_and_b32 vcc_lo, exec_lo, vcc_lo
	s_cbranch_vccz .LBB2_3276
; %bb.3275:                             ;   in Loop: Header=BB2_3273 Depth=3
	s_mov_b32 s14, 0
	s_mov_b32 s15, 0x7f800001
.LBB2_3276:                             ;   in Loop: Header=BB2_3273 Depth=3
	s_mov_b32 vcc_lo, 0
	s_branch .LBB2_3278
.LBB2_3277:                             ;   in Loop: Header=BB2_3273 Depth=3
	s_mov_b32 vcc_lo, -1
	s_mov_b32 s14, 0
                                        ; implicit-def: $sgpr15
.LBB2_3278:                             ;   in Loop: Header=BB2_3273 Depth=3
	s_and_b32 vcc_lo, exec_lo, vcc_lo
	s_cbranch_vccz .LBB2_3280
; %bb.3279:                             ;   in Loop: Header=BB2_3273 Depth=3
	v_cmp_ne_u16_e64 s14, 0, v133
	s_mov_b32 s15, 0
.LBB2_3280:                             ;   in Loop: Header=BB2_3273 Depth=3
	s_delay_alu instid0(VALU_DEP_1)
	s_and_not1_b32 vcc_lo, exec_lo, s14
	s_cbranch_vccnz .LBB2_3282
; %bb.3281:                             ;   in Loop: Header=BB2_3273 Depth=3
	s_mov_b32 s15, s30
.LBB2_3282:                             ;   in Loop: Header=BB2_3273 Depth=3
	global_load_b128 v[8:11], v[64:65], off slc dlc
	s_mov_b32 s14, 0
	s_mov_b32 s34, exec_lo
                                        ; implicit-def: $sgpr31
	s_waitcnt vmcnt(0)
	v_and_b32_e32 v135, 0xff, v8
	s_delay_alu instid0(VALU_DEP_1)
	v_cmpx_lt_i16_e64 0x7f, v135
	s_xor_b32 s34, exec_lo, s34
	s_cbranch_execnz .LBB2_3733
; %bb.3283:                             ;   in Loop: Header=BB2_3273 Depth=3
	s_or_saveexec_b32 s34, s34
	v_mov_b32_e32 v134, s31
	s_xor_b32 exec_lo, exec_lo, s34
	s_cbranch_execnz .LBB2_3736
.LBB2_3284:                             ;   in Loop: Header=BB2_3273 Depth=3
	s_or_b32 exec_lo, exec_lo, s34
	s_and_saveexec_b32 s31, s14
	s_cbranch_execz .LBB2_3286
.LBB2_3285:                             ;   in Loop: Header=BB2_3273 Depth=3
	v_bfe_u32 v145, v8, 2, 5
	v_lshlrev_b32_e32 v146, 24, v8
	s_delay_alu instid0(VALU_DEP_2) | instskip(SKIP_1) | instid1(VALU_DEP_1)
	v_cmp_eq_u32_e32 vcc_lo, 0, v145
	v_and_b32_e32 v134, 3, v8
	v_clz_i32_u32_e32 v135, v134
	s_delay_alu instid0(VALU_DEP_1) | instskip(NEXT) | instid1(VALU_DEP_1)
	v_min_u32_e32 v135, 32, v135
	v_subrev_nc_u32_e32 v144, 29, v135
	v_sub_nc_u32_e32 v135, 30, v135
	s_delay_alu instid0(VALU_DEP_1) | instskip(NEXT) | instid1(VALU_DEP_1)
	v_dual_cndmask_b32 v135, v145, v135 :: v_dual_lshlrev_b32 v144, v144, v8
	v_and_b32_e32 v144, 3, v144
	s_delay_alu instid0(VALU_DEP_2) | instskip(NEXT) | instid1(VALU_DEP_2)
	v_lshl_add_u32 v135, v135, 23, 0x37800000
	v_cndmask_b32_e32 v134, v134, v144, vcc_lo
	v_and_b32_e32 v144, 0x80000000, v146
	s_delay_alu instid0(VALU_DEP_2) | instskip(NEXT) | instid1(VALU_DEP_1)
	v_lshlrev_b32_e32 v134, 21, v134
	v_or3_b32 v134, v144, v135, v134
.LBB2_3286:                             ;   in Loop: Header=BB2_3273 Depth=3
	s_or_b32 exec_lo, exec_lo, s31
	s_delay_alu instid0(VALU_DEP_1) | instskip(NEXT) | instid1(VALU_DEP_1)
	v_mul_f32_e32 v135, s15, v134
	v_and_b32_e32 v134, 0x7f800000, v135
	s_delay_alu instid0(VALU_DEP_1)
	v_cmp_ne_u32_e32 vcc_lo, 0x7f800000, v134
	v_mov_b32_e32 v134, 0x80
	s_and_saveexec_b32 s31, vcc_lo
	s_cbranch_execz .LBB2_3294
; %bb.3287:                             ;   in Loop: Header=BB2_3273 Depth=3
	v_mov_b32_e32 v134, 0
	s_mov_b32 s34, exec_lo
	v_cmpx_ne_u32_e32 0, v135
	s_cbranch_execz .LBB2_3293
; %bb.3288:                             ;   in Loop: Header=BB2_3273 Depth=3
	v_bfe_u32 v134, v135, 23, 8
	s_delay_alu instid0(VALU_DEP_1) | instskip(SKIP_1) | instid1(VALU_DEP_2)
	v_sub_nc_u32_e32 v145, 0x70, v134
	v_cmp_gt_u32_e32 vcc_lo, 0x71, v134
	v_dual_cndmask_b32 v145, 0, v145 :: v_dual_and_b32 v144, 0x7fffff, v135
	s_delay_alu instid0(VALU_DEP_1) | instskip(SKIP_2) | instid1(VALU_DEP_4)
	v_or_b32_e32 v146, 0x800000, v144
	v_cmp_eq_u32_e32 vcc_lo, 0, v134
	v_add_nc_u32_e32 v134, 0xffffff91, v134
	v_cndmask_b32_e64 v145, v145, 0x6f, vcc_lo
	s_delay_alu instid0(VALU_DEP_2) | instskip(SKIP_1) | instid1(VALU_DEP_3)
	v_cndmask_b32_e64 v134, v134, 0xffffff92, vcc_lo
	v_cndmask_b32_e32 v144, v146, v144, vcc_lo
	v_lshl_add_u32 v146, 0x200000, v145, -1
	v_lshlrev_b32_e64 v149, v145, 0x100000
	s_delay_alu instid0(VALU_DEP_3) | instskip(SKIP_1) | instid1(VALU_DEP_4)
	v_lshrrev_b32_e32 v147, v145, v144
	v_add_nc_u32_e32 v145, v145, v134
	v_and_b32_e32 v144, v146, v144
	s_delay_alu instid0(VALU_DEP_3) | instskip(NEXT) | instid1(VALU_DEP_2)
	v_bfe_u32 v148, v147, 21, 1
	v_cmp_eq_u32_e64 s14, v144, v149
	s_delay_alu instid0(VALU_DEP_2) | instskip(NEXT) | instid1(VALU_DEP_1)
	v_add_nc_u32_e32 v146, -1, v148
	v_cndmask_b32_e64 v144, 0, v146, s14
	v_lshrrev_b32_e32 v146, 23, v147
	s_mov_b32 s14, exec_lo
	s_delay_alu instid0(VALU_DEP_2) | instskip(NEXT) | instid1(VALU_DEP_2)
	v_add_nc_u32_e32 v144, v144, v147
	v_xor_b32_e32 v146, 1, v146
	s_delay_alu instid0(VALU_DEP_2) | instskip(NEXT) | instid1(VALU_DEP_1)
	v_and_b32_e32 v134, 0x1fffff, v144
	v_add_nc_u32_e32 v144, v134, v147
                                        ; implicit-def: $vgpr134
	s_delay_alu instid0(VALU_DEP_3)
	v_cmpx_ne_u32_e64 v145, v146
	s_xor_b32 s14, exec_lo, s14
; %bb.3289:                             ;   in Loop: Header=BB2_3273 Depth=3
	s_delay_alu instid0(VALU_DEP_2) | instskip(SKIP_2) | instid1(VALU_DEP_2)
	v_cmp_lt_u32_e32 vcc_lo, 0xffffff, v144
	v_sub_nc_u32_e32 v134, v145, v146
	v_cndmask_b32_e64 v145, 0, 1, vcc_lo
	v_add_co_ci_u32_e32 v134, vcc_lo, 0, v134, vcc_lo
	s_delay_alu instid0(VALU_DEP_2)
	v_lshrrev_b32_e32 v144, v145, v144
; %bb.3290:                             ;   in Loop: Header=BB2_3273 Depth=3
	s_and_not1_saveexec_b32 s14, s14
; %bb.3291:                             ;   in Loop: Header=BB2_3273 Depth=3
	s_delay_alu instid0(VALU_DEP_1)
	v_bfe_u32 v134, v144, 23, 1
; %bb.3292:                             ;   in Loop: Header=BB2_3273 Depth=3
	s_or_b32 exec_lo, exec_lo, s14
	v_lshrrev_b32_e32 v144, 21, v144
	s_delay_alu instid0(VALU_DEP_2) | instskip(SKIP_2) | instid1(VALU_DEP_2)
	v_cmp_gt_i32_e32 vcc_lo, 32, v134
	v_lshrrev_b32_e32 v135, 24, v135
	v_min_i32_e32 v145, 31, v134
	v_dual_cndmask_b32 v144, 3, v144 :: v_dual_and_b32 v135, 0x80, v135
	s_delay_alu instid0(VALU_DEP_1) | instskip(SKIP_1) | instid1(VALU_DEP_2)
	v_or_b32_e32 v134, v134, v144
	v_and_b32_e32 v146, 3, v144
	v_cmp_ne_u32_e32 vcc_lo, 0, v134
	v_lshlrev_b32_e32 v145, 2, v145
	s_delay_alu instid0(VALU_DEP_1) | instskip(NEXT) | instid1(VALU_DEP_1)
	v_or3_b32 v135, v145, v135, v146
	v_cndmask_b32_e32 v134, 0, v135, vcc_lo
.LBB2_3293:                             ;   in Loop: Header=BB2_3273 Depth=3
	s_or_b32 exec_lo, exec_lo, s34
.LBB2_3294:                             ;   in Loop: Header=BB2_3273 Depth=3
	s_delay_alu instid0(SALU_CYCLE_1) | instskip(SKIP_3) | instid1(VALU_DEP_1)
	s_or_b32 exec_lo, exec_lo, s31
	v_lshrrev_b16 v135, 8, v8
	s_mov_b32 s14, 0
	s_mov_b32 s34, exec_lo
                                        ; implicit-def: $sgpr31
	v_cmpx_lt_i16_e64 0x7f, v135
	s_xor_b32 s34, exec_lo, s34
	s_cbranch_execnz .LBB2_3737
; %bb.3295:                             ;   in Loop: Header=BB2_3273 Depth=3
	s_or_saveexec_b32 s34, s34
	v_mov_b32_e32 v144, s31
	s_xor_b32 exec_lo, exec_lo, s34
	s_cbranch_execnz .LBB2_3740
.LBB2_3296:                             ;   in Loop: Header=BB2_3273 Depth=3
	s_or_b32 exec_lo, exec_lo, s34
	s_and_saveexec_b32 s31, s14
	s_cbranch_execz .LBB2_3298
.LBB2_3297:                             ;   in Loop: Header=BB2_3273 Depth=3
	v_and_b32_e32 v144, 0xffff, v135
	v_lshlrev_b32_e32 v135, 24, v135
	s_delay_alu instid0(VALU_DEP_2) | instskip(NEXT) | instid1(VALU_DEP_2)
	v_and_b32_e32 v145, 3, v144
	v_and_b32_e32 v135, 0x80000000, v135
	s_delay_alu instid0(VALU_DEP_2) | instskip(NEXT) | instid1(VALU_DEP_1)
	v_clz_i32_u32_e32 v146, v145
	v_min_u32_e32 v146, 32, v146
	s_delay_alu instid0(VALU_DEP_1) | instskip(SKIP_1) | instid1(VALU_DEP_2)
	v_subrev_nc_u32_e32 v147, 29, v146
	v_sub_nc_u32_e32 v146, 30, v146
	v_lshlrev_b32_e32 v147, v147, v144
	v_bfe_u32 v144, v144, 2, 5
	s_delay_alu instid0(VALU_DEP_2) | instskip(NEXT) | instid1(VALU_DEP_2)
	v_and_b32_e32 v147, 3, v147
	v_cmp_eq_u32_e32 vcc_lo, 0, v144
	s_delay_alu instid0(VALU_DEP_2) | instskip(NEXT) | instid1(VALU_DEP_1)
	v_dual_cndmask_b32 v144, v144, v146 :: v_dual_cndmask_b32 v145, v145, v147
	v_lshl_add_u32 v144, v144, 23, 0x37800000
	s_delay_alu instid0(VALU_DEP_2) | instskip(NEXT) | instid1(VALU_DEP_1)
	v_lshlrev_b32_e32 v145, 21, v145
	v_or3_b32 v144, v135, v144, v145
.LBB2_3298:                             ;   in Loop: Header=BB2_3273 Depth=3
	s_or_b32 exec_lo, exec_lo, s31
	s_delay_alu instid0(VALU_DEP_1) | instskip(SKIP_1) | instid1(VALU_DEP_1)
	v_dual_mul_f32 v135, s15, v144 :: v_dual_mov_b32 v146, 0x80
	s_mov_b32 s31, exec_lo
	v_and_b32_e32 v144, 0x7f800000, v135
	s_delay_alu instid0(VALU_DEP_1)
	v_cmpx_ne_u32_e32 0x7f800000, v144
	s_cbranch_execz .LBB2_3306
; %bb.3299:                             ;   in Loop: Header=BB2_3273 Depth=3
	v_mov_b32_e32 v146, 0
	s_mov_b32 s34, exec_lo
	v_cmpx_ne_u32_e32 0, v135
	s_cbranch_execz .LBB2_3305
; %bb.3300:                             ;   in Loop: Header=BB2_3273 Depth=3
	v_bfe_u32 v144, v135, 23, 8
	s_delay_alu instid0(VALU_DEP_1) | instskip(SKIP_1) | instid1(VALU_DEP_2)
	v_sub_nc_u32_e32 v146, 0x70, v144
	v_cmp_gt_u32_e32 vcc_lo, 0x71, v144
	v_dual_cndmask_b32 v146, 0, v146 :: v_dual_and_b32 v145, 0x7fffff, v135
	s_delay_alu instid0(VALU_DEP_1) | instskip(SKIP_2) | instid1(VALU_DEP_4)
	v_or_b32_e32 v147, 0x800000, v145
	v_cmp_eq_u32_e32 vcc_lo, 0, v144
	v_add_nc_u32_e32 v144, 0xffffff91, v144
	v_cndmask_b32_e64 v146, v146, 0x6f, vcc_lo
	s_delay_alu instid0(VALU_DEP_4) | instskip(NEXT) | instid1(VALU_DEP_3)
	v_cndmask_b32_e32 v145, v147, v145, vcc_lo
	v_cndmask_b32_e64 v144, v144, 0xffffff92, vcc_lo
	s_delay_alu instid0(VALU_DEP_3) | instskip(NEXT) | instid1(VALU_DEP_3)
	v_lshl_add_u32 v147, 0x200000, v146, -1
	v_lshrrev_b32_e32 v148, v146, v145
	v_lshlrev_b32_e64 v150, v146, 0x100000
	s_delay_alu instid0(VALU_DEP_4) | instskip(NEXT) | instid1(VALU_DEP_4)
	v_add_nc_u32_e32 v146, v146, v144
	v_and_b32_e32 v145, v147, v145
	s_delay_alu instid0(VALU_DEP_4) | instskip(NEXT) | instid1(VALU_DEP_2)
	v_bfe_u32 v149, v148, 21, 1
	v_cmp_eq_u32_e64 s14, v145, v150
	s_delay_alu instid0(VALU_DEP_2) | instskip(NEXT) | instid1(VALU_DEP_1)
	v_add_nc_u32_e32 v147, -1, v149
	v_cndmask_b32_e64 v145, 0, v147, s14
	v_lshrrev_b32_e32 v147, 23, v148
	s_mov_b32 s14, exec_lo
	s_delay_alu instid0(VALU_DEP_2) | instskip(NEXT) | instid1(VALU_DEP_2)
	v_add_nc_u32_e32 v145, v145, v148
	v_xor_b32_e32 v147, 1, v147
	s_delay_alu instid0(VALU_DEP_2) | instskip(NEXT) | instid1(VALU_DEP_1)
	v_and_b32_e32 v144, 0x1fffff, v145
	v_add_nc_u32_e32 v145, v144, v148
                                        ; implicit-def: $vgpr144
	s_delay_alu instid0(VALU_DEP_3)
	v_cmpx_ne_u32_e64 v146, v147
	s_xor_b32 s14, exec_lo, s14
; %bb.3301:                             ;   in Loop: Header=BB2_3273 Depth=3
	s_delay_alu instid0(VALU_DEP_2) | instskip(SKIP_2) | instid1(VALU_DEP_2)
	v_cmp_lt_u32_e32 vcc_lo, 0xffffff, v145
	v_sub_nc_u32_e32 v144, v146, v147
	v_cndmask_b32_e64 v146, 0, 1, vcc_lo
	v_add_co_ci_u32_e32 v144, vcc_lo, 0, v144, vcc_lo
	s_delay_alu instid0(VALU_DEP_2)
	v_lshrrev_b32_e32 v145, v146, v145
; %bb.3302:                             ;   in Loop: Header=BB2_3273 Depth=3
	s_and_not1_saveexec_b32 s14, s14
; %bb.3303:                             ;   in Loop: Header=BB2_3273 Depth=3
	s_delay_alu instid0(VALU_DEP_1)
	v_bfe_u32 v144, v145, 23, 1
; %bb.3304:                             ;   in Loop: Header=BB2_3273 Depth=3
	s_or_b32 exec_lo, exec_lo, s14
	v_lshrrev_b32_e32 v145, 21, v145
	s_delay_alu instid0(VALU_DEP_2) | instskip(SKIP_2) | instid1(VALU_DEP_2)
	v_cmp_gt_i32_e32 vcc_lo, 32, v144
	v_min_i32_e32 v146, 31, v144
	v_lshrrev_b32_e32 v135, 24, v135
	v_dual_cndmask_b32 v145, 3, v145 :: v_dual_lshlrev_b32 v146, 2, v146
	s_delay_alu instid0(VALU_DEP_2) | instskip(NEXT) | instid1(VALU_DEP_2)
	v_and_b32_e32 v135, 0x80, v135
	v_or_b32_e32 v144, v144, v145
	s_delay_alu instid0(VALU_DEP_1) | instskip(SKIP_1) | instid1(VALU_DEP_1)
	v_cmp_ne_u32_e32 vcc_lo, 0, v144
	v_and_b32_e32 v147, 3, v145
	v_or3_b32 v135, v146, v135, v147
	s_delay_alu instid0(VALU_DEP_1)
	v_cndmask_b32_e32 v146, 0, v135, vcc_lo
.LBB2_3305:                             ;   in Loop: Header=BB2_3273 Depth=3
	s_or_b32 exec_lo, exec_lo, s34
.LBB2_3306:                             ;   in Loop: Header=BB2_3273 Depth=3
	s_delay_alu instid0(SALU_CYCLE_1) | instskip(SKIP_3) | instid1(VALU_DEP_1)
	s_or_b32 exec_lo, exec_lo, s31
	v_lshrrev_b32_e32 v135, 16, v8
	s_mov_b32 s14, 0
	s_mov_b32 s34, exec_lo
                                        ; implicit-def: $sgpr31
	v_and_b32_e32 v145, 0xff, v135
	s_delay_alu instid0(VALU_DEP_1)
	v_cmpx_lt_i16_e64 0x7f, v145
	s_xor_b32 s34, exec_lo, s34
	s_cbranch_execnz .LBB2_3741
; %bb.3307:                             ;   in Loop: Header=BB2_3273 Depth=3
	s_or_saveexec_b32 s34, s34
	v_mov_b32_e32 v144, s31
	s_xor_b32 exec_lo, exec_lo, s34
	s_cbranch_execnz .LBB2_3744
.LBB2_3308:                             ;   in Loop: Header=BB2_3273 Depth=3
	s_or_b32 exec_lo, exec_lo, s34
	s_and_saveexec_b32 s31, s14
	s_cbranch_execz .LBB2_3310
.LBB2_3309:                             ;   in Loop: Header=BB2_3273 Depth=3
	v_bfe_u32 v144, v8, 16, 2
	s_delay_alu instid0(VALU_DEP_1) | instskip(NEXT) | instid1(VALU_DEP_1)
	v_clz_i32_u32_e32 v145, v144
	v_min_u32_e32 v145, 32, v145
	s_delay_alu instid0(VALU_DEP_1) | instskip(SKIP_1) | instid1(VALU_DEP_2)
	v_subrev_nc_u32_e32 v147, 29, v145
	v_sub_nc_u32_e32 v145, 30, v145
	v_lshlrev_b32_e32 v135, v147, v135
	v_bfe_u32 v147, v8, 18, 5
	s_delay_alu instid0(VALU_DEP_2) | instskip(NEXT) | instid1(VALU_DEP_2)
	v_and_b32_e32 v135, 3, v135
	v_cmp_eq_u32_e32 vcc_lo, 0, v147
	v_dual_cndmask_b32 v145, v147, v145 :: v_dual_lshlrev_b32 v148, 8, v8
	s_delay_alu instid0(VALU_DEP_1) | instskip(NEXT) | instid1(VALU_DEP_2)
	v_dual_cndmask_b32 v135, v144, v135 :: v_dual_and_b32 v144, 0x80000000, v148
	v_lshl_add_u32 v145, v145, 23, 0x37800000
	s_delay_alu instid0(VALU_DEP_2) | instskip(NEXT) | instid1(VALU_DEP_1)
	v_lshlrev_b32_e32 v135, 21, v135
	v_or3_b32 v144, v144, v145, v135
.LBB2_3310:                             ;   in Loop: Header=BB2_3273 Depth=3
	s_or_b32 exec_lo, exec_lo, s31
	s_delay_alu instid0(VALU_DEP_1) | instskip(SKIP_1) | instid1(VALU_DEP_1)
	v_dual_mul_f32 v135, s15, v144 :: v_dual_mov_b32 v160, 0x80
	s_mov_b32 s31, exec_lo
	v_and_b32_e32 v144, 0x7f800000, v135
	s_delay_alu instid0(VALU_DEP_1)
	v_cmpx_ne_u32_e32 0x7f800000, v144
	s_cbranch_execz .LBB2_3318
; %bb.3311:                             ;   in Loop: Header=BB2_3273 Depth=3
	v_mov_b32_e32 v160, 0
	s_mov_b32 s34, exec_lo
	v_cmpx_ne_u32_e32 0, v135
	s_cbranch_execz .LBB2_3317
; %bb.3312:                             ;   in Loop: Header=BB2_3273 Depth=3
	v_bfe_u32 v144, v135, 23, 8
	v_and_b32_e32 v145, 0x7fffff, v135
	s_delay_alu instid0(VALU_DEP_2) | instskip(SKIP_1) | instid1(VALU_DEP_3)
	v_sub_nc_u32_e32 v147, 0x70, v144
	v_cmp_gt_u32_e32 vcc_lo, 0x71, v144
	v_or_b32_e32 v148, 0x800000, v145
	s_delay_alu instid0(VALU_DEP_3) | instskip(SKIP_2) | instid1(VALU_DEP_3)
	v_cndmask_b32_e32 v147, 0, v147, vcc_lo
	v_cmp_eq_u32_e32 vcc_lo, 0, v144
	v_add_nc_u32_e32 v144, 0xffffff91, v144
	v_cndmask_b32_e64 v147, v147, 0x6f, vcc_lo
	v_cndmask_b32_e32 v145, v148, v145, vcc_lo
	s_delay_alu instid0(VALU_DEP_3) | instskip(NEXT) | instid1(VALU_DEP_3)
	v_cndmask_b32_e64 v144, v144, 0xffffff92, vcc_lo
	v_lshl_add_u32 v148, 0x200000, v147, -1
	s_delay_alu instid0(VALU_DEP_3) | instskip(SKIP_1) | instid1(VALU_DEP_4)
	v_lshrrev_b32_e32 v149, v147, v145
	v_lshlrev_b32_e64 v151, v147, 0x100000
	v_add_nc_u32_e32 v147, v147, v144
	s_delay_alu instid0(VALU_DEP_4) | instskip(NEXT) | instid1(VALU_DEP_4)
	v_and_b32_e32 v145, v148, v145
	v_bfe_u32 v150, v149, 21, 1
	s_delay_alu instid0(VALU_DEP_2) | instskip(NEXT) | instid1(VALU_DEP_2)
	v_cmp_eq_u32_e64 s14, v145, v151
	v_add_nc_u32_e32 v148, -1, v150
	s_delay_alu instid0(VALU_DEP_1) | instskip(SKIP_2) | instid1(VALU_DEP_2)
	v_cndmask_b32_e64 v145, 0, v148, s14
	v_lshrrev_b32_e32 v148, 23, v149
	s_mov_b32 s14, exec_lo
	v_add_nc_u32_e32 v145, v145, v149
	s_delay_alu instid0(VALU_DEP_2) | instskip(NEXT) | instid1(VALU_DEP_2)
	v_xor_b32_e32 v148, 1, v148
	v_and_b32_e32 v144, 0x1fffff, v145
	s_delay_alu instid0(VALU_DEP_1) | instskip(NEXT) | instid1(VALU_DEP_3)
	v_add_nc_u32_e32 v145, v144, v149
                                        ; implicit-def: $vgpr144
	v_cmpx_ne_u32_e64 v147, v148
	s_xor_b32 s14, exec_lo, s14
; %bb.3313:                             ;   in Loop: Header=BB2_3273 Depth=3
	s_delay_alu instid0(VALU_DEP_2) | instskip(SKIP_2) | instid1(VALU_DEP_2)
	v_cmp_lt_u32_e32 vcc_lo, 0xffffff, v145
	v_sub_nc_u32_e32 v144, v147, v148
	v_cndmask_b32_e64 v147, 0, 1, vcc_lo
	v_add_co_ci_u32_e32 v144, vcc_lo, 0, v144, vcc_lo
	s_delay_alu instid0(VALU_DEP_2)
	v_lshrrev_b32_e32 v145, v147, v145
; %bb.3314:                             ;   in Loop: Header=BB2_3273 Depth=3
	s_and_not1_saveexec_b32 s14, s14
; %bb.3315:                             ;   in Loop: Header=BB2_3273 Depth=3
	s_delay_alu instid0(VALU_DEP_1)
	v_bfe_u32 v144, v145, 23, 1
; %bb.3316:                             ;   in Loop: Header=BB2_3273 Depth=3
	s_or_b32 exec_lo, exec_lo, s14
	v_lshrrev_b32_e32 v145, 21, v145
	s_delay_alu instid0(VALU_DEP_2) | instskip(SKIP_2) | instid1(VALU_DEP_4)
	v_cmp_gt_i32_e32 vcc_lo, 32, v144
	v_lshrrev_b32_e32 v135, 24, v135
	v_min_i32_e32 v147, 31, v144
	v_cndmask_b32_e32 v145, 3, v145, vcc_lo
	s_delay_alu instid0(VALU_DEP_3) | instskip(NEXT) | instid1(VALU_DEP_3)
	v_and_b32_e32 v135, 0x80, v135
	v_lshlrev_b32_e32 v147, 2, v147
	s_delay_alu instid0(VALU_DEP_3) | instskip(SKIP_1) | instid1(VALU_DEP_2)
	v_and_b32_e32 v148, 3, v145
	v_or_b32_e32 v144, v144, v145
	v_or3_b32 v135, v147, v135, v148
	s_delay_alu instid0(VALU_DEP_2) | instskip(NEXT) | instid1(VALU_DEP_2)
	v_cmp_ne_u32_e32 vcc_lo, 0, v144
	v_cndmask_b32_e32 v160, 0, v135, vcc_lo
.LBB2_3317:                             ;   in Loop: Header=BB2_3273 Depth=3
	s_or_b32 exec_lo, exec_lo, s34
.LBB2_3318:                             ;   in Loop: Header=BB2_3273 Depth=3
	s_delay_alu instid0(SALU_CYCLE_1) | instskip(SKIP_3) | instid1(VALU_DEP_1)
	s_or_b32 exec_lo, exec_lo, s31
	v_lshrrev_b32_e32 v135, 24, v8
	s_mov_b32 s14, 0
	s_mov_b32 s34, exec_lo
                                        ; implicit-def: $sgpr31
	v_cmpx_lt_i16_e64 0x7f, v135
	s_xor_b32 s34, exec_lo, s34
	s_cbranch_execnz .LBB2_3745
; %bb.3319:                             ;   in Loop: Header=BB2_3273 Depth=3
	s_or_saveexec_b32 s34, s34
	v_mov_b32_e32 v144, s31
	s_xor_b32 exec_lo, exec_lo, s34
	s_cbranch_execnz .LBB2_3748
.LBB2_3320:                             ;   in Loop: Header=BB2_3273 Depth=3
	s_or_b32 exec_lo, exec_lo, s34
	s_and_saveexec_b32 s31, s14
	s_cbranch_execz .LBB2_3322
.LBB2_3321:                             ;   in Loop: Header=BB2_3273 Depth=3
	v_bfe_u32 v144, v8, 24, 2
	s_delay_alu instid0(VALU_DEP_1) | instskip(NEXT) | instid1(VALU_DEP_1)
	v_clz_i32_u32_e32 v145, v144
	v_min_u32_e32 v145, 32, v145
	s_delay_alu instid0(VALU_DEP_1) | instskip(SKIP_1) | instid1(VALU_DEP_2)
	v_subrev_nc_u32_e32 v147, 29, v145
	v_sub_nc_u32_e32 v145, 30, v145
	v_lshlrev_b32_e32 v135, v147, v135
	v_bfe_u32 v147, v8, 26, 5
	v_and_b32_e32 v8, 0x80000000, v8
	s_delay_alu instid0(VALU_DEP_3) | instskip(NEXT) | instid1(VALU_DEP_3)
	v_and_b32_e32 v135, 3, v135
	v_cmp_eq_u32_e32 vcc_lo, 0, v147
	v_cndmask_b32_e32 v145, v147, v145, vcc_lo
	s_delay_alu instid0(VALU_DEP_3) | instskip(NEXT) | instid1(VALU_DEP_2)
	v_cndmask_b32_e32 v135, v144, v135, vcc_lo
	v_lshl_add_u32 v144, v145, 23, 0x37800000
	s_delay_alu instid0(VALU_DEP_2) | instskip(NEXT) | instid1(VALU_DEP_1)
	v_lshlrev_b32_e32 v135, 21, v135
	v_or3_b32 v144, v8, v144, v135
.LBB2_3322:                             ;   in Loop: Header=BB2_3273 Depth=3
	s_or_b32 exec_lo, exec_lo, s31
	s_delay_alu instid0(VALU_DEP_1) | instskip(SKIP_1) | instid1(VALU_DEP_1)
	v_dual_mul_f32 v8, s15, v144 :: v_dual_mov_b32 v163, 0x80
	s_mov_b32 s31, exec_lo
	v_and_b32_e32 v135, 0x7f800000, v8
	s_delay_alu instid0(VALU_DEP_1)
	v_cmpx_ne_u32_e32 0x7f800000, v135
	s_cbranch_execz .LBB2_3330
; %bb.3323:                             ;   in Loop: Header=BB2_3273 Depth=3
	v_mov_b32_e32 v163, 0
	s_mov_b32 s34, exec_lo
	v_cmpx_ne_u32_e32 0, v8
	s_cbranch_execz .LBB2_3329
; %bb.3324:                             ;   in Loop: Header=BB2_3273 Depth=3
	v_bfe_u32 v135, v8, 23, 8
	s_delay_alu instid0(VALU_DEP_1) | instskip(SKIP_1) | instid1(VALU_DEP_2)
	v_sub_nc_u32_e32 v145, 0x70, v135
	v_cmp_gt_u32_e32 vcc_lo, 0x71, v135
	v_dual_cndmask_b32 v145, 0, v145 :: v_dual_and_b32 v144, 0x7fffff, v8
	s_delay_alu instid0(VALU_DEP_1) | instskip(SKIP_2) | instid1(VALU_DEP_4)
	v_or_b32_e32 v147, 0x800000, v144
	v_cmp_eq_u32_e32 vcc_lo, 0, v135
	v_add_nc_u32_e32 v135, 0xffffff91, v135
	v_cndmask_b32_e64 v145, v145, 0x6f, vcc_lo
	s_delay_alu instid0(VALU_DEP_4) | instskip(NEXT) | instid1(VALU_DEP_3)
	v_cndmask_b32_e32 v144, v147, v144, vcc_lo
	v_cndmask_b32_e64 v135, v135, 0xffffff92, vcc_lo
	s_delay_alu instid0(VALU_DEP_3) | instskip(NEXT) | instid1(VALU_DEP_3)
	v_lshl_add_u32 v147, 0x200000, v145, -1
	v_lshrrev_b32_e32 v148, v145, v144
	v_lshlrev_b32_e64 v150, v145, 0x100000
	s_delay_alu instid0(VALU_DEP_4) | instskip(NEXT) | instid1(VALU_DEP_4)
	v_add_nc_u32_e32 v145, v145, v135
	v_and_b32_e32 v144, v147, v144
	s_delay_alu instid0(VALU_DEP_4) | instskip(NEXT) | instid1(VALU_DEP_2)
	v_bfe_u32 v149, v148, 21, 1
	v_cmp_eq_u32_e64 s14, v144, v150
	s_delay_alu instid0(VALU_DEP_2) | instskip(NEXT) | instid1(VALU_DEP_1)
	v_add_nc_u32_e32 v147, -1, v149
	v_cndmask_b32_e64 v144, 0, v147, s14
	v_lshrrev_b32_e32 v147, 23, v148
	s_mov_b32 s14, exec_lo
	s_delay_alu instid0(VALU_DEP_2) | instskip(NEXT) | instid1(VALU_DEP_2)
	v_add_nc_u32_e32 v144, v144, v148
	v_xor_b32_e32 v147, 1, v147
	s_delay_alu instid0(VALU_DEP_2) | instskip(NEXT) | instid1(VALU_DEP_1)
	v_and_b32_e32 v135, 0x1fffff, v144
	v_add_nc_u32_e32 v144, v135, v148
                                        ; implicit-def: $vgpr135
	s_delay_alu instid0(VALU_DEP_3)
	v_cmpx_ne_u32_e64 v145, v147
	s_xor_b32 s14, exec_lo, s14
; %bb.3325:                             ;   in Loop: Header=BB2_3273 Depth=3
	s_delay_alu instid0(VALU_DEP_2) | instskip(SKIP_2) | instid1(VALU_DEP_2)
	v_cmp_lt_u32_e32 vcc_lo, 0xffffff, v144
	v_sub_nc_u32_e32 v135, v145, v147
	v_cndmask_b32_e64 v145, 0, 1, vcc_lo
	v_add_co_ci_u32_e32 v135, vcc_lo, 0, v135, vcc_lo
	s_delay_alu instid0(VALU_DEP_2)
	v_lshrrev_b32_e32 v144, v145, v144
; %bb.3326:                             ;   in Loop: Header=BB2_3273 Depth=3
	s_and_not1_saveexec_b32 s14, s14
; %bb.3327:                             ;   in Loop: Header=BB2_3273 Depth=3
	s_delay_alu instid0(VALU_DEP_1)
	v_bfe_u32 v135, v144, 23, 1
; %bb.3328:                             ;   in Loop: Header=BB2_3273 Depth=3
	s_or_b32 exec_lo, exec_lo, s14
	v_lshrrev_b32_e32 v144, 21, v144
	s_delay_alu instid0(VALU_DEP_2) | instskip(SKIP_2) | instid1(VALU_DEP_4)
	v_cmp_gt_i32_e32 vcc_lo, 32, v135
	v_lshrrev_b32_e32 v8, 24, v8
	v_min_i32_e32 v145, 31, v135
	v_cndmask_b32_e32 v144, 3, v144, vcc_lo
	s_delay_alu instid0(VALU_DEP_3) | instskip(NEXT) | instid1(VALU_DEP_3)
	v_and_b32_e32 v8, 0x80, v8
	v_lshlrev_b32_e32 v145, 2, v145
	s_delay_alu instid0(VALU_DEP_3) | instskip(SKIP_1) | instid1(VALU_DEP_2)
	v_and_b32_e32 v147, 3, v144
	v_or_b32_e32 v135, v135, v144
	v_or3_b32 v8, v145, v8, v147
	s_delay_alu instid0(VALU_DEP_2) | instskip(NEXT) | instid1(VALU_DEP_2)
	v_cmp_ne_u32_e32 vcc_lo, 0, v135
	v_cndmask_b32_e32 v163, 0, v8, vcc_lo
.LBB2_3329:                             ;   in Loop: Header=BB2_3273 Depth=3
	s_or_b32 exec_lo, exec_lo, s34
.LBB2_3330:                             ;   in Loop: Header=BB2_3273 Depth=3
	s_delay_alu instid0(SALU_CYCLE_1) | instskip(SKIP_3) | instid1(VALU_DEP_1)
	s_or_b32 exec_lo, exec_lo, s31
	v_and_b32_e32 v135, 0xff, v9
	s_mov_b32 s14, 0
	s_mov_b32 s34, exec_lo
                                        ; implicit-def: $sgpr31
	v_cmpx_lt_i16_e64 0x7f, v135
	s_xor_b32 s34, exec_lo, s34
	s_cbranch_execnz .LBB2_3749
; %bb.3331:                             ;   in Loop: Header=BB2_3273 Depth=3
	s_or_saveexec_b32 s34, s34
	v_mov_b32_e32 v8, s31
	s_xor_b32 exec_lo, exec_lo, s34
	s_cbranch_execnz .LBB2_3752
.LBB2_3332:                             ;   in Loop: Header=BB2_3273 Depth=3
	s_or_b32 exec_lo, exec_lo, s34
	s_and_saveexec_b32 s31, s14
	s_cbranch_execz .LBB2_3334
.LBB2_3333:                             ;   in Loop: Header=BB2_3273 Depth=3
	v_bfe_u32 v145, v9, 2, 5
	s_delay_alu instid0(VALU_DEP_1) | instskip(SKIP_1) | instid1(VALU_DEP_1)
	v_cmp_eq_u32_e32 vcc_lo, 0, v145
	v_and_b32_e32 v8, 3, v9
	v_clz_i32_u32_e32 v135, v8
	s_delay_alu instid0(VALU_DEP_1) | instskip(NEXT) | instid1(VALU_DEP_1)
	v_min_u32_e32 v135, 32, v135
	v_subrev_nc_u32_e32 v144, 29, v135
	v_sub_nc_u32_e32 v135, 30, v135
	s_delay_alu instid0(VALU_DEP_1) | instskip(NEXT) | instid1(VALU_DEP_1)
	v_dual_cndmask_b32 v135, v145, v135 :: v_dual_lshlrev_b32 v144, v144, v9
	v_and_b32_e32 v144, 3, v144
	v_lshlrev_b32_e32 v147, 24, v9
	s_delay_alu instid0(VALU_DEP_3) | instskip(NEXT) | instid1(VALU_DEP_3)
	v_lshl_add_u32 v135, v135, 23, 0x37800000
	v_cndmask_b32_e32 v8, v8, v144, vcc_lo
	s_delay_alu instid0(VALU_DEP_3) | instskip(NEXT) | instid1(VALU_DEP_2)
	v_and_b32_e32 v144, 0x80000000, v147
	v_lshlrev_b32_e32 v8, 21, v8
	s_delay_alu instid0(VALU_DEP_1)
	v_or3_b32 v8, v144, v135, v8
.LBB2_3334:                             ;   in Loop: Header=BB2_3273 Depth=3
	s_or_b32 exec_lo, exec_lo, s31
	s_delay_alu instid0(VALU_DEP_1) | instskip(SKIP_2) | instid1(VALU_DEP_2)
	v_mul_f32_e32 v8, s15, v8
	v_mov_b32_e32 v162, 0x80
	s_mov_b32 s31, exec_lo
	v_and_b32_e32 v135, 0x7f800000, v8
	s_delay_alu instid0(VALU_DEP_1)
	v_cmpx_ne_u32_e32 0x7f800000, v135
	s_cbranch_execz .LBB2_3342
; %bb.3335:                             ;   in Loop: Header=BB2_3273 Depth=3
	v_mov_b32_e32 v162, 0
	s_mov_b32 s34, exec_lo
	v_cmpx_ne_u32_e32 0, v8
	s_cbranch_execz .LBB2_3341
; %bb.3336:                             ;   in Loop: Header=BB2_3273 Depth=3
	v_bfe_u32 v135, v8, 23, 8
	s_delay_alu instid0(VALU_DEP_1) | instskip(SKIP_1) | instid1(VALU_DEP_2)
	v_sub_nc_u32_e32 v145, 0x70, v135
	v_cmp_gt_u32_e32 vcc_lo, 0x71, v135
	v_dual_cndmask_b32 v145, 0, v145 :: v_dual_and_b32 v144, 0x7fffff, v8
	s_delay_alu instid0(VALU_DEP_1) | instskip(SKIP_2) | instid1(VALU_DEP_4)
	v_or_b32_e32 v147, 0x800000, v144
	v_cmp_eq_u32_e32 vcc_lo, 0, v135
	v_add_nc_u32_e32 v135, 0xffffff91, v135
	v_cndmask_b32_e64 v145, v145, 0x6f, vcc_lo
	s_delay_alu instid0(VALU_DEP_4) | instskip(NEXT) | instid1(VALU_DEP_3)
	v_cndmask_b32_e32 v144, v147, v144, vcc_lo
	v_cndmask_b32_e64 v135, v135, 0xffffff92, vcc_lo
	s_delay_alu instid0(VALU_DEP_3) | instskip(NEXT) | instid1(VALU_DEP_3)
	v_lshl_add_u32 v147, 0x200000, v145, -1
	v_lshrrev_b32_e32 v148, v145, v144
	v_lshlrev_b32_e64 v150, v145, 0x100000
	s_delay_alu instid0(VALU_DEP_4) | instskip(NEXT) | instid1(VALU_DEP_4)
	v_add_nc_u32_e32 v145, v145, v135
	v_and_b32_e32 v144, v147, v144
	s_delay_alu instid0(VALU_DEP_4) | instskip(NEXT) | instid1(VALU_DEP_2)
	v_bfe_u32 v149, v148, 21, 1
	v_cmp_eq_u32_e64 s14, v144, v150
	s_delay_alu instid0(VALU_DEP_2) | instskip(NEXT) | instid1(VALU_DEP_1)
	v_add_nc_u32_e32 v147, -1, v149
	v_cndmask_b32_e64 v144, 0, v147, s14
	v_lshrrev_b32_e32 v147, 23, v148
	s_mov_b32 s14, exec_lo
	s_delay_alu instid0(VALU_DEP_2) | instskip(NEXT) | instid1(VALU_DEP_2)
	v_add_nc_u32_e32 v144, v144, v148
	v_xor_b32_e32 v147, 1, v147
	s_delay_alu instid0(VALU_DEP_2) | instskip(NEXT) | instid1(VALU_DEP_1)
	v_and_b32_e32 v135, 0x1fffff, v144
	v_add_nc_u32_e32 v144, v135, v148
                                        ; implicit-def: $vgpr135
	s_delay_alu instid0(VALU_DEP_3)
	v_cmpx_ne_u32_e64 v145, v147
	s_xor_b32 s14, exec_lo, s14
; %bb.3337:                             ;   in Loop: Header=BB2_3273 Depth=3
	s_delay_alu instid0(VALU_DEP_2) | instskip(SKIP_2) | instid1(VALU_DEP_2)
	v_cmp_lt_u32_e32 vcc_lo, 0xffffff, v144
	v_sub_nc_u32_e32 v135, v145, v147
	v_cndmask_b32_e64 v145, 0, 1, vcc_lo
	v_add_co_ci_u32_e32 v135, vcc_lo, 0, v135, vcc_lo
	s_delay_alu instid0(VALU_DEP_2)
	v_lshrrev_b32_e32 v144, v145, v144
; %bb.3338:                             ;   in Loop: Header=BB2_3273 Depth=3
	s_and_not1_saveexec_b32 s14, s14
; %bb.3339:                             ;   in Loop: Header=BB2_3273 Depth=3
	s_delay_alu instid0(VALU_DEP_1)
	v_bfe_u32 v135, v144, 23, 1
; %bb.3340:                             ;   in Loop: Header=BB2_3273 Depth=3
	s_or_b32 exec_lo, exec_lo, s14
	v_lshrrev_b32_e32 v144, 21, v144
	s_delay_alu instid0(VALU_DEP_2) | instskip(SKIP_2) | instid1(VALU_DEP_2)
	v_cmp_gt_i32_e32 vcc_lo, 32, v135
	v_min_i32_e32 v145, 31, v135
	v_lshrrev_b32_e32 v8, 24, v8
	v_dual_cndmask_b32 v144, 3, v144 :: v_dual_lshlrev_b32 v145, 2, v145
	s_delay_alu instid0(VALU_DEP_2) | instskip(NEXT) | instid1(VALU_DEP_2)
	v_and_b32_e32 v8, 0x80, v8
	v_or_b32_e32 v135, v135, v144
	v_and_b32_e32 v147, 3, v144
	s_delay_alu instid0(VALU_DEP_2) | instskip(SKIP_1) | instid1(VALU_DEP_1)
	v_cmp_ne_u32_e32 vcc_lo, 0, v135
	v_and_b32_e32 v145, 0xfc, v145
	v_or3_b32 v8, v145, v8, v147
	s_delay_alu instid0(VALU_DEP_1)
	v_cndmask_b32_e32 v162, 0, v8, vcc_lo
.LBB2_3341:                             ;   in Loop: Header=BB2_3273 Depth=3
	s_or_b32 exec_lo, exec_lo, s34
.LBB2_3342:                             ;   in Loop: Header=BB2_3273 Depth=3
	s_delay_alu instid0(SALU_CYCLE_1) | instskip(SKIP_3) | instid1(VALU_DEP_1)
	s_or_b32 exec_lo, exec_lo, s31
	v_lshrrev_b16 v8, 8, v9
	s_mov_b32 s14, 0
	s_mov_b32 s34, exec_lo
                                        ; implicit-def: $sgpr31
	v_cmpx_lt_i16_e32 0x7f, v8
	s_xor_b32 s34, exec_lo, s34
	s_cbranch_execnz .LBB2_3753
; %bb.3343:                             ;   in Loop: Header=BB2_3273 Depth=3
	s_or_saveexec_b32 s34, s34
	v_mov_b32_e32 v135, s31
	s_xor_b32 exec_lo, exec_lo, s34
	s_cbranch_execnz .LBB2_3756
.LBB2_3344:                             ;   in Loop: Header=BB2_3273 Depth=3
	s_or_b32 exec_lo, exec_lo, s34
	s_and_saveexec_b32 s31, s14
	s_cbranch_execz .LBB2_3346
.LBB2_3345:                             ;   in Loop: Header=BB2_3273 Depth=3
	v_and_b32_e32 v135, 0xffff, v8
	v_lshlrev_b32_e32 v8, 24, v8
	s_delay_alu instid0(VALU_DEP_2) | instskip(NEXT) | instid1(VALU_DEP_2)
	v_and_b32_e32 v144, 3, v135
	v_and_b32_e32 v8, 0x80000000, v8
	s_delay_alu instid0(VALU_DEP_2) | instskip(NEXT) | instid1(VALU_DEP_1)
	v_clz_i32_u32_e32 v145, v144
	v_min_u32_e32 v145, 32, v145
	s_delay_alu instid0(VALU_DEP_1) | instskip(SKIP_1) | instid1(VALU_DEP_2)
	v_subrev_nc_u32_e32 v147, 29, v145
	v_sub_nc_u32_e32 v145, 30, v145
	v_lshlrev_b32_e32 v147, v147, v135
	v_bfe_u32 v135, v135, 2, 5
	s_delay_alu instid0(VALU_DEP_2) | instskip(NEXT) | instid1(VALU_DEP_2)
	v_and_b32_e32 v147, 3, v147
	v_cmp_eq_u32_e32 vcc_lo, 0, v135
	s_delay_alu instid0(VALU_DEP_2) | instskip(NEXT) | instid1(VALU_DEP_1)
	v_dual_cndmask_b32 v135, v135, v145 :: v_dual_cndmask_b32 v144, v144, v147
	v_lshl_add_u32 v135, v135, 23, 0x37800000
	s_delay_alu instid0(VALU_DEP_2) | instskip(NEXT) | instid1(VALU_DEP_1)
	v_lshlrev_b32_e32 v144, 21, v144
	v_or3_b32 v135, v8, v135, v144
.LBB2_3346:                             ;   in Loop: Header=BB2_3273 Depth=3
	s_or_b32 exec_lo, exec_lo, s31
	s_delay_alu instid0(VALU_DEP_1) | instskip(SKIP_1) | instid1(VALU_DEP_1)
	v_dual_mul_f32 v8, s15, v135 :: v_dual_mov_b32 v165, 0x8000
	s_mov_b32 s31, exec_lo
	v_and_b32_e32 v135, 0x7f800000, v8
	s_delay_alu instid0(VALU_DEP_1)
	v_cmpx_ne_u32_e32 0x7f800000, v135
	s_cbranch_execz .LBB2_3354
; %bb.3347:                             ;   in Loop: Header=BB2_3273 Depth=3
	v_mov_b32_e32 v165, 0
	s_mov_b32 s34, exec_lo
	v_cmpx_ne_u32_e32 0, v8
	s_cbranch_execz .LBB2_3353
; %bb.3348:                             ;   in Loop: Header=BB2_3273 Depth=3
	v_bfe_u32 v135, v8, 23, 8
	s_delay_alu instid0(VALU_DEP_1) | instskip(SKIP_1) | instid1(VALU_DEP_2)
	v_sub_nc_u32_e32 v145, 0x70, v135
	v_cmp_gt_u32_e32 vcc_lo, 0x71, v135
	v_dual_cndmask_b32 v145, 0, v145 :: v_dual_and_b32 v144, 0x7fffff, v8
	s_delay_alu instid0(VALU_DEP_1) | instskip(SKIP_2) | instid1(VALU_DEP_4)
	v_or_b32_e32 v147, 0x800000, v144
	v_cmp_eq_u32_e32 vcc_lo, 0, v135
	v_add_nc_u32_e32 v135, 0xffffff91, v135
	v_cndmask_b32_e64 v145, v145, 0x6f, vcc_lo
	s_delay_alu instid0(VALU_DEP_4) | instskip(NEXT) | instid1(VALU_DEP_3)
	v_cndmask_b32_e32 v144, v147, v144, vcc_lo
	v_cndmask_b32_e64 v135, v135, 0xffffff92, vcc_lo
	s_delay_alu instid0(VALU_DEP_3) | instskip(NEXT) | instid1(VALU_DEP_3)
	v_lshl_add_u32 v147, 0x200000, v145, -1
	v_lshrrev_b32_e32 v148, v145, v144
	v_lshlrev_b32_e64 v150, v145, 0x100000
	s_delay_alu instid0(VALU_DEP_4) | instskip(NEXT) | instid1(VALU_DEP_4)
	v_add_nc_u32_e32 v145, v145, v135
	v_and_b32_e32 v144, v147, v144
	s_delay_alu instid0(VALU_DEP_4) | instskip(NEXT) | instid1(VALU_DEP_2)
	v_bfe_u32 v149, v148, 21, 1
	v_cmp_eq_u32_e64 s14, v144, v150
	s_delay_alu instid0(VALU_DEP_2) | instskip(NEXT) | instid1(VALU_DEP_1)
	v_add_nc_u32_e32 v147, -1, v149
	v_cndmask_b32_e64 v144, 0, v147, s14
	v_lshrrev_b32_e32 v147, 23, v148
	s_mov_b32 s14, exec_lo
	s_delay_alu instid0(VALU_DEP_2) | instskip(NEXT) | instid1(VALU_DEP_2)
	v_add_nc_u32_e32 v144, v144, v148
	v_xor_b32_e32 v147, 1, v147
	s_delay_alu instid0(VALU_DEP_2) | instskip(NEXT) | instid1(VALU_DEP_1)
	v_and_b32_e32 v135, 0x1fffff, v144
	v_add_nc_u32_e32 v144, v135, v148
                                        ; implicit-def: $vgpr135
	s_delay_alu instid0(VALU_DEP_3)
	v_cmpx_ne_u32_e64 v145, v147
	s_xor_b32 s14, exec_lo, s14
; %bb.3349:                             ;   in Loop: Header=BB2_3273 Depth=3
	s_delay_alu instid0(VALU_DEP_2) | instskip(SKIP_2) | instid1(VALU_DEP_2)
	v_cmp_lt_u32_e32 vcc_lo, 0xffffff, v144
	v_sub_nc_u32_e32 v135, v145, v147
	v_cndmask_b32_e64 v145, 0, 1, vcc_lo
	v_add_co_ci_u32_e32 v135, vcc_lo, 0, v135, vcc_lo
	s_delay_alu instid0(VALU_DEP_2)
	v_lshrrev_b32_e32 v144, v145, v144
; %bb.3350:                             ;   in Loop: Header=BB2_3273 Depth=3
	s_and_not1_saveexec_b32 s14, s14
; %bb.3351:                             ;   in Loop: Header=BB2_3273 Depth=3
	s_delay_alu instid0(VALU_DEP_1)
	v_bfe_u32 v135, v144, 23, 1
; %bb.3352:                             ;   in Loop: Header=BB2_3273 Depth=3
	s_or_b32 exec_lo, exec_lo, s14
	v_lshrrev_b32_e32 v144, 21, v144
	s_delay_alu instid0(VALU_DEP_2) | instskip(SKIP_2) | instid1(VALU_DEP_3)
	v_min_i32_e32 v145, 31, v135
	v_cmp_gt_i32_e32 vcc_lo, 32, v135
	v_lshrrev_b32_e32 v8, 24, v8
	v_dual_cndmask_b32 v144, 3, v144 :: v_dual_lshlrev_b32 v145, 2, v145
	s_delay_alu instid0(VALU_DEP_2) | instskip(NEXT) | instid1(VALU_DEP_2)
	v_and_b32_e32 v8, 0x80, v8
	v_and_b32_e32 v145, 0xfc, v145
	s_delay_alu instid0(VALU_DEP_3) | instskip(SKIP_1) | instid1(VALU_DEP_2)
	v_and_b32_e32 v147, 3, v144
	v_or_b32_e32 v135, v135, v144
	v_or3_b32 v8, v8, v145, v147
	s_delay_alu instid0(VALU_DEP_2) | instskip(NEXT) | instid1(VALU_DEP_2)
	v_cmp_ne_u32_e32 vcc_lo, 0, v135
	v_lshlrev_b32_e32 v8, 8, v8
	s_delay_alu instid0(VALU_DEP_1)
	v_cndmask_b32_e32 v165, 0, v8, vcc_lo
.LBB2_3353:                             ;   in Loop: Header=BB2_3273 Depth=3
	s_or_b32 exec_lo, exec_lo, s34
.LBB2_3354:                             ;   in Loop: Header=BB2_3273 Depth=3
	s_delay_alu instid0(SALU_CYCLE_1) | instskip(SKIP_3) | instid1(VALU_DEP_1)
	s_or_b32 exec_lo, exec_lo, s31
	v_lshrrev_b32_e32 v8, 16, v9
	s_mov_b32 s14, 0
	s_mov_b32 s34, exec_lo
                                        ; implicit-def: $sgpr31
	v_and_b32_e32 v144, 0xff, v8
	s_delay_alu instid0(VALU_DEP_1)
	v_cmpx_lt_i16_e64 0x7f, v144
	s_xor_b32 s34, exec_lo, s34
	s_cbranch_execnz .LBB2_3757
; %bb.3355:                             ;   in Loop: Header=BB2_3273 Depth=3
	s_or_saveexec_b32 s34, s34
	v_mov_b32_e32 v135, s31
	s_xor_b32 exec_lo, exec_lo, s34
	s_cbranch_execnz .LBB2_3760
.LBB2_3356:                             ;   in Loop: Header=BB2_3273 Depth=3
	s_or_b32 exec_lo, exec_lo, s34
	s_and_saveexec_b32 s31, s14
	s_cbranch_execz .LBB2_3358
.LBB2_3357:                             ;   in Loop: Header=BB2_3273 Depth=3
	v_bfe_u32 v135, v9, 16, 2
	s_delay_alu instid0(VALU_DEP_1) | instskip(NEXT) | instid1(VALU_DEP_1)
	v_clz_i32_u32_e32 v144, v135
	v_min_u32_e32 v144, 32, v144
	s_delay_alu instid0(VALU_DEP_1) | instskip(SKIP_1) | instid1(VALU_DEP_2)
	v_subrev_nc_u32_e32 v145, 29, v144
	v_sub_nc_u32_e32 v144, 30, v144
	v_lshlrev_b32_e32 v8, v145, v8
	v_bfe_u32 v145, v9, 18, 5
	s_delay_alu instid0(VALU_DEP_2) | instskip(NEXT) | instid1(VALU_DEP_2)
	v_and_b32_e32 v8, 3, v8
	v_cmp_eq_u32_e32 vcc_lo, 0, v145
	v_dual_cndmask_b32 v144, v145, v144 :: v_dual_lshlrev_b32 v147, 8, v9
	s_delay_alu instid0(VALU_DEP_1) | instskip(NEXT) | instid1(VALU_DEP_2)
	v_dual_cndmask_b32 v8, v135, v8 :: v_dual_and_b32 v135, 0x80000000, v147
	v_lshl_add_u32 v144, v144, 23, 0x37800000
	s_delay_alu instid0(VALU_DEP_2) | instskip(NEXT) | instid1(VALU_DEP_1)
	v_lshlrev_b32_e32 v8, 21, v8
	v_or3_b32 v135, v135, v144, v8
.LBB2_3358:                             ;   in Loop: Header=BB2_3273 Depth=3
	s_or_b32 exec_lo, exec_lo, s31
	s_delay_alu instid0(VALU_DEP_1) | instskip(SKIP_1) | instid1(VALU_DEP_1)
	v_dual_mul_f32 v8, s15, v135 :: v_dual_mov_b32 v161, 0x80
	s_mov_b32 s31, exec_lo
	v_and_b32_e32 v135, 0x7f800000, v8
	s_delay_alu instid0(VALU_DEP_1)
	v_cmpx_ne_u32_e32 0x7f800000, v135
	s_cbranch_execz .LBB2_3366
; %bb.3359:                             ;   in Loop: Header=BB2_3273 Depth=3
	v_mov_b32_e32 v161, 0
	s_mov_b32 s34, exec_lo
	v_cmpx_ne_u32_e32 0, v8
	s_cbranch_execz .LBB2_3365
; %bb.3360:                             ;   in Loop: Header=BB2_3273 Depth=3
	v_bfe_u32 v135, v8, 23, 8
	s_delay_alu instid0(VALU_DEP_1) | instskip(SKIP_1) | instid1(VALU_DEP_2)
	v_sub_nc_u32_e32 v145, 0x70, v135
	v_cmp_gt_u32_e32 vcc_lo, 0x71, v135
	v_dual_cndmask_b32 v145, 0, v145 :: v_dual_and_b32 v144, 0x7fffff, v8
	s_delay_alu instid0(VALU_DEP_1) | instskip(SKIP_2) | instid1(VALU_DEP_4)
	v_or_b32_e32 v147, 0x800000, v144
	v_cmp_eq_u32_e32 vcc_lo, 0, v135
	v_add_nc_u32_e32 v135, 0xffffff91, v135
	v_cndmask_b32_e64 v145, v145, 0x6f, vcc_lo
	s_delay_alu instid0(VALU_DEP_4) | instskip(NEXT) | instid1(VALU_DEP_3)
	v_cndmask_b32_e32 v144, v147, v144, vcc_lo
	v_cndmask_b32_e64 v135, v135, 0xffffff92, vcc_lo
	s_delay_alu instid0(VALU_DEP_3) | instskip(NEXT) | instid1(VALU_DEP_3)
	v_lshl_add_u32 v147, 0x200000, v145, -1
	v_lshrrev_b32_e32 v148, v145, v144
	v_lshlrev_b32_e64 v150, v145, 0x100000
	s_delay_alu instid0(VALU_DEP_4) | instskip(NEXT) | instid1(VALU_DEP_4)
	v_add_nc_u32_e32 v145, v145, v135
	v_and_b32_e32 v144, v147, v144
	s_delay_alu instid0(VALU_DEP_4) | instskip(NEXT) | instid1(VALU_DEP_2)
	v_bfe_u32 v149, v148, 21, 1
	v_cmp_eq_u32_e64 s14, v144, v150
	s_delay_alu instid0(VALU_DEP_2) | instskip(NEXT) | instid1(VALU_DEP_1)
	v_add_nc_u32_e32 v147, -1, v149
	v_cndmask_b32_e64 v144, 0, v147, s14
	v_lshrrev_b32_e32 v147, 23, v148
	s_mov_b32 s14, exec_lo
	s_delay_alu instid0(VALU_DEP_2) | instskip(NEXT) | instid1(VALU_DEP_2)
	v_add_nc_u32_e32 v144, v144, v148
	v_xor_b32_e32 v147, 1, v147
	s_delay_alu instid0(VALU_DEP_2) | instskip(NEXT) | instid1(VALU_DEP_1)
	v_and_b32_e32 v135, 0x1fffff, v144
	v_add_nc_u32_e32 v144, v135, v148
                                        ; implicit-def: $vgpr135
	s_delay_alu instid0(VALU_DEP_3)
	v_cmpx_ne_u32_e64 v145, v147
	s_xor_b32 s14, exec_lo, s14
; %bb.3361:                             ;   in Loop: Header=BB2_3273 Depth=3
	s_delay_alu instid0(VALU_DEP_2) | instskip(SKIP_2) | instid1(VALU_DEP_2)
	v_cmp_lt_u32_e32 vcc_lo, 0xffffff, v144
	v_sub_nc_u32_e32 v135, v145, v147
	v_cndmask_b32_e64 v145, 0, 1, vcc_lo
	v_add_co_ci_u32_e32 v135, vcc_lo, 0, v135, vcc_lo
	s_delay_alu instid0(VALU_DEP_2)
	v_lshrrev_b32_e32 v144, v145, v144
; %bb.3362:                             ;   in Loop: Header=BB2_3273 Depth=3
	s_and_not1_saveexec_b32 s14, s14
; %bb.3363:                             ;   in Loop: Header=BB2_3273 Depth=3
	s_delay_alu instid0(VALU_DEP_1)
	v_bfe_u32 v135, v144, 23, 1
; %bb.3364:                             ;   in Loop: Header=BB2_3273 Depth=3
	s_or_b32 exec_lo, exec_lo, s14
	v_lshrrev_b32_e32 v144, 21, v144
	s_delay_alu instid0(VALU_DEP_2) | instskip(SKIP_2) | instid1(VALU_DEP_3)
	v_min_i32_e32 v145, 31, v135
	v_cmp_gt_i32_e32 vcc_lo, 32, v135
	v_lshrrev_b32_e32 v8, 24, v8
	v_dual_cndmask_b32 v144, 3, v144 :: v_dual_lshlrev_b32 v145, 2, v145
	s_delay_alu instid0(VALU_DEP_2) | instskip(NEXT) | instid1(VALU_DEP_2)
	v_and_b32_e32 v8, 0x80, v8
	v_and_b32_e32 v145, 0xfc, v145
	s_delay_alu instid0(VALU_DEP_3) | instskip(SKIP_1) | instid1(VALU_DEP_2)
	v_and_b32_e32 v147, 3, v144
	v_or_b32_e32 v135, v135, v144
	v_or3_b32 v8, v145, v8, v147
	s_delay_alu instid0(VALU_DEP_2) | instskip(NEXT) | instid1(VALU_DEP_2)
	v_cmp_ne_u32_e32 vcc_lo, 0, v135
	v_cndmask_b32_e32 v161, 0, v8, vcc_lo
.LBB2_3365:                             ;   in Loop: Header=BB2_3273 Depth=3
	s_or_b32 exec_lo, exec_lo, s34
.LBB2_3366:                             ;   in Loop: Header=BB2_3273 Depth=3
	s_delay_alu instid0(SALU_CYCLE_1) | instskip(SKIP_3) | instid1(VALU_DEP_1)
	s_or_b32 exec_lo, exec_lo, s31
	v_lshrrev_b32_e32 v8, 24, v9
	s_mov_b32 s14, 0
	s_mov_b32 s34, exec_lo
                                        ; implicit-def: $sgpr31
	v_cmpx_lt_i16_e32 0x7f, v8
	s_xor_b32 s34, exec_lo, s34
	s_cbranch_execnz .LBB2_3761
; %bb.3367:                             ;   in Loop: Header=BB2_3273 Depth=3
	s_or_saveexec_b32 s34, s34
	v_mov_b32_e32 v135, s31
	s_xor_b32 exec_lo, exec_lo, s34
	s_cbranch_execnz .LBB2_3764
.LBB2_3368:                             ;   in Loop: Header=BB2_3273 Depth=3
	s_or_b32 exec_lo, exec_lo, s34
	s_and_saveexec_b32 s31, s14
	s_cbranch_execz .LBB2_3370
.LBB2_3369:                             ;   in Loop: Header=BB2_3273 Depth=3
	v_bfe_u32 v135, v9, 24, 2
	s_delay_alu instid0(VALU_DEP_1) | instskip(NEXT) | instid1(VALU_DEP_1)
	v_clz_i32_u32_e32 v144, v135
	v_min_u32_e32 v144, 32, v144
	s_delay_alu instid0(VALU_DEP_1) | instskip(SKIP_1) | instid1(VALU_DEP_2)
	v_subrev_nc_u32_e32 v145, 29, v144
	v_sub_nc_u32_e32 v144, 30, v144
	v_lshlrev_b32_e32 v8, v145, v8
	v_bfe_u32 v145, v9, 26, 5
	v_and_b32_e32 v9, 0x80000000, v9
	s_delay_alu instid0(VALU_DEP_3) | instskip(NEXT) | instid1(VALU_DEP_3)
	v_and_b32_e32 v8, 3, v8
	v_cmp_eq_u32_e32 vcc_lo, 0, v145
	v_cndmask_b32_e32 v144, v145, v144, vcc_lo
	s_delay_alu instid0(VALU_DEP_3) | instskip(NEXT) | instid1(VALU_DEP_2)
	v_cndmask_b32_e32 v8, v135, v8, vcc_lo
	v_lshl_add_u32 v135, v144, 23, 0x37800000
	s_delay_alu instid0(VALU_DEP_2) | instskip(NEXT) | instid1(VALU_DEP_1)
	v_lshlrev_b32_e32 v8, 21, v8
	v_or3_b32 v135, v9, v135, v8
.LBB2_3370:                             ;   in Loop: Header=BB2_3273 Depth=3
	s_or_b32 exec_lo, exec_lo, s31
	s_delay_alu instid0(VALU_DEP_1) | instskip(SKIP_2) | instid1(VALU_DEP_2)
	v_mul_f32_e32 v8, s15, v135
	v_mov_b32_e32 v164, 0x8000
	s_mov_b32 s31, exec_lo
	v_and_b32_e32 v9, 0x7f800000, v8
	s_delay_alu instid0(VALU_DEP_1)
	v_cmpx_ne_u32_e32 0x7f800000, v9
	s_cbranch_execz .LBB2_3378
; %bb.3371:                             ;   in Loop: Header=BB2_3273 Depth=3
	v_mov_b32_e32 v164, 0
	s_mov_b32 s34, exec_lo
	v_cmpx_ne_u32_e32 0, v8
	s_cbranch_execz .LBB2_3377
; %bb.3372:                             ;   in Loop: Header=BB2_3273 Depth=3
	v_bfe_u32 v9, v8, 23, 8
	v_and_b32_e32 v135, 0x7fffff, v8
	s_delay_alu instid0(VALU_DEP_2) | instskip(SKIP_1) | instid1(VALU_DEP_3)
	v_sub_nc_u32_e32 v144, 0x70, v9
	v_cmp_gt_u32_e32 vcc_lo, 0x71, v9
	v_or_b32_e32 v145, 0x800000, v135
	s_delay_alu instid0(VALU_DEP_3) | instskip(SKIP_2) | instid1(VALU_DEP_4)
	v_cndmask_b32_e32 v144, 0, v144, vcc_lo
	v_cmp_eq_u32_e32 vcc_lo, 0, v9
	v_add_nc_u32_e32 v9, 0xffffff91, v9
	v_cndmask_b32_e32 v135, v145, v135, vcc_lo
	s_delay_alu instid0(VALU_DEP_4) | instskip(NEXT) | instid1(VALU_DEP_3)
	v_cndmask_b32_e64 v144, v144, 0x6f, vcc_lo
	v_cndmask_b32_e64 v9, v9, 0xffffff92, vcc_lo
	s_delay_alu instid0(VALU_DEP_2) | instskip(SKIP_2) | instid1(VALU_DEP_4)
	v_lshrrev_b32_e32 v147, v144, v135
	v_lshl_add_u32 v145, 0x200000, v144, -1
	v_lshlrev_b32_e64 v149, v144, 0x100000
	v_add_nc_u32_e32 v144, v144, v9
	s_delay_alu instid0(VALU_DEP_4) | instskip(NEXT) | instid1(VALU_DEP_4)
	v_bfe_u32 v148, v147, 21, 1
	v_and_b32_e32 v135, v145, v135
	s_delay_alu instid0(VALU_DEP_2) | instskip(NEXT) | instid1(VALU_DEP_2)
	v_add_nc_u32_e32 v145, -1, v148
	v_cmp_eq_u32_e64 s14, v135, v149
	s_delay_alu instid0(VALU_DEP_1) | instskip(SKIP_2) | instid1(VALU_DEP_2)
	v_cndmask_b32_e64 v135, 0, v145, s14
	v_lshrrev_b32_e32 v145, 23, v147
	s_mov_b32 s14, exec_lo
	v_add_nc_u32_e32 v135, v135, v147
	s_delay_alu instid0(VALU_DEP_2) | instskip(NEXT) | instid1(VALU_DEP_2)
	v_xor_b32_e32 v145, 1, v145
	v_and_b32_e32 v9, 0x1fffff, v135
	s_delay_alu instid0(VALU_DEP_1) | instskip(NEXT) | instid1(VALU_DEP_3)
	v_add_nc_u32_e32 v135, v9, v147
                                        ; implicit-def: $vgpr9
	v_cmpx_ne_u32_e64 v144, v145
	s_xor_b32 s14, exec_lo, s14
; %bb.3373:                             ;   in Loop: Header=BB2_3273 Depth=3
	s_delay_alu instid0(VALU_DEP_2) | instskip(SKIP_2) | instid1(VALU_DEP_2)
	v_cmp_lt_u32_e32 vcc_lo, 0xffffff, v135
	v_sub_nc_u32_e32 v9, v144, v145
	v_cndmask_b32_e64 v144, 0, 1, vcc_lo
	v_add_co_ci_u32_e32 v9, vcc_lo, 0, v9, vcc_lo
	s_delay_alu instid0(VALU_DEP_2)
	v_lshrrev_b32_e32 v135, v144, v135
; %bb.3374:                             ;   in Loop: Header=BB2_3273 Depth=3
	s_and_not1_saveexec_b32 s14, s14
; %bb.3375:                             ;   in Loop: Header=BB2_3273 Depth=3
	s_delay_alu instid0(VALU_DEP_1)
	v_bfe_u32 v9, v135, 23, 1
; %bb.3376:                             ;   in Loop: Header=BB2_3273 Depth=3
	s_or_b32 exec_lo, exec_lo, s14
	v_lshrrev_b32_e32 v135, 21, v135
	s_delay_alu instid0(VALU_DEP_2) | instskip(SKIP_2) | instid1(VALU_DEP_2)
	v_cmp_gt_i32_e32 vcc_lo, 32, v9
	v_min_i32_e32 v144, 31, v9
	v_lshrrev_b32_e32 v8, 24, v8
	v_dual_cndmask_b32 v135, 3, v135 :: v_dual_lshlrev_b32 v144, 2, v144
	s_delay_alu instid0(VALU_DEP_2) | instskip(NEXT) | instid1(VALU_DEP_2)
	v_and_b32_e32 v8, 0x80, v8
	v_or_b32_e32 v9, v9, v135
	s_delay_alu instid0(VALU_DEP_3) | instskip(NEXT) | instid1(VALU_DEP_2)
	v_and_b32_e32 v144, 0xfc, v144
	v_cmp_ne_u32_e32 vcc_lo, 0, v9
	v_and_b32_e32 v145, 3, v135
	s_delay_alu instid0(VALU_DEP_1) | instskip(NEXT) | instid1(VALU_DEP_1)
	v_or3_b32 v8, v8, v144, v145
	v_lshlrev_b32_e32 v8, 8, v8
	s_delay_alu instid0(VALU_DEP_1)
	v_cndmask_b32_e32 v164, 0, v8, vcc_lo
.LBB2_3377:                             ;   in Loop: Header=BB2_3273 Depth=3
	s_or_b32 exec_lo, exec_lo, s34
.LBB2_3378:                             ;   in Loop: Header=BB2_3273 Depth=3
	s_delay_alu instid0(SALU_CYCLE_1) | instskip(SKIP_3) | instid1(VALU_DEP_1)
	s_or_b32 exec_lo, exec_lo, s31
	v_and_b32_e32 v9, 0xff, v10
	s_mov_b32 s14, 0
	s_mov_b32 s34, exec_lo
                                        ; implicit-def: $sgpr31
	v_cmpx_lt_i16_e32 0x7f, v9
	s_xor_b32 s34, exec_lo, s34
	s_cbranch_execnz .LBB2_3765
; %bb.3379:                             ;   in Loop: Header=BB2_3273 Depth=3
	s_or_saveexec_b32 s34, s34
	v_mov_b32_e32 v8, s31
	s_xor_b32 exec_lo, exec_lo, s34
	s_cbranch_execnz .LBB2_3768
.LBB2_3380:                             ;   in Loop: Header=BB2_3273 Depth=3
	s_or_b32 exec_lo, exec_lo, s34
	s_and_saveexec_b32 s31, s14
	s_cbranch_execz .LBB2_3382
.LBB2_3381:                             ;   in Loop: Header=BB2_3273 Depth=3
	v_bfe_u32 v144, v10, 2, 5
	s_delay_alu instid0(VALU_DEP_1) | instskip(SKIP_1) | instid1(VALU_DEP_1)
	v_cmp_eq_u32_e32 vcc_lo, 0, v144
	v_and_b32_e32 v8, 3, v10
	v_clz_i32_u32_e32 v9, v8
	s_delay_alu instid0(VALU_DEP_1) | instskip(NEXT) | instid1(VALU_DEP_1)
	v_min_u32_e32 v9, 32, v9
	v_subrev_nc_u32_e32 v135, 29, v9
	v_sub_nc_u32_e32 v9, 30, v9
	s_delay_alu instid0(VALU_DEP_2) | instskip(NEXT) | instid1(VALU_DEP_2)
	v_lshlrev_b32_e32 v135, v135, v10
	v_cndmask_b32_e32 v9, v144, v9, vcc_lo
	s_delay_alu instid0(VALU_DEP_2) | instskip(SKIP_1) | instid1(VALU_DEP_3)
	v_and_b32_e32 v135, 3, v135
	v_lshlrev_b32_e32 v145, 24, v10
	v_lshl_add_u32 v9, v9, 23, 0x37800000
	s_delay_alu instid0(VALU_DEP_2) | instskip(NEXT) | instid1(VALU_DEP_1)
	v_dual_cndmask_b32 v8, v8, v135 :: v_dual_and_b32 v135, 0x80000000, v145
	v_lshlrev_b32_e32 v8, 21, v8
	s_delay_alu instid0(VALU_DEP_1)
	v_or3_b32 v8, v135, v9, v8
.LBB2_3382:                             ;   in Loop: Header=BB2_3273 Depth=3
	s_or_b32 exec_lo, exec_lo, s31
	s_delay_alu instid0(VALU_DEP_1) | instskip(SKIP_1) | instid1(VALU_DEP_1)
	v_dual_mul_f32 v8, s15, v8 :: v_dual_mov_b32 v151, 0x80
	s_mov_b32 s31, exec_lo
	v_and_b32_e32 v9, 0x7f800000, v8
	s_delay_alu instid0(VALU_DEP_1)
	v_cmpx_ne_u32_e32 0x7f800000, v9
	s_cbranch_execz .LBB2_3390
; %bb.3383:                             ;   in Loop: Header=BB2_3273 Depth=3
	v_mov_b32_e32 v151, 0
	s_mov_b32 s34, exec_lo
	v_cmpx_ne_u32_e32 0, v8
	s_cbranch_execz .LBB2_3389
; %bb.3384:                             ;   in Loop: Header=BB2_3273 Depth=3
	v_bfe_u32 v9, v8, 23, 8
	v_and_b32_e32 v135, 0x7fffff, v8
	s_delay_alu instid0(VALU_DEP_2) | instskip(SKIP_1) | instid1(VALU_DEP_3)
	v_sub_nc_u32_e32 v144, 0x70, v9
	v_cmp_gt_u32_e32 vcc_lo, 0x71, v9
	v_or_b32_e32 v145, 0x800000, v135
	s_delay_alu instid0(VALU_DEP_3) | instskip(SKIP_2) | instid1(VALU_DEP_4)
	v_cndmask_b32_e32 v144, 0, v144, vcc_lo
	v_cmp_eq_u32_e32 vcc_lo, 0, v9
	v_add_nc_u32_e32 v9, 0xffffff91, v9
	v_cndmask_b32_e32 v135, v145, v135, vcc_lo
	s_delay_alu instid0(VALU_DEP_4) | instskip(NEXT) | instid1(VALU_DEP_3)
	v_cndmask_b32_e64 v144, v144, 0x6f, vcc_lo
	v_cndmask_b32_e64 v9, v9, 0xffffff92, vcc_lo
	s_delay_alu instid0(VALU_DEP_2) | instskip(SKIP_2) | instid1(VALU_DEP_4)
	v_lshrrev_b32_e32 v147, v144, v135
	v_lshl_add_u32 v145, 0x200000, v144, -1
	v_lshlrev_b32_e64 v149, v144, 0x100000
	v_add_nc_u32_e32 v144, v144, v9
	s_delay_alu instid0(VALU_DEP_4) | instskip(NEXT) | instid1(VALU_DEP_4)
	v_bfe_u32 v148, v147, 21, 1
	v_and_b32_e32 v135, v145, v135
	s_delay_alu instid0(VALU_DEP_2) | instskip(NEXT) | instid1(VALU_DEP_2)
	v_add_nc_u32_e32 v145, -1, v148
	v_cmp_eq_u32_e64 s14, v135, v149
	s_delay_alu instid0(VALU_DEP_1) | instskip(SKIP_2) | instid1(VALU_DEP_2)
	v_cndmask_b32_e64 v135, 0, v145, s14
	v_lshrrev_b32_e32 v145, 23, v147
	s_mov_b32 s14, exec_lo
	v_add_nc_u32_e32 v135, v135, v147
	s_delay_alu instid0(VALU_DEP_2) | instskip(NEXT) | instid1(VALU_DEP_2)
	v_xor_b32_e32 v145, 1, v145
	v_and_b32_e32 v9, 0x1fffff, v135
	s_delay_alu instid0(VALU_DEP_1) | instskip(NEXT) | instid1(VALU_DEP_3)
	v_add_nc_u32_e32 v135, v9, v147
                                        ; implicit-def: $vgpr9
	v_cmpx_ne_u32_e64 v144, v145
	s_xor_b32 s14, exec_lo, s14
; %bb.3385:                             ;   in Loop: Header=BB2_3273 Depth=3
	s_delay_alu instid0(VALU_DEP_2) | instskip(SKIP_2) | instid1(VALU_DEP_2)
	v_cmp_lt_u32_e32 vcc_lo, 0xffffff, v135
	v_sub_nc_u32_e32 v9, v144, v145
	v_cndmask_b32_e64 v144, 0, 1, vcc_lo
	v_add_co_ci_u32_e32 v9, vcc_lo, 0, v9, vcc_lo
	s_delay_alu instid0(VALU_DEP_2)
	v_lshrrev_b32_e32 v135, v144, v135
; %bb.3386:                             ;   in Loop: Header=BB2_3273 Depth=3
	s_and_not1_saveexec_b32 s14, s14
; %bb.3387:                             ;   in Loop: Header=BB2_3273 Depth=3
	s_delay_alu instid0(VALU_DEP_1)
	v_bfe_u32 v9, v135, 23, 1
; %bb.3388:                             ;   in Loop: Header=BB2_3273 Depth=3
	s_or_b32 exec_lo, exec_lo, s14
	v_lshrrev_b32_e32 v135, 21, v135
	s_delay_alu instid0(VALU_DEP_2) | instskip(SKIP_2) | instid1(VALU_DEP_2)
	v_cmp_gt_i32_e32 vcc_lo, 32, v9
	v_lshrrev_b32_e32 v8, 24, v8
	v_min_i32_e32 v144, 31, v9
	v_dual_cndmask_b32 v135, 3, v135 :: v_dual_and_b32 v8, 0x80, v8
	s_delay_alu instid0(VALU_DEP_2) | instskip(NEXT) | instid1(VALU_DEP_2)
	v_lshlrev_b32_e32 v144, 2, v144
	v_and_b32_e32 v145, 3, v135
	v_or_b32_e32 v9, v9, v135
	s_delay_alu instid0(VALU_DEP_2) | instskip(NEXT) | instid1(VALU_DEP_2)
	v_or3_b32 v8, v144, v8, v145
	v_cmp_ne_u32_e32 vcc_lo, 0, v9
	s_delay_alu instid0(VALU_DEP_2)
	v_cndmask_b32_e32 v151, 0, v8, vcc_lo
.LBB2_3389:                             ;   in Loop: Header=BB2_3273 Depth=3
	s_or_b32 exec_lo, exec_lo, s34
.LBB2_3390:                             ;   in Loop: Header=BB2_3273 Depth=3
	s_delay_alu instid0(SALU_CYCLE_1) | instskip(SKIP_3) | instid1(VALU_DEP_1)
	s_or_b32 exec_lo, exec_lo, s31
	v_lshrrev_b16 v8, 8, v10
	s_mov_b32 s14, 0
	s_mov_b32 s34, exec_lo
                                        ; implicit-def: $sgpr31
	v_cmpx_lt_i16_e32 0x7f, v8
	s_xor_b32 s34, exec_lo, s34
	s_cbranch_execnz .LBB2_3769
; %bb.3391:                             ;   in Loop: Header=BB2_3273 Depth=3
	s_or_saveexec_b32 s34, s34
	v_mov_b32_e32 v9, s31
	s_xor_b32 exec_lo, exec_lo, s34
	s_cbranch_execnz .LBB2_3772
.LBB2_3392:                             ;   in Loop: Header=BB2_3273 Depth=3
	s_or_b32 exec_lo, exec_lo, s34
	s_and_saveexec_b32 s31, s14
	s_cbranch_execz .LBB2_3394
.LBB2_3393:                             ;   in Loop: Header=BB2_3273 Depth=3
	v_and_b32_e32 v9, 0xffff, v8
	s_delay_alu instid0(VALU_DEP_1) | instskip(NEXT) | instid1(VALU_DEP_1)
	v_and_b32_e32 v135, 3, v9
	v_clz_i32_u32_e32 v144, v135
	s_delay_alu instid0(VALU_DEP_1) | instskip(NEXT) | instid1(VALU_DEP_1)
	v_min_u32_e32 v144, 32, v144
	v_subrev_nc_u32_e32 v145, 29, v144
	v_sub_nc_u32_e32 v144, 30, v144
	s_delay_alu instid0(VALU_DEP_2) | instskip(SKIP_1) | instid1(VALU_DEP_2)
	v_lshlrev_b32_e32 v145, v145, v9
	v_bfe_u32 v9, v9, 2, 5
	v_and_b32_e32 v145, 3, v145
	s_delay_alu instid0(VALU_DEP_2) | instskip(NEXT) | instid1(VALU_DEP_2)
	v_cmp_eq_u32_e32 vcc_lo, 0, v9
	v_dual_cndmask_b32 v135, v135, v145 :: v_dual_lshlrev_b32 v8, 24, v8
	v_cndmask_b32_e32 v9, v9, v144, vcc_lo
	s_delay_alu instid0(VALU_DEP_2) | instskip(NEXT) | instid1(VALU_DEP_3)
	v_and_b32_e32 v8, 0x80000000, v8
	v_lshlrev_b32_e32 v135, 21, v135
	s_delay_alu instid0(VALU_DEP_3) | instskip(NEXT) | instid1(VALU_DEP_1)
	v_lshl_add_u32 v9, v9, 23, 0x37800000
	v_or3_b32 v9, v8, v9, v135
.LBB2_3394:                             ;   in Loop: Header=BB2_3273 Depth=3
	s_or_b32 exec_lo, exec_lo, s31
	s_delay_alu instid0(VALU_DEP_1) | instskip(SKIP_1) | instid1(VALU_DEP_1)
	v_dual_mul_f32 v8, s15, v9 :: v_dual_mov_b32 v149, 0x80
	s_mov_b32 s31, exec_lo
	v_and_b32_e32 v9, 0x7f800000, v8
	s_delay_alu instid0(VALU_DEP_1)
	v_cmpx_ne_u32_e32 0x7f800000, v9
	s_cbranch_execz .LBB2_3402
; %bb.3395:                             ;   in Loop: Header=BB2_3273 Depth=3
	v_mov_b32_e32 v149, 0
	s_mov_b32 s34, exec_lo
	v_cmpx_ne_u32_e32 0, v8
	s_cbranch_execz .LBB2_3401
; %bb.3396:                             ;   in Loop: Header=BB2_3273 Depth=3
	v_bfe_u32 v9, v8, 23, 8
	v_and_b32_e32 v135, 0x7fffff, v8
	s_delay_alu instid0(VALU_DEP_2) | instskip(SKIP_1) | instid1(VALU_DEP_3)
	v_sub_nc_u32_e32 v144, 0x70, v9
	v_cmp_gt_u32_e32 vcc_lo, 0x71, v9
	v_or_b32_e32 v145, 0x800000, v135
	s_delay_alu instid0(VALU_DEP_3) | instskip(SKIP_2) | instid1(VALU_DEP_4)
	v_cndmask_b32_e32 v144, 0, v144, vcc_lo
	v_cmp_eq_u32_e32 vcc_lo, 0, v9
	v_add_nc_u32_e32 v9, 0xffffff91, v9
	v_cndmask_b32_e32 v135, v145, v135, vcc_lo
	s_delay_alu instid0(VALU_DEP_4) | instskip(NEXT) | instid1(VALU_DEP_3)
	v_cndmask_b32_e64 v144, v144, 0x6f, vcc_lo
	v_cndmask_b32_e64 v9, v9, 0xffffff92, vcc_lo
	s_delay_alu instid0(VALU_DEP_2) | instskip(SKIP_2) | instid1(VALU_DEP_4)
	v_lshrrev_b32_e32 v147, v144, v135
	v_lshl_add_u32 v145, 0x200000, v144, -1
	v_lshlrev_b32_e64 v149, v144, 0x100000
	v_add_nc_u32_e32 v144, v144, v9
	s_delay_alu instid0(VALU_DEP_4) | instskip(NEXT) | instid1(VALU_DEP_4)
	v_bfe_u32 v148, v147, 21, 1
	v_and_b32_e32 v135, v145, v135
	s_delay_alu instid0(VALU_DEP_2) | instskip(NEXT) | instid1(VALU_DEP_2)
	v_add_nc_u32_e32 v145, -1, v148
	v_cmp_eq_u32_e64 s14, v135, v149
	s_delay_alu instid0(VALU_DEP_1) | instskip(SKIP_2) | instid1(VALU_DEP_2)
	v_cndmask_b32_e64 v135, 0, v145, s14
	v_lshrrev_b32_e32 v145, 23, v147
	s_mov_b32 s14, exec_lo
	v_add_nc_u32_e32 v135, v135, v147
	s_delay_alu instid0(VALU_DEP_2) | instskip(NEXT) | instid1(VALU_DEP_2)
	v_xor_b32_e32 v145, 1, v145
	v_and_b32_e32 v9, 0x1fffff, v135
	s_delay_alu instid0(VALU_DEP_1) | instskip(NEXT) | instid1(VALU_DEP_3)
	v_add_nc_u32_e32 v135, v9, v147
                                        ; implicit-def: $vgpr9
	v_cmpx_ne_u32_e64 v144, v145
	s_xor_b32 s14, exec_lo, s14
; %bb.3397:                             ;   in Loop: Header=BB2_3273 Depth=3
	s_delay_alu instid0(VALU_DEP_2) | instskip(SKIP_2) | instid1(VALU_DEP_2)
	v_cmp_lt_u32_e32 vcc_lo, 0xffffff, v135
	v_sub_nc_u32_e32 v9, v144, v145
	v_cndmask_b32_e64 v144, 0, 1, vcc_lo
	v_add_co_ci_u32_e32 v9, vcc_lo, 0, v9, vcc_lo
	s_delay_alu instid0(VALU_DEP_2)
	v_lshrrev_b32_e32 v135, v144, v135
; %bb.3398:                             ;   in Loop: Header=BB2_3273 Depth=3
	s_and_not1_saveexec_b32 s14, s14
; %bb.3399:                             ;   in Loop: Header=BB2_3273 Depth=3
	s_delay_alu instid0(VALU_DEP_1)
	v_bfe_u32 v9, v135, 23, 1
; %bb.3400:                             ;   in Loop: Header=BB2_3273 Depth=3
	s_or_b32 exec_lo, exec_lo, s14
	v_lshrrev_b32_e32 v135, 21, v135
	s_delay_alu instid0(VALU_DEP_2) | instskip(SKIP_2) | instid1(VALU_DEP_2)
	v_cmp_gt_i32_e32 vcc_lo, 32, v9
	v_lshrrev_b32_e32 v8, 24, v8
	v_min_i32_e32 v144, 31, v9
	v_dual_cndmask_b32 v135, 3, v135 :: v_dual_and_b32 v8, 0x80, v8
	s_delay_alu instid0(VALU_DEP_2) | instskip(NEXT) | instid1(VALU_DEP_2)
	v_lshlrev_b32_e32 v144, 2, v144
	v_and_b32_e32 v145, 3, v135
	v_or_b32_e32 v9, v9, v135
	s_delay_alu instid0(VALU_DEP_2) | instskip(NEXT) | instid1(VALU_DEP_2)
	v_or3_b32 v8, v144, v8, v145
	v_cmp_ne_u32_e32 vcc_lo, 0, v9
	s_delay_alu instid0(VALU_DEP_2)
	v_cndmask_b32_e32 v149, 0, v8, vcc_lo
.LBB2_3401:                             ;   in Loop: Header=BB2_3273 Depth=3
	s_or_b32 exec_lo, exec_lo, s34
.LBB2_3402:                             ;   in Loop: Header=BB2_3273 Depth=3
	s_delay_alu instid0(SALU_CYCLE_1) | instskip(SKIP_3) | instid1(VALU_DEP_1)
	s_or_b32 exec_lo, exec_lo, s31
	v_lshrrev_b32_e32 v8, 16, v10
	s_mov_b32 s14, 0
	s_mov_b32 s34, exec_lo
                                        ; implicit-def: $sgpr31
	v_and_b32_e32 v135, 0xff, v8
	s_delay_alu instid0(VALU_DEP_1)
	v_cmpx_lt_i16_e64 0x7f, v135
	s_xor_b32 s34, exec_lo, s34
	s_cbranch_execnz .LBB2_3773
; %bb.3403:                             ;   in Loop: Header=BB2_3273 Depth=3
	s_or_saveexec_b32 s34, s34
	v_mov_b32_e32 v9, s31
	s_xor_b32 exec_lo, exec_lo, s34
	s_cbranch_execnz .LBB2_3776
.LBB2_3404:                             ;   in Loop: Header=BB2_3273 Depth=3
	s_or_b32 exec_lo, exec_lo, s34
	s_and_saveexec_b32 s31, s14
	s_cbranch_execz .LBB2_3406
.LBB2_3405:                             ;   in Loop: Header=BB2_3273 Depth=3
	v_bfe_u32 v9, v10, 16, 2
	s_delay_alu instid0(VALU_DEP_1) | instskip(NEXT) | instid1(VALU_DEP_1)
	v_clz_i32_u32_e32 v135, v9
	v_min_u32_e32 v135, 32, v135
	s_delay_alu instid0(VALU_DEP_1) | instskip(SKIP_1) | instid1(VALU_DEP_2)
	v_subrev_nc_u32_e32 v144, 29, v135
	v_sub_nc_u32_e32 v135, 30, v135
	v_lshlrev_b32_e32 v8, v144, v8
	v_bfe_u32 v144, v10, 18, 5
	s_delay_alu instid0(VALU_DEP_1) | instskip(NEXT) | instid1(VALU_DEP_3)
	v_cmp_eq_u32_e32 vcc_lo, 0, v144
	v_dual_cndmask_b32 v135, v144, v135 :: v_dual_and_b32 v8, 3, v8
	s_delay_alu instid0(VALU_DEP_1) | instskip(NEXT) | instid1(VALU_DEP_2)
	v_dual_cndmask_b32 v8, v9, v8 :: v_dual_lshlrev_b32 v145, 8, v10
	v_lshl_add_u32 v135, v135, 23, 0x37800000
	s_delay_alu instid0(VALU_DEP_2) | instskip(NEXT) | instid1(VALU_DEP_3)
	v_and_b32_e32 v9, 0x80000000, v145
	v_lshlrev_b32_e32 v8, 21, v8
	s_delay_alu instid0(VALU_DEP_1)
	v_or3_b32 v9, v9, v135, v8
.LBB2_3406:                             ;   in Loop: Header=BB2_3273 Depth=3
	s_or_b32 exec_lo, exec_lo, s31
	s_delay_alu instid0(VALU_DEP_1) | instskip(SKIP_2) | instid1(VALU_DEP_2)
	v_mul_f32_e32 v8, s15, v9
	v_mov_b32_e32 v148, 0x80
	s_mov_b32 s31, exec_lo
	v_and_b32_e32 v9, 0x7f800000, v8
	s_delay_alu instid0(VALU_DEP_1)
	v_cmpx_ne_u32_e32 0x7f800000, v9
	s_cbranch_execz .LBB2_3414
; %bb.3407:                             ;   in Loop: Header=BB2_3273 Depth=3
	v_mov_b32_e32 v148, 0
	s_mov_b32 s34, exec_lo
	v_cmpx_ne_u32_e32 0, v8
	s_cbranch_execz .LBB2_3413
; %bb.3408:                             ;   in Loop: Header=BB2_3273 Depth=3
	v_bfe_u32 v9, v8, 23, 8
	v_and_b32_e32 v135, 0x7fffff, v8
	s_delay_alu instid0(VALU_DEP_2) | instskip(SKIP_1) | instid1(VALU_DEP_3)
	v_sub_nc_u32_e32 v144, 0x70, v9
	v_cmp_gt_u32_e32 vcc_lo, 0x71, v9
	v_or_b32_e32 v145, 0x800000, v135
	s_delay_alu instid0(VALU_DEP_3) | instskip(SKIP_2) | instid1(VALU_DEP_4)
	v_cndmask_b32_e32 v144, 0, v144, vcc_lo
	v_cmp_eq_u32_e32 vcc_lo, 0, v9
	v_add_nc_u32_e32 v9, 0xffffff91, v9
	v_cndmask_b32_e32 v135, v145, v135, vcc_lo
	s_delay_alu instid0(VALU_DEP_4) | instskip(NEXT) | instid1(VALU_DEP_3)
	v_cndmask_b32_e64 v144, v144, 0x6f, vcc_lo
	v_cndmask_b32_e64 v9, v9, 0xffffff92, vcc_lo
	s_delay_alu instid0(VALU_DEP_2) | instskip(SKIP_2) | instid1(VALU_DEP_4)
	v_lshrrev_b32_e32 v147, v144, v135
	v_lshl_add_u32 v145, 0x200000, v144, -1
	v_lshlrev_b32_e64 v150, v144, 0x100000
	v_add_nc_u32_e32 v144, v144, v9
	s_delay_alu instid0(VALU_DEP_4) | instskip(NEXT) | instid1(VALU_DEP_4)
	v_bfe_u32 v148, v147, 21, 1
	v_and_b32_e32 v135, v145, v135
	s_delay_alu instid0(VALU_DEP_2) | instskip(NEXT) | instid1(VALU_DEP_2)
	v_add_nc_u32_e32 v145, -1, v148
	v_cmp_eq_u32_e64 s14, v135, v150
	s_delay_alu instid0(VALU_DEP_1) | instskip(SKIP_2) | instid1(VALU_DEP_2)
	v_cndmask_b32_e64 v135, 0, v145, s14
	v_lshrrev_b32_e32 v145, 23, v147
	s_mov_b32 s14, exec_lo
	v_add_nc_u32_e32 v135, v135, v147
	s_delay_alu instid0(VALU_DEP_2) | instskip(NEXT) | instid1(VALU_DEP_2)
	v_xor_b32_e32 v145, 1, v145
	v_and_b32_e32 v9, 0x1fffff, v135
	s_delay_alu instid0(VALU_DEP_1) | instskip(NEXT) | instid1(VALU_DEP_3)
	v_add_nc_u32_e32 v135, v9, v147
                                        ; implicit-def: $vgpr9
	v_cmpx_ne_u32_e64 v144, v145
	s_xor_b32 s14, exec_lo, s14
; %bb.3409:                             ;   in Loop: Header=BB2_3273 Depth=3
	s_delay_alu instid0(VALU_DEP_2) | instskip(SKIP_2) | instid1(VALU_DEP_2)
	v_cmp_lt_u32_e32 vcc_lo, 0xffffff, v135
	v_sub_nc_u32_e32 v9, v144, v145
	v_cndmask_b32_e64 v144, 0, 1, vcc_lo
	v_add_co_ci_u32_e32 v9, vcc_lo, 0, v9, vcc_lo
	s_delay_alu instid0(VALU_DEP_2)
	v_lshrrev_b32_e32 v135, v144, v135
; %bb.3410:                             ;   in Loop: Header=BB2_3273 Depth=3
	s_and_not1_saveexec_b32 s14, s14
; %bb.3411:                             ;   in Loop: Header=BB2_3273 Depth=3
	s_delay_alu instid0(VALU_DEP_1)
	v_bfe_u32 v9, v135, 23, 1
; %bb.3412:                             ;   in Loop: Header=BB2_3273 Depth=3
	s_or_b32 exec_lo, exec_lo, s14
	v_lshrrev_b32_e32 v135, 21, v135
	s_delay_alu instid0(VALU_DEP_2) | instskip(SKIP_2) | instid1(VALU_DEP_2)
	v_cmp_gt_i32_e32 vcc_lo, 32, v9
	v_lshrrev_b32_e32 v8, 24, v8
	v_min_i32_e32 v144, 31, v9
	v_dual_cndmask_b32 v135, 3, v135 :: v_dual_and_b32 v8, 0x80, v8
	s_delay_alu instid0(VALU_DEP_2) | instskip(NEXT) | instid1(VALU_DEP_2)
	v_lshlrev_b32_e32 v144, 2, v144
	v_or_b32_e32 v9, v9, v135
	s_delay_alu instid0(VALU_DEP_1) | instskip(SKIP_1) | instid1(VALU_DEP_1)
	v_cmp_ne_u32_e32 vcc_lo, 0, v9
	v_and_b32_e32 v145, 3, v135
	v_or3_b32 v8, v144, v8, v145
	s_delay_alu instid0(VALU_DEP_1)
	v_cndmask_b32_e32 v148, 0, v8, vcc_lo
.LBB2_3413:                             ;   in Loop: Header=BB2_3273 Depth=3
	s_or_b32 exec_lo, exec_lo, s34
.LBB2_3414:                             ;   in Loop: Header=BB2_3273 Depth=3
	s_delay_alu instid0(SALU_CYCLE_1) | instskip(SKIP_3) | instid1(VALU_DEP_1)
	s_or_b32 exec_lo, exec_lo, s31
	v_lshrrev_b32_e32 v8, 24, v10
	s_mov_b32 s14, 0
	s_mov_b32 s34, exec_lo
                                        ; implicit-def: $sgpr31
	v_cmpx_lt_i16_e32 0x7f, v8
	s_xor_b32 s34, exec_lo, s34
	s_cbranch_execnz .LBB2_3777
; %bb.3415:                             ;   in Loop: Header=BB2_3273 Depth=3
	s_or_saveexec_b32 s34, s34
	v_mov_b32_e32 v9, s31
	s_xor_b32 exec_lo, exec_lo, s34
	s_cbranch_execnz .LBB2_3780
.LBB2_3416:                             ;   in Loop: Header=BB2_3273 Depth=3
	s_or_b32 exec_lo, exec_lo, s34
	s_and_saveexec_b32 s31, s14
	s_cbranch_execz .LBB2_3418
.LBB2_3417:                             ;   in Loop: Header=BB2_3273 Depth=3
	v_bfe_u32 v9, v10, 24, 2
	s_delay_alu instid0(VALU_DEP_1) | instskip(NEXT) | instid1(VALU_DEP_1)
	v_clz_i32_u32_e32 v135, v9
	v_min_u32_e32 v135, 32, v135
	s_delay_alu instid0(VALU_DEP_1) | instskip(SKIP_1) | instid1(VALU_DEP_2)
	v_subrev_nc_u32_e32 v144, 29, v135
	v_sub_nc_u32_e32 v135, 30, v135
	v_lshlrev_b32_e32 v8, v144, v8
	v_bfe_u32 v144, v10, 26, 5
	s_delay_alu instid0(VALU_DEP_1) | instskip(NEXT) | instid1(VALU_DEP_3)
	v_cmp_eq_u32_e32 vcc_lo, 0, v144
	v_dual_cndmask_b32 v135, v144, v135 :: v_dual_and_b32 v8, 3, v8
	s_delay_alu instid0(VALU_DEP_1) | instskip(NEXT) | instid1(VALU_DEP_2)
	v_dual_cndmask_b32 v8, v9, v8 :: v_dual_and_b32 v9, 0x80000000, v10
	v_lshl_add_u32 v10, v135, 23, 0x37800000
	s_delay_alu instid0(VALU_DEP_2) | instskip(NEXT) | instid1(VALU_DEP_1)
	v_lshlrev_b32_e32 v8, 21, v8
	v_or3_b32 v9, v9, v10, v8
.LBB2_3418:                             ;   in Loop: Header=BB2_3273 Depth=3
	s_or_b32 exec_lo, exec_lo, s31
	s_delay_alu instid0(VALU_DEP_1) | instskip(SKIP_1) | instid1(VALU_DEP_1)
	v_dual_mul_f32 v8, s15, v9 :: v_dual_mov_b32 v145, 0x80
	s_mov_b32 s31, exec_lo
	v_and_b32_e32 v9, 0x7f800000, v8
	s_delay_alu instid0(VALU_DEP_1)
	v_cmpx_ne_u32_e32 0x7f800000, v9
	s_cbranch_execz .LBB2_3426
; %bb.3419:                             ;   in Loop: Header=BB2_3273 Depth=3
	v_mov_b32_e32 v145, 0
	s_mov_b32 s34, exec_lo
	v_cmpx_ne_u32_e32 0, v8
	s_cbranch_execz .LBB2_3425
; %bb.3420:                             ;   in Loop: Header=BB2_3273 Depth=3
	v_bfe_u32 v9, v8, 23, 8
	s_delay_alu instid0(VALU_DEP_1) | instskip(SKIP_1) | instid1(VALU_DEP_2)
	v_sub_nc_u32_e32 v135, 0x70, v9
	v_cmp_gt_u32_e32 vcc_lo, 0x71, v9
	v_dual_cndmask_b32 v135, 0, v135 :: v_dual_and_b32 v10, 0x7fffff, v8
	s_delay_alu instid0(VALU_DEP_1) | instskip(SKIP_2) | instid1(VALU_DEP_4)
	v_or_b32_e32 v144, 0x800000, v10
	v_cmp_eq_u32_e32 vcc_lo, 0, v9
	v_add_nc_u32_e32 v9, 0xffffff91, v9
	v_cndmask_b32_e64 v135, v135, 0x6f, vcc_lo
	s_delay_alu instid0(VALU_DEP_4) | instskip(NEXT) | instid1(VALU_DEP_3)
	v_cndmask_b32_e32 v10, v144, v10, vcc_lo
	v_cndmask_b32_e64 v9, v9, 0xffffff92, vcc_lo
	s_delay_alu instid0(VALU_DEP_3) | instskip(NEXT) | instid1(VALU_DEP_3)
	v_lshl_add_u32 v144, 0x200000, v135, -1
	v_lshrrev_b32_e32 v145, v135, v10
	v_lshlrev_b32_e64 v150, v135, 0x100000
	s_delay_alu instid0(VALU_DEP_4) | instskip(NEXT) | instid1(VALU_DEP_4)
	v_add_nc_u32_e32 v135, v135, v9
	v_and_b32_e32 v10, v144, v10
	s_delay_alu instid0(VALU_DEP_4) | instskip(NEXT) | instid1(VALU_DEP_2)
	v_bfe_u32 v147, v145, 21, 1
	v_cmp_eq_u32_e64 s14, v10, v150
	s_delay_alu instid0(VALU_DEP_2) | instskip(NEXT) | instid1(VALU_DEP_1)
	v_add_nc_u32_e32 v144, -1, v147
	v_cndmask_b32_e64 v10, 0, v144, s14
	v_lshrrev_b32_e32 v144, 23, v145
	s_mov_b32 s14, exec_lo
	s_delay_alu instid0(VALU_DEP_2) | instskip(NEXT) | instid1(VALU_DEP_2)
	v_add_nc_u32_e32 v10, v10, v145
	v_xor_b32_e32 v144, 1, v144
	s_delay_alu instid0(VALU_DEP_2) | instskip(NEXT) | instid1(VALU_DEP_1)
	v_and_b32_e32 v9, 0x1fffff, v10
	v_add_nc_u32_e32 v10, v9, v145
                                        ; implicit-def: $vgpr9
	s_delay_alu instid0(VALU_DEP_3)
	v_cmpx_ne_u32_e64 v135, v144
	s_xor_b32 s14, exec_lo, s14
; %bb.3421:                             ;   in Loop: Header=BB2_3273 Depth=3
	s_delay_alu instid0(VALU_DEP_2) | instskip(SKIP_2) | instid1(VALU_DEP_2)
	v_cmp_lt_u32_e32 vcc_lo, 0xffffff, v10
	v_sub_nc_u32_e32 v9, v135, v144
	v_cndmask_b32_e64 v135, 0, 1, vcc_lo
	v_add_co_ci_u32_e32 v9, vcc_lo, 0, v9, vcc_lo
	s_delay_alu instid0(VALU_DEP_2)
	v_lshrrev_b32_e32 v10, v135, v10
; %bb.3422:                             ;   in Loop: Header=BB2_3273 Depth=3
	s_and_not1_saveexec_b32 s14, s14
; %bb.3423:                             ;   in Loop: Header=BB2_3273 Depth=3
	s_delay_alu instid0(VALU_DEP_1)
	v_bfe_u32 v9, v10, 23, 1
; %bb.3424:                             ;   in Loop: Header=BB2_3273 Depth=3
	s_or_b32 exec_lo, exec_lo, s14
	v_lshrrev_b32_e32 v10, 21, v10
	s_delay_alu instid0(VALU_DEP_2) | instskip(SKIP_2) | instid1(VALU_DEP_2)
	v_cmp_gt_i32_e32 vcc_lo, 32, v9
	v_min_i32_e32 v135, 31, v9
	v_lshrrev_b32_e32 v8, 24, v8
	v_dual_cndmask_b32 v10, 3, v10 :: v_dual_lshlrev_b32 v135, 2, v135
	s_delay_alu instid0(VALU_DEP_2) | instskip(NEXT) | instid1(VALU_DEP_2)
	v_and_b32_e32 v8, 0x80, v8
	v_or_b32_e32 v9, v9, v10
	s_delay_alu instid0(VALU_DEP_1) | instskip(SKIP_1) | instid1(VALU_DEP_1)
	v_cmp_ne_u32_e32 vcc_lo, 0, v9
	v_and_b32_e32 v144, 3, v10
	v_or3_b32 v8, v135, v8, v144
	s_delay_alu instid0(VALU_DEP_1)
	v_cndmask_b32_e32 v145, 0, v8, vcc_lo
.LBB2_3425:                             ;   in Loop: Header=BB2_3273 Depth=3
	s_or_b32 exec_lo, exec_lo, s34
.LBB2_3426:                             ;   in Loop: Header=BB2_3273 Depth=3
	s_delay_alu instid0(SALU_CYCLE_1) | instskip(SKIP_3) | instid1(VALU_DEP_1)
	s_or_b32 exec_lo, exec_lo, s31
	v_and_b32_e32 v9, 0xff, v11
	s_mov_b32 s14, 0
	s_mov_b32 s34, exec_lo
                                        ; implicit-def: $sgpr31
	v_cmpx_lt_i16_e32 0x7f, v9
	s_xor_b32 s34, exec_lo, s34
	s_cbranch_execnz .LBB2_3781
; %bb.3427:                             ;   in Loop: Header=BB2_3273 Depth=3
	s_or_saveexec_b32 s34, s34
	v_mov_b32_e32 v8, s31
	s_xor_b32 exec_lo, exec_lo, s34
	s_cbranch_execnz .LBB2_3784
.LBB2_3428:                             ;   in Loop: Header=BB2_3273 Depth=3
	s_or_b32 exec_lo, exec_lo, s34
	s_and_saveexec_b32 s31, s14
	s_cbranch_execz .LBB2_3430
.LBB2_3429:                             ;   in Loop: Header=BB2_3273 Depth=3
	v_bfe_u32 v135, v11, 2, 5
	v_lshlrev_b32_e32 v144, 24, v11
	s_delay_alu instid0(VALU_DEP_2) | instskip(SKIP_1) | instid1(VALU_DEP_1)
	v_cmp_eq_u32_e32 vcc_lo, 0, v135
	v_and_b32_e32 v8, 3, v11
	v_clz_i32_u32_e32 v9, v8
	s_delay_alu instid0(VALU_DEP_1) | instskip(NEXT) | instid1(VALU_DEP_1)
	v_min_u32_e32 v9, 32, v9
	v_subrev_nc_u32_e32 v10, 29, v9
	v_sub_nc_u32_e32 v9, 30, v9
	s_delay_alu instid0(VALU_DEP_1) | instskip(NEXT) | instid1(VALU_DEP_1)
	v_dual_cndmask_b32 v9, v135, v9 :: v_dual_lshlrev_b32 v10, v10, v11
	v_and_b32_e32 v10, 3, v10
	s_delay_alu instid0(VALU_DEP_2) | instskip(NEXT) | instid1(VALU_DEP_2)
	v_lshl_add_u32 v9, v9, 23, 0x37800000
	v_cndmask_b32_e32 v8, v8, v10, vcc_lo
	v_and_b32_e32 v10, 0x80000000, v144
	s_delay_alu instid0(VALU_DEP_2) | instskip(NEXT) | instid1(VALU_DEP_1)
	v_lshlrev_b32_e32 v8, 21, v8
	v_or3_b32 v8, v10, v9, v8
.LBB2_3430:                             ;   in Loop: Header=BB2_3273 Depth=3
	s_or_b32 exec_lo, exec_lo, s31
	s_delay_alu instid0(VALU_DEP_1) | instskip(SKIP_2) | instid1(VALU_DEP_2)
	v_mul_f32_e32 v8, s15, v8
	v_mov_b32_e32 v144, 0x80
	s_mov_b32 s31, exec_lo
	v_and_b32_e32 v9, 0x7f800000, v8
	s_delay_alu instid0(VALU_DEP_1)
	v_cmpx_ne_u32_e32 0x7f800000, v9
	s_cbranch_execz .LBB2_3438
; %bb.3431:                             ;   in Loop: Header=BB2_3273 Depth=3
	v_mov_b32_e32 v144, 0
	s_mov_b32 s34, exec_lo
	v_cmpx_ne_u32_e32 0, v8
	s_cbranch_execz .LBB2_3437
; %bb.3432:                             ;   in Loop: Header=BB2_3273 Depth=3
	v_bfe_u32 v9, v8, 23, 8
	s_delay_alu instid0(VALU_DEP_1) | instskip(SKIP_1) | instid1(VALU_DEP_2)
	v_sub_nc_u32_e32 v135, 0x70, v9
	v_cmp_gt_u32_e32 vcc_lo, 0x71, v9
	v_dual_cndmask_b32 v135, 0, v135 :: v_dual_and_b32 v10, 0x7fffff, v8
	s_delay_alu instid0(VALU_DEP_1) | instskip(SKIP_2) | instid1(VALU_DEP_4)
	v_or_b32_e32 v144, 0x800000, v10
	v_cmp_eq_u32_e32 vcc_lo, 0, v9
	v_add_nc_u32_e32 v9, 0xffffff91, v9
	v_cndmask_b32_e64 v135, v135, 0x6f, vcc_lo
	s_delay_alu instid0(VALU_DEP_4) | instskip(NEXT) | instid1(VALU_DEP_3)
	v_cndmask_b32_e32 v10, v144, v10, vcc_lo
	v_cndmask_b32_e64 v9, v9, 0xffffff92, vcc_lo
	s_delay_alu instid0(VALU_DEP_3) | instskip(NEXT) | instid1(VALU_DEP_3)
	v_lshl_add_u32 v144, 0x200000, v135, -1
	v_lshrrev_b32_e32 v147, v135, v10
	v_lshlrev_b32_e64 v166, v135, 0x100000
	s_delay_alu instid0(VALU_DEP_4) | instskip(NEXT) | instid1(VALU_DEP_4)
	v_add_nc_u32_e32 v135, v135, v9
	v_and_b32_e32 v10, v144, v10
	s_delay_alu instid0(VALU_DEP_4) | instskip(NEXT) | instid1(VALU_DEP_2)
	v_bfe_u32 v150, v147, 21, 1
	v_cmp_eq_u32_e64 s14, v10, v166
	s_delay_alu instid0(VALU_DEP_2) | instskip(NEXT) | instid1(VALU_DEP_1)
	v_add_nc_u32_e32 v144, -1, v150
	v_cndmask_b32_e64 v10, 0, v144, s14
	v_lshrrev_b32_e32 v144, 23, v147
	s_mov_b32 s14, exec_lo
	s_delay_alu instid0(VALU_DEP_2) | instskip(NEXT) | instid1(VALU_DEP_2)
	v_add_nc_u32_e32 v10, v10, v147
	v_xor_b32_e32 v144, 1, v144
	s_delay_alu instid0(VALU_DEP_2) | instskip(NEXT) | instid1(VALU_DEP_1)
	v_and_b32_e32 v9, 0x1fffff, v10
	v_add_nc_u32_e32 v10, v9, v147
                                        ; implicit-def: $vgpr9
	s_delay_alu instid0(VALU_DEP_3)
	v_cmpx_ne_u32_e64 v135, v144
	s_xor_b32 s14, exec_lo, s14
; %bb.3433:                             ;   in Loop: Header=BB2_3273 Depth=3
	s_delay_alu instid0(VALU_DEP_2) | instskip(SKIP_2) | instid1(VALU_DEP_2)
	v_cmp_lt_u32_e32 vcc_lo, 0xffffff, v10
	v_sub_nc_u32_e32 v9, v135, v144
	v_cndmask_b32_e64 v135, 0, 1, vcc_lo
	v_add_co_ci_u32_e32 v9, vcc_lo, 0, v9, vcc_lo
	s_delay_alu instid0(VALU_DEP_2)
	v_lshrrev_b32_e32 v10, v135, v10
; %bb.3434:                             ;   in Loop: Header=BB2_3273 Depth=3
	s_and_not1_saveexec_b32 s14, s14
; %bb.3435:                             ;   in Loop: Header=BB2_3273 Depth=3
	s_delay_alu instid0(VALU_DEP_1)
	v_bfe_u32 v9, v10, 23, 1
; %bb.3436:                             ;   in Loop: Header=BB2_3273 Depth=3
	s_or_b32 exec_lo, exec_lo, s14
	v_lshrrev_b32_e32 v10, 21, v10
	s_delay_alu instid0(VALU_DEP_2) | instskip(SKIP_2) | instid1(VALU_DEP_2)
	v_cmp_gt_i32_e32 vcc_lo, 32, v9
	v_min_i32_e32 v135, 31, v9
	v_lshrrev_b32_e32 v8, 24, v8
	v_dual_cndmask_b32 v10, 3, v10 :: v_dual_lshlrev_b32 v135, 2, v135
	s_delay_alu instid0(VALU_DEP_2) | instskip(NEXT) | instid1(VALU_DEP_2)
	v_and_b32_e32 v8, 0x80, v8
	v_or_b32_e32 v9, v9, v10
	v_and_b32_e32 v144, 3, v10
	s_delay_alu instid0(VALU_DEP_2) | instskip(SKIP_1) | instid1(VALU_DEP_1)
	v_cmp_ne_u32_e32 vcc_lo, 0, v9
	v_and_b32_e32 v135, 0xfc, v135
	v_or3_b32 v8, v135, v8, v144
	s_delay_alu instid0(VALU_DEP_1)
	v_cndmask_b32_e32 v144, 0, v8, vcc_lo
.LBB2_3437:                             ;   in Loop: Header=BB2_3273 Depth=3
	s_or_b32 exec_lo, exec_lo, s34
.LBB2_3438:                             ;   in Loop: Header=BB2_3273 Depth=3
	s_delay_alu instid0(SALU_CYCLE_1) | instskip(SKIP_3) | instid1(VALU_DEP_1)
	s_or_b32 exec_lo, exec_lo, s31
	v_lshrrev_b16 v8, 8, v11
	s_mov_b32 s14, 0
	s_mov_b32 s34, exec_lo
                                        ; implicit-def: $sgpr31
	v_cmpx_lt_i16_e32 0x7f, v8
	s_xor_b32 s34, exec_lo, s34
	s_cbranch_execnz .LBB2_3785
; %bb.3439:                             ;   in Loop: Header=BB2_3273 Depth=3
	s_or_saveexec_b32 s34, s34
	v_mov_b32_e32 v9, s31
	s_xor_b32 exec_lo, exec_lo, s34
	s_cbranch_execnz .LBB2_3788
.LBB2_3440:                             ;   in Loop: Header=BB2_3273 Depth=3
	s_or_b32 exec_lo, exec_lo, s34
	s_and_saveexec_b32 s31, s14
	s_cbranch_execz .LBB2_3442
.LBB2_3441:                             ;   in Loop: Header=BB2_3273 Depth=3
	v_and_b32_e32 v9, 0xffff, v8
	v_lshlrev_b32_e32 v8, 24, v8
	s_delay_alu instid0(VALU_DEP_2) | instskip(NEXT) | instid1(VALU_DEP_2)
	v_and_b32_e32 v10, 3, v9
	v_and_b32_e32 v8, 0x80000000, v8
	s_delay_alu instid0(VALU_DEP_2) | instskip(NEXT) | instid1(VALU_DEP_1)
	v_clz_i32_u32_e32 v135, v10
	v_min_u32_e32 v135, 32, v135
	s_delay_alu instid0(VALU_DEP_1) | instskip(SKIP_1) | instid1(VALU_DEP_2)
	v_subrev_nc_u32_e32 v147, 29, v135
	v_sub_nc_u32_e32 v135, 30, v135
	v_lshlrev_b32_e32 v147, v147, v9
	v_bfe_u32 v9, v9, 2, 5
	s_delay_alu instid0(VALU_DEP_2) | instskip(NEXT) | instid1(VALU_DEP_2)
	v_and_b32_e32 v147, 3, v147
	v_cmp_eq_u32_e32 vcc_lo, 0, v9
	v_cndmask_b32_e32 v9, v9, v135, vcc_lo
	s_delay_alu instid0(VALU_DEP_3) | instskip(NEXT) | instid1(VALU_DEP_2)
	v_cndmask_b32_e32 v10, v10, v147, vcc_lo
	v_lshl_add_u32 v9, v9, 23, 0x37800000
	s_delay_alu instid0(VALU_DEP_2) | instskip(NEXT) | instid1(VALU_DEP_1)
	v_lshlrev_b32_e32 v10, 21, v10
	v_or3_b32 v9, v8, v9, v10
.LBB2_3442:                             ;   in Loop: Header=BB2_3273 Depth=3
	s_or_b32 exec_lo, exec_lo, s31
	s_delay_alu instid0(VALU_DEP_1) | instskip(SKIP_2) | instid1(VALU_DEP_2)
	v_mul_f32_e32 v8, s15, v9
	v_mov_b32_e32 v150, 0x8000
	s_mov_b32 s31, exec_lo
	v_and_b32_e32 v9, 0x7f800000, v8
	s_delay_alu instid0(VALU_DEP_1)
	v_cmpx_ne_u32_e32 0x7f800000, v9
	s_cbranch_execz .LBB2_3450
; %bb.3443:                             ;   in Loop: Header=BB2_3273 Depth=3
	v_mov_b32_e32 v150, 0
	s_mov_b32 s34, exec_lo
	v_cmpx_ne_u32_e32 0, v8
	s_cbranch_execz .LBB2_3449
; %bb.3444:                             ;   in Loop: Header=BB2_3273 Depth=3
	v_bfe_u32 v9, v8, 23, 8
	s_delay_alu instid0(VALU_DEP_1) | instskip(SKIP_1) | instid1(VALU_DEP_2)
	v_sub_nc_u32_e32 v135, 0x70, v9
	v_cmp_gt_u32_e32 vcc_lo, 0x71, v9
	v_dual_cndmask_b32 v135, 0, v135 :: v_dual_and_b32 v10, 0x7fffff, v8
	s_delay_alu instid0(VALU_DEP_1) | instskip(SKIP_2) | instid1(VALU_DEP_4)
	v_or_b32_e32 v147, 0x800000, v10
	v_cmp_eq_u32_e32 vcc_lo, 0, v9
	v_add_nc_u32_e32 v9, 0xffffff91, v9
	v_cndmask_b32_e64 v135, v135, 0x6f, vcc_lo
	s_delay_alu instid0(VALU_DEP_4) | instskip(NEXT) | instid1(VALU_DEP_3)
	v_cndmask_b32_e32 v10, v147, v10, vcc_lo
	v_cndmask_b32_e64 v9, v9, 0xffffff92, vcc_lo
	s_delay_alu instid0(VALU_DEP_3) | instskip(NEXT) | instid1(VALU_DEP_3)
	v_lshl_add_u32 v147, 0x200000, v135, -1
	v_lshrrev_b32_e32 v150, v135, v10
	v_lshlrev_b32_e64 v167, v135, 0x100000
	s_delay_alu instid0(VALU_DEP_4) | instskip(NEXT) | instid1(VALU_DEP_4)
	v_add_nc_u32_e32 v135, v135, v9
	v_and_b32_e32 v10, v147, v10
	s_delay_alu instid0(VALU_DEP_4) | instskip(NEXT) | instid1(VALU_DEP_2)
	v_bfe_u32 v166, v150, 21, 1
	v_cmp_eq_u32_e64 s14, v10, v167
	s_delay_alu instid0(VALU_DEP_2) | instskip(NEXT) | instid1(VALU_DEP_1)
	v_add_nc_u32_e32 v147, -1, v166
	v_cndmask_b32_e64 v10, 0, v147, s14
	v_lshrrev_b32_e32 v147, 23, v150
	s_mov_b32 s14, exec_lo
	s_delay_alu instid0(VALU_DEP_2) | instskip(NEXT) | instid1(VALU_DEP_2)
	v_add_nc_u32_e32 v10, v10, v150
	v_xor_b32_e32 v147, 1, v147
	s_delay_alu instid0(VALU_DEP_2) | instskip(NEXT) | instid1(VALU_DEP_1)
	v_and_b32_e32 v9, 0x1fffff, v10
	v_add_nc_u32_e32 v10, v9, v150
                                        ; implicit-def: $vgpr9
	s_delay_alu instid0(VALU_DEP_3)
	v_cmpx_ne_u32_e64 v135, v147
	s_xor_b32 s14, exec_lo, s14
; %bb.3445:                             ;   in Loop: Header=BB2_3273 Depth=3
	s_delay_alu instid0(VALU_DEP_2) | instskip(SKIP_2) | instid1(VALU_DEP_2)
	v_cmp_lt_u32_e32 vcc_lo, 0xffffff, v10
	v_sub_nc_u32_e32 v9, v135, v147
	v_cndmask_b32_e64 v135, 0, 1, vcc_lo
	v_add_co_ci_u32_e32 v9, vcc_lo, 0, v9, vcc_lo
	s_delay_alu instid0(VALU_DEP_2)
	v_lshrrev_b32_e32 v10, v135, v10
; %bb.3446:                             ;   in Loop: Header=BB2_3273 Depth=3
	s_and_not1_saveexec_b32 s14, s14
; %bb.3447:                             ;   in Loop: Header=BB2_3273 Depth=3
	s_delay_alu instid0(VALU_DEP_1)
	v_bfe_u32 v9, v10, 23, 1
; %bb.3448:                             ;   in Loop: Header=BB2_3273 Depth=3
	s_or_b32 exec_lo, exec_lo, s14
	v_lshrrev_b32_e32 v10, 21, v10
	s_delay_alu instid0(VALU_DEP_2) | instskip(SKIP_2) | instid1(VALU_DEP_2)
	v_cmp_gt_i32_e32 vcc_lo, 32, v9
	v_min_i32_e32 v135, 31, v9
	v_lshrrev_b32_e32 v8, 24, v8
	v_dual_cndmask_b32 v10, 3, v10 :: v_dual_lshlrev_b32 v135, 2, v135
	s_delay_alu instid0(VALU_DEP_2) | instskip(NEXT) | instid1(VALU_DEP_2)
	v_and_b32_e32 v8, 0x80, v8
	v_or_b32_e32 v9, v9, v10
	s_delay_alu instid0(VALU_DEP_3) | instskip(NEXT) | instid1(VALU_DEP_2)
	v_and_b32_e32 v135, 0xfc, v135
	v_cmp_ne_u32_e32 vcc_lo, 0, v9
	v_and_b32_e32 v147, 3, v10
	s_delay_alu instid0(VALU_DEP_1) | instskip(NEXT) | instid1(VALU_DEP_1)
	v_or3_b32 v8, v8, v135, v147
	v_lshlrev_b32_e32 v8, 8, v8
	s_delay_alu instid0(VALU_DEP_1)
	v_cndmask_b32_e32 v150, 0, v8, vcc_lo
.LBB2_3449:                             ;   in Loop: Header=BB2_3273 Depth=3
	s_or_b32 exec_lo, exec_lo, s34
.LBB2_3450:                             ;   in Loop: Header=BB2_3273 Depth=3
	s_delay_alu instid0(SALU_CYCLE_1) | instskip(SKIP_3) | instid1(VALU_DEP_1)
	s_or_b32 exec_lo, exec_lo, s31
	v_lshrrev_b32_e32 v8, 16, v11
	s_mov_b32 s14, 0
	s_mov_b32 s34, exec_lo
                                        ; implicit-def: $sgpr31
	v_and_b32_e32 v10, 0xff, v8
	s_delay_alu instid0(VALU_DEP_1)
	v_cmpx_lt_i16_e32 0x7f, v10
	s_xor_b32 s34, exec_lo, s34
	s_cbranch_execnz .LBB2_3789
; %bb.3451:                             ;   in Loop: Header=BB2_3273 Depth=3
	s_or_saveexec_b32 s34, s34
	v_mov_b32_e32 v9, s31
	s_xor_b32 exec_lo, exec_lo, s34
	s_cbranch_execnz .LBB2_3792
.LBB2_3452:                             ;   in Loop: Header=BB2_3273 Depth=3
	s_or_b32 exec_lo, exec_lo, s34
	s_and_saveexec_b32 s31, s14
	s_cbranch_execz .LBB2_3454
.LBB2_3453:                             ;   in Loop: Header=BB2_3273 Depth=3
	v_bfe_u32 v9, v11, 16, 2
	s_delay_alu instid0(VALU_DEP_1) | instskip(NEXT) | instid1(VALU_DEP_1)
	v_clz_i32_u32_e32 v10, v9
	v_min_u32_e32 v10, 32, v10
	s_delay_alu instid0(VALU_DEP_1) | instskip(SKIP_1) | instid1(VALU_DEP_2)
	v_subrev_nc_u32_e32 v135, 29, v10
	v_sub_nc_u32_e32 v10, 30, v10
	v_lshlrev_b32_e32 v8, v135, v8
	v_bfe_u32 v135, v11, 18, 5
	s_delay_alu instid0(VALU_DEP_2) | instskip(NEXT) | instid1(VALU_DEP_2)
	v_and_b32_e32 v8, 3, v8
	v_cmp_eq_u32_e32 vcc_lo, 0, v135
	v_dual_cndmask_b32 v10, v135, v10 :: v_dual_lshlrev_b32 v147, 8, v11
	s_delay_alu instid0(VALU_DEP_1) | instskip(NEXT) | instid1(VALU_DEP_2)
	v_dual_cndmask_b32 v8, v9, v8 :: v_dual_and_b32 v9, 0x80000000, v147
	v_lshl_add_u32 v10, v10, 23, 0x37800000
	s_delay_alu instid0(VALU_DEP_2) | instskip(NEXT) | instid1(VALU_DEP_1)
	v_lshlrev_b32_e32 v8, 21, v8
	v_or3_b32 v9, v9, v10, v8
.LBB2_3454:                             ;   in Loop: Header=BB2_3273 Depth=3
	s_or_b32 exec_lo, exec_lo, s31
	s_delay_alu instid0(VALU_DEP_1) | instskip(SKIP_1) | instid1(VALU_DEP_1)
	v_dual_mul_f32 v8, s15, v9 :: v_dual_mov_b32 v135, 0x80
	s_mov_b32 s31, exec_lo
	v_and_b32_e32 v9, 0x7f800000, v8
	s_delay_alu instid0(VALU_DEP_1)
	v_cmpx_ne_u32_e32 0x7f800000, v9
	s_cbranch_execz .LBB2_3462
; %bb.3455:                             ;   in Loop: Header=BB2_3273 Depth=3
	v_mov_b32_e32 v135, 0
	s_mov_b32 s34, exec_lo
	v_cmpx_ne_u32_e32 0, v8
	s_cbranch_execz .LBB2_3461
; %bb.3456:                             ;   in Loop: Header=BB2_3273 Depth=3
	v_bfe_u32 v9, v8, 23, 8
	s_delay_alu instid0(VALU_DEP_1) | instskip(SKIP_1) | instid1(VALU_DEP_2)
	v_sub_nc_u32_e32 v135, 0x70, v9
	v_cmp_gt_u32_e32 vcc_lo, 0x71, v9
	v_dual_cndmask_b32 v135, 0, v135 :: v_dual_and_b32 v10, 0x7fffff, v8
	s_delay_alu instid0(VALU_DEP_1) | instskip(SKIP_2) | instid1(VALU_DEP_4)
	v_or_b32_e32 v147, 0x800000, v10
	v_cmp_eq_u32_e32 vcc_lo, 0, v9
	v_add_nc_u32_e32 v9, 0xffffff91, v9
	v_cndmask_b32_e64 v135, v135, 0x6f, vcc_lo
	s_delay_alu instid0(VALU_DEP_4) | instskip(NEXT) | instid1(VALU_DEP_3)
	v_cndmask_b32_e32 v10, v147, v10, vcc_lo
	v_cndmask_b32_e64 v9, v9, 0xffffff92, vcc_lo
	s_delay_alu instid0(VALU_DEP_3) | instskip(NEXT) | instid1(VALU_DEP_3)
	v_lshl_add_u32 v147, 0x200000, v135, -1
	v_lshrrev_b32_e32 v166, v135, v10
	v_lshlrev_b32_e64 v176, v135, 0x100000
	s_delay_alu instid0(VALU_DEP_4) | instskip(NEXT) | instid1(VALU_DEP_4)
	v_add_nc_u32_e32 v135, v135, v9
	v_and_b32_e32 v10, v147, v10
	s_delay_alu instid0(VALU_DEP_4) | instskip(NEXT) | instid1(VALU_DEP_2)
	v_bfe_u32 v167, v166, 21, 1
	v_cmp_eq_u32_e64 s14, v10, v176
	s_delay_alu instid0(VALU_DEP_2) | instskip(NEXT) | instid1(VALU_DEP_1)
	v_add_nc_u32_e32 v147, -1, v167
	v_cndmask_b32_e64 v10, 0, v147, s14
	v_lshrrev_b32_e32 v147, 23, v166
	s_mov_b32 s14, exec_lo
	s_delay_alu instid0(VALU_DEP_2) | instskip(NEXT) | instid1(VALU_DEP_2)
	v_add_nc_u32_e32 v10, v10, v166
	v_xor_b32_e32 v147, 1, v147
	s_delay_alu instid0(VALU_DEP_2) | instskip(NEXT) | instid1(VALU_DEP_1)
	v_and_b32_e32 v9, 0x1fffff, v10
	v_add_nc_u32_e32 v10, v9, v166
                                        ; implicit-def: $vgpr9
	s_delay_alu instid0(VALU_DEP_3)
	v_cmpx_ne_u32_e64 v135, v147
	s_xor_b32 s14, exec_lo, s14
; %bb.3457:                             ;   in Loop: Header=BB2_3273 Depth=3
	s_delay_alu instid0(VALU_DEP_2) | instskip(SKIP_2) | instid1(VALU_DEP_2)
	v_cmp_lt_u32_e32 vcc_lo, 0xffffff, v10
	v_sub_nc_u32_e32 v9, v135, v147
	v_cndmask_b32_e64 v135, 0, 1, vcc_lo
	v_add_co_ci_u32_e32 v9, vcc_lo, 0, v9, vcc_lo
	s_delay_alu instid0(VALU_DEP_2)
	v_lshrrev_b32_e32 v10, v135, v10
; %bb.3458:                             ;   in Loop: Header=BB2_3273 Depth=3
	s_and_not1_saveexec_b32 s14, s14
; %bb.3459:                             ;   in Loop: Header=BB2_3273 Depth=3
	s_delay_alu instid0(VALU_DEP_1)
	v_bfe_u32 v9, v10, 23, 1
; %bb.3460:                             ;   in Loop: Header=BB2_3273 Depth=3
	s_or_b32 exec_lo, exec_lo, s14
	v_lshrrev_b32_e32 v10, 21, v10
	s_delay_alu instid0(VALU_DEP_2) | instskip(SKIP_2) | instid1(VALU_DEP_3)
	v_min_i32_e32 v135, 31, v9
	v_cmp_gt_i32_e32 vcc_lo, 32, v9
	v_lshrrev_b32_e32 v8, 24, v8
	v_dual_cndmask_b32 v10, 3, v10 :: v_dual_lshlrev_b32 v135, 2, v135
	s_delay_alu instid0(VALU_DEP_2) | instskip(NEXT) | instid1(VALU_DEP_2)
	v_and_b32_e32 v8, 0x80, v8
	v_and_b32_e32 v135, 0xfc, v135
	s_delay_alu instid0(VALU_DEP_3) | instskip(SKIP_1) | instid1(VALU_DEP_2)
	v_and_b32_e32 v147, 3, v10
	v_or_b32_e32 v9, v9, v10
	v_or3_b32 v8, v135, v8, v147
	s_delay_alu instid0(VALU_DEP_2) | instskip(NEXT) | instid1(VALU_DEP_2)
	v_cmp_ne_u32_e32 vcc_lo, 0, v9
	v_cndmask_b32_e32 v135, 0, v8, vcc_lo
.LBB2_3461:                             ;   in Loop: Header=BB2_3273 Depth=3
	s_or_b32 exec_lo, exec_lo, s34
.LBB2_3462:                             ;   in Loop: Header=BB2_3273 Depth=3
	s_delay_alu instid0(SALU_CYCLE_1) | instskip(SKIP_3) | instid1(VALU_DEP_1)
	s_or_b32 exec_lo, exec_lo, s31
	v_lshrrev_b32_e32 v8, 24, v11
	s_mov_b32 s14, 0
	s_mov_b32 s34, exec_lo
                                        ; implicit-def: $sgpr31
	v_cmpx_lt_i16_e32 0x7f, v8
	s_xor_b32 s34, exec_lo, s34
	s_cbranch_execnz .LBB2_3793
; %bb.3463:                             ;   in Loop: Header=BB2_3273 Depth=3
	s_or_saveexec_b32 s34, s34
	v_mov_b32_e32 v9, s31
	s_xor_b32 exec_lo, exec_lo, s34
	s_cbranch_execnz .LBB2_3796
.LBB2_3464:                             ;   in Loop: Header=BB2_3273 Depth=3
	s_or_b32 exec_lo, exec_lo, s34
	s_and_saveexec_b32 s31, s14
	s_cbranch_execz .LBB2_3466
.LBB2_3465:                             ;   in Loop: Header=BB2_3273 Depth=3
	v_bfe_u32 v9, v11, 24, 2
	s_delay_alu instid0(VALU_DEP_1) | instskip(NEXT) | instid1(VALU_DEP_1)
	v_clz_i32_u32_e32 v10, v9
	v_min_u32_e32 v10, 32, v10
	s_delay_alu instid0(VALU_DEP_1) | instskip(SKIP_1) | instid1(VALU_DEP_2)
	v_subrev_nc_u32_e32 v147, 29, v10
	v_sub_nc_u32_e32 v10, 30, v10
	v_lshlrev_b32_e32 v8, v147, v8
	v_bfe_u32 v147, v11, 26, 5
	s_delay_alu instid0(VALU_DEP_2) | instskip(NEXT) | instid1(VALU_DEP_2)
	v_and_b32_e32 v8, 3, v8
	v_cmp_eq_u32_e32 vcc_lo, 0, v147
	v_cndmask_b32_e32 v10, v147, v10, vcc_lo
	s_delay_alu instid0(VALU_DEP_3) | instskip(NEXT) | instid1(VALU_DEP_2)
	v_dual_cndmask_b32 v8, v9, v8 :: v_dual_and_b32 v9, 0x80000000, v11
	v_lshl_add_u32 v10, v10, 23, 0x37800000
	s_delay_alu instid0(VALU_DEP_2) | instskip(NEXT) | instid1(VALU_DEP_1)
	v_lshlrev_b32_e32 v8, 21, v8
	v_or3_b32 v9, v9, v10, v8
.LBB2_3466:                             ;   in Loop: Header=BB2_3273 Depth=3
	s_or_b32 exec_lo, exec_lo, s31
	s_delay_alu instid0(VALU_DEP_1) | instskip(SKIP_1) | instid1(VALU_DEP_1)
	v_dual_mul_f32 v8, s15, v9 :: v_dual_mov_b32 v147, 0x8000
	s_mov_b32 s15, exec_lo
	v_and_b32_e32 v9, 0x7f800000, v8
	s_delay_alu instid0(VALU_DEP_1)
	v_cmpx_ne_u32_e32 0x7f800000, v9
	s_cbranch_execz .LBB2_3474
; %bb.3467:                             ;   in Loop: Header=BB2_3273 Depth=3
	v_mov_b32_e32 v147, 0
	s_mov_b32 s31, exec_lo
	v_cmpx_ne_u32_e32 0, v8
	s_cbranch_execz .LBB2_3473
; %bb.3468:                             ;   in Loop: Header=BB2_3273 Depth=3
	v_bfe_u32 v9, v8, 23, 8
	s_delay_alu instid0(VALU_DEP_1) | instskip(SKIP_1) | instid1(VALU_DEP_2)
	v_sub_nc_u32_e32 v11, 0x70, v9
	v_cmp_gt_u32_e32 vcc_lo, 0x71, v9
	v_dual_cndmask_b32 v11, 0, v11 :: v_dual_and_b32 v10, 0x7fffff, v8
	s_delay_alu instid0(VALU_DEP_1) | instskip(SKIP_2) | instid1(VALU_DEP_4)
	v_or_b32_e32 v147, 0x800000, v10
	v_cmp_eq_u32_e32 vcc_lo, 0, v9
	v_add_nc_u32_e32 v9, 0xffffff91, v9
	v_cndmask_b32_e64 v11, v11, 0x6f, vcc_lo
	s_delay_alu instid0(VALU_DEP_4) | instskip(NEXT) | instid1(VALU_DEP_3)
	v_cndmask_b32_e32 v10, v147, v10, vcc_lo
	v_cndmask_b32_e64 v9, v9, 0xffffff92, vcc_lo
	s_delay_alu instid0(VALU_DEP_3) | instskip(NEXT) | instid1(VALU_DEP_3)
	v_lshl_add_u32 v147, 0x200000, v11, -1
	v_lshrrev_b32_e32 v166, v11, v10
	v_lshlrev_b32_e64 v176, v11, 0x100000
	s_delay_alu instid0(VALU_DEP_4) | instskip(NEXT) | instid1(VALU_DEP_4)
	v_add_nc_u32_e32 v11, v11, v9
	v_and_b32_e32 v10, v147, v10
	s_delay_alu instid0(VALU_DEP_4) | instskip(NEXT) | instid1(VALU_DEP_2)
	v_bfe_u32 v167, v166, 21, 1
	v_cmp_eq_u32_e64 s14, v10, v176
	s_delay_alu instid0(VALU_DEP_2) | instskip(NEXT) | instid1(VALU_DEP_1)
	v_add_nc_u32_e32 v147, -1, v167
	v_cndmask_b32_e64 v10, 0, v147, s14
	v_lshrrev_b32_e32 v147, 23, v166
	s_mov_b32 s14, exec_lo
	s_delay_alu instid0(VALU_DEP_2) | instskip(NEXT) | instid1(VALU_DEP_2)
	v_add_nc_u32_e32 v10, v10, v166
	v_xor_b32_e32 v147, 1, v147
	s_delay_alu instid0(VALU_DEP_2) | instskip(NEXT) | instid1(VALU_DEP_1)
	v_and_b32_e32 v9, 0x1fffff, v10
	v_add_nc_u32_e32 v10, v9, v166
                                        ; implicit-def: $vgpr9
	s_delay_alu instid0(VALU_DEP_3)
	v_cmpx_ne_u32_e64 v11, v147
	s_xor_b32 s14, exec_lo, s14
; %bb.3469:                             ;   in Loop: Header=BB2_3273 Depth=3
	s_delay_alu instid0(VALU_DEP_2) | instskip(SKIP_2) | instid1(VALU_DEP_2)
	v_cmp_lt_u32_e32 vcc_lo, 0xffffff, v10
	v_sub_nc_u32_e32 v9, v11, v147
	v_cndmask_b32_e64 v11, 0, 1, vcc_lo
	v_add_co_ci_u32_e32 v9, vcc_lo, 0, v9, vcc_lo
	s_delay_alu instid0(VALU_DEP_2)
	v_lshrrev_b32_e32 v10, v11, v10
; %bb.3470:                             ;   in Loop: Header=BB2_3273 Depth=3
	s_and_not1_saveexec_b32 s14, s14
; %bb.3471:                             ;   in Loop: Header=BB2_3273 Depth=3
	s_delay_alu instid0(VALU_DEP_1)
	v_bfe_u32 v9, v10, 23, 1
; %bb.3472:                             ;   in Loop: Header=BB2_3273 Depth=3
	s_or_b32 exec_lo, exec_lo, s14
	v_lshrrev_b32_e32 v10, 21, v10
	s_delay_alu instid0(VALU_DEP_2) | instskip(SKIP_2) | instid1(VALU_DEP_3)
	v_min_i32_e32 v11, 31, v9
	v_cmp_gt_i32_e32 vcc_lo, 32, v9
	v_lshrrev_b32_e32 v8, 24, v8
	v_dual_cndmask_b32 v10, 3, v10 :: v_dual_lshlrev_b32 v11, 2, v11
	s_delay_alu instid0(VALU_DEP_2) | instskip(NEXT) | instid1(VALU_DEP_2)
	v_and_b32_e32 v8, 0x80, v8
	v_and_b32_e32 v11, 0xfc, v11
	s_delay_alu instid0(VALU_DEP_3) | instskip(SKIP_1) | instid1(VALU_DEP_2)
	v_and_b32_e32 v147, 3, v10
	v_or_b32_e32 v9, v9, v10
	v_or3_b32 v8, v8, v11, v147
	s_delay_alu instid0(VALU_DEP_2) | instskip(NEXT) | instid1(VALU_DEP_2)
	v_cmp_ne_u32_e32 vcc_lo, 0, v9
	v_lshlrev_b32_e32 v8, 8, v8
	s_delay_alu instid0(VALU_DEP_1)
	v_cndmask_b32_e32 v147, 0, v8, vcc_lo
.LBB2_3473:                             ;   in Loop: Header=BB2_3273 Depth=3
	s_or_b32 exec_lo, exec_lo, s31
.LBB2_3474:                             ;   in Loop: Header=BB2_3273 Depth=3
	s_delay_alu instid0(SALU_CYCLE_1) | instskip(SKIP_4) | instid1(VALU_DEP_1)
	s_or_b32 exec_lo, exec_lo, s15
	global_load_b128 v[8:11], v[66:67], off slc dlc
	v_and_b32_e32 v167, 0xff, v134
	s_mov_b32 s14, 0
	s_mov_b32 s31, exec_lo
                                        ; implicit-def: $sgpr15
	v_cmpx_lt_i16_e64 0x7f, v167
	s_xor_b32 s31, exec_lo, s31
	s_cbranch_execnz .LBB2_3797
; %bb.3475:                             ;   in Loop: Header=BB2_3273 Depth=3
	s_or_saveexec_b32 s31, s31
	v_mov_b32_e32 v166, s15
	s_xor_b32 exec_lo, exec_lo, s31
	s_cbranch_execnz .LBB2_3800
.LBB2_3476:                             ;   in Loop: Header=BB2_3273 Depth=3
	s_or_b32 exec_lo, exec_lo, s31
	s_and_saveexec_b32 s15, s14
	s_cbranch_execz .LBB2_3478
.LBB2_3477:                             ;   in Loop: Header=BB2_3273 Depth=3
	v_bfe_u32 v177, v134, 2, 5
	s_delay_alu instid0(VALU_DEP_1) | instskip(SKIP_1) | instid1(VALU_DEP_1)
	v_cmp_eq_u32_e32 vcc_lo, 0, v177
	v_and_b32_e32 v166, 3, v134
	v_clz_i32_u32_e32 v167, v166
	s_delay_alu instid0(VALU_DEP_1) | instskip(NEXT) | instid1(VALU_DEP_1)
	v_min_u32_e32 v167, 32, v167
	v_subrev_nc_u32_e32 v176, 29, v167
	v_sub_nc_u32_e32 v167, 30, v167
	s_delay_alu instid0(VALU_DEP_1) | instskip(SKIP_1) | instid1(VALU_DEP_2)
	v_dual_cndmask_b32 v167, v177, v167 :: v_dual_lshlrev_b32 v176, v176, v134
	v_lshlrev_b32_e32 v134, 24, v134
	v_and_b32_e32 v176, 3, v176
	s_delay_alu instid0(VALU_DEP_3) | instskip(NEXT) | instid1(VALU_DEP_3)
	v_lshl_add_u32 v167, v167, 23, 0x37800000
	v_and_b32_e32 v134, 0x80000000, v134
	s_delay_alu instid0(VALU_DEP_3) | instskip(NEXT) | instid1(VALU_DEP_1)
	v_cndmask_b32_e32 v166, v166, v176, vcc_lo
	v_lshlrev_b32_e32 v166, 21, v166
	s_delay_alu instid0(VALU_DEP_1)
	v_or3_b32 v166, v134, v167, v166
.LBB2_3478:                             ;   in Loop: Header=BB2_3273 Depth=3
	s_or_b32 exec_lo, exec_lo, s15
	s_waitcnt vmcnt(0)
	v_and_b32_e32 v167, 0xff, v8
	s_mov_b32 s14, 0
	s_mov_b32 s31, exec_lo
                                        ; implicit-def: $sgpr15
	s_delay_alu instid0(VALU_DEP_1)
	v_cmpx_lt_i16_e64 0x7f, v167
	s_xor_b32 s31, exec_lo, s31
	s_cbranch_execnz .LBB2_3801
; %bb.3479:                             ;   in Loop: Header=BB2_3273 Depth=3
	s_or_saveexec_b32 s31, s31
	v_mov_b32_e32 v134, s15
	s_xor_b32 exec_lo, exec_lo, s31
	s_cbranch_execnz .LBB2_3804
.LBB2_3480:                             ;   in Loop: Header=BB2_3273 Depth=3
	s_or_b32 exec_lo, exec_lo, s31
	s_and_saveexec_b32 s15, s14
	s_cbranch_execz .LBB2_3482
.LBB2_3481:                             ;   in Loop: Header=BB2_3273 Depth=3
	v_bfe_u32 v177, v8, 2, 5
	v_lshlrev_b32_e32 v178, 24, v8
	s_delay_alu instid0(VALU_DEP_2) | instskip(SKIP_1) | instid1(VALU_DEP_1)
	v_cmp_eq_u32_e32 vcc_lo, 0, v177
	v_and_b32_e32 v134, 3, v8
	v_clz_i32_u32_e32 v167, v134
	s_delay_alu instid0(VALU_DEP_1) | instskip(NEXT) | instid1(VALU_DEP_1)
	v_min_u32_e32 v167, 32, v167
	v_subrev_nc_u32_e32 v176, 29, v167
	v_sub_nc_u32_e32 v167, 30, v167
	s_delay_alu instid0(VALU_DEP_1) | instskip(NEXT) | instid1(VALU_DEP_1)
	v_dual_cndmask_b32 v167, v177, v167 :: v_dual_lshlrev_b32 v176, v176, v8
	v_and_b32_e32 v176, 3, v176
	s_delay_alu instid0(VALU_DEP_2) | instskip(NEXT) | instid1(VALU_DEP_2)
	v_lshl_add_u32 v167, v167, 23, 0x37800000
	v_cndmask_b32_e32 v134, v134, v176, vcc_lo
	v_and_b32_e32 v176, 0x80000000, v178
	s_delay_alu instid0(VALU_DEP_2) | instskip(NEXT) | instid1(VALU_DEP_1)
	v_lshlrev_b32_e32 v134, 21, v134
	v_or3_b32 v134, v176, v167, v134
.LBB2_3482:                             ;   in Loop: Header=BB2_3273 Depth=3
	s_or_b32 exec_lo, exec_lo, s15
	s_delay_alu instid0(VALU_DEP_1) | instskip(NEXT) | instid1(VALU_DEP_1)
	v_add_f32_e32 v166, v166, v134
	v_and_b32_e32 v134, 0x7f800000, v166
	s_delay_alu instid0(VALU_DEP_1)
	v_cmp_ne_u32_e32 vcc_lo, 0x7f800000, v134
	v_mov_b32_e32 v134, 0x80
	s_and_saveexec_b32 s15, vcc_lo
	s_cbranch_execz .LBB2_3490
; %bb.3483:                             ;   in Loop: Header=BB2_3273 Depth=3
	v_mov_b32_e32 v134, 0
	s_mov_b32 s31, exec_lo
	v_cmpx_ne_u32_e32 0, v166
	s_cbranch_execz .LBB2_3489
; %bb.3484:                             ;   in Loop: Header=BB2_3273 Depth=3
	v_bfe_u32 v134, v166, 23, 8
	s_delay_alu instid0(VALU_DEP_1) | instskip(SKIP_1) | instid1(VALU_DEP_2)
	v_sub_nc_u32_e32 v176, 0x70, v134
	v_cmp_gt_u32_e32 vcc_lo, 0x71, v134
	v_dual_cndmask_b32 v176, 0, v176 :: v_dual_and_b32 v167, 0x7fffff, v166
	s_delay_alu instid0(VALU_DEP_1) | instskip(SKIP_2) | instid1(VALU_DEP_4)
	v_or_b32_e32 v177, 0x800000, v167
	v_cmp_eq_u32_e32 vcc_lo, 0, v134
	v_add_nc_u32_e32 v134, 0xffffff91, v134
	v_cndmask_b32_e64 v176, v176, 0x6f, vcc_lo
	s_delay_alu instid0(VALU_DEP_4) | instskip(NEXT) | instid1(VALU_DEP_3)
	v_cndmask_b32_e32 v167, v177, v167, vcc_lo
	v_cndmask_b32_e64 v134, v134, 0xffffff92, vcc_lo
	s_delay_alu instid0(VALU_DEP_3) | instskip(NEXT) | instid1(VALU_DEP_3)
	v_lshl_add_u32 v177, 0x200000, v176, -1
	v_lshrrev_b32_e32 v178, v176, v167
	v_lshlrev_b32_e64 v180, v176, 0x100000
	s_delay_alu instid0(VALU_DEP_4) | instskip(NEXT) | instid1(VALU_DEP_4)
	v_add_nc_u32_e32 v176, v176, v134
	v_and_b32_e32 v167, v177, v167
	s_delay_alu instid0(VALU_DEP_4) | instskip(NEXT) | instid1(VALU_DEP_2)
	v_bfe_u32 v179, v178, 21, 1
	v_cmp_eq_u32_e64 s14, v167, v180
	s_delay_alu instid0(VALU_DEP_2) | instskip(NEXT) | instid1(VALU_DEP_1)
	v_add_nc_u32_e32 v177, -1, v179
	v_cndmask_b32_e64 v167, 0, v177, s14
	v_lshrrev_b32_e32 v177, 23, v178
	s_mov_b32 s14, exec_lo
	s_delay_alu instid0(VALU_DEP_2) | instskip(NEXT) | instid1(VALU_DEP_2)
	v_add_nc_u32_e32 v167, v167, v178
	v_xor_b32_e32 v177, 1, v177
	s_delay_alu instid0(VALU_DEP_2) | instskip(NEXT) | instid1(VALU_DEP_1)
	v_and_b32_e32 v134, 0x1fffff, v167
	v_add_nc_u32_e32 v167, v134, v178
                                        ; implicit-def: $vgpr134
	s_delay_alu instid0(VALU_DEP_3)
	v_cmpx_ne_u32_e64 v176, v177
	s_xor_b32 s14, exec_lo, s14
; %bb.3485:                             ;   in Loop: Header=BB2_3273 Depth=3
	s_delay_alu instid0(VALU_DEP_2) | instskip(SKIP_2) | instid1(VALU_DEP_2)
	v_cmp_lt_u32_e32 vcc_lo, 0xffffff, v167
	v_sub_nc_u32_e32 v134, v176, v177
	v_cndmask_b32_e64 v176, 0, 1, vcc_lo
	v_add_co_ci_u32_e32 v134, vcc_lo, 0, v134, vcc_lo
	s_delay_alu instid0(VALU_DEP_2)
	v_lshrrev_b32_e32 v167, v176, v167
; %bb.3486:                             ;   in Loop: Header=BB2_3273 Depth=3
	s_and_not1_saveexec_b32 s14, s14
; %bb.3487:                             ;   in Loop: Header=BB2_3273 Depth=3
	s_delay_alu instid0(VALU_DEP_1)
	v_bfe_u32 v134, v167, 23, 1
; %bb.3488:                             ;   in Loop: Header=BB2_3273 Depth=3
	s_or_b32 exec_lo, exec_lo, s14
	v_lshrrev_b32_e32 v167, 21, v167
	s_delay_alu instid0(VALU_DEP_2) | instskip(SKIP_2) | instid1(VALU_DEP_2)
	v_cmp_gt_i32_e32 vcc_lo, 32, v134
	v_lshrrev_b32_e32 v166, 24, v166
	v_min_i32_e32 v176, 31, v134
	v_dual_cndmask_b32 v167, 3, v167 :: v_dual_and_b32 v166, 0x80, v166
	s_delay_alu instid0(VALU_DEP_2) | instskip(NEXT) | instid1(VALU_DEP_2)
	v_lshlrev_b32_e32 v176, 2, v176
	v_or_b32_e32 v134, v134, v167
	s_delay_alu instid0(VALU_DEP_1) | instskip(SKIP_1) | instid1(VALU_DEP_1)
	v_cmp_ne_u32_e32 vcc_lo, 0, v134
	v_and_b32_e32 v177, 3, v167
	v_or3_b32 v166, v176, v166, v177
	s_delay_alu instid0(VALU_DEP_1)
	v_cndmask_b32_e32 v134, 0, v166, vcc_lo
.LBB2_3489:                             ;   in Loop: Header=BB2_3273 Depth=3
	s_or_b32 exec_lo, exec_lo, s31
.LBB2_3490:                             ;   in Loop: Header=BB2_3273 Depth=3
	s_delay_alu instid0(SALU_CYCLE_1) | instskip(SKIP_3) | instid1(VALU_DEP_1)
	s_or_b32 exec_lo, exec_lo, s15
	v_and_b32_e32 v167, 0xff, v146
	s_mov_b32 s14, 0
	s_mov_b32 s31, exec_lo
                                        ; implicit-def: $sgpr15
	v_cmpx_lt_i16_e64 0x7f, v167
	s_xor_b32 s31, exec_lo, s31
	s_cbranch_execnz .LBB2_3805
; %bb.3491:                             ;   in Loop: Header=BB2_3273 Depth=3
	s_or_saveexec_b32 s31, s31
	v_mov_b32_e32 v166, s15
	s_xor_b32 exec_lo, exec_lo, s31
	s_cbranch_execnz .LBB2_3808
.LBB2_3492:                             ;   in Loop: Header=BB2_3273 Depth=3
	s_or_b32 exec_lo, exec_lo, s31
	s_and_saveexec_b32 s15, s14
	s_cbranch_execz .LBB2_3494
.LBB2_3493:                             ;   in Loop: Header=BB2_3273 Depth=3
	v_bfe_u32 v177, v146, 2, 5
	s_delay_alu instid0(VALU_DEP_1) | instskip(SKIP_1) | instid1(VALU_DEP_1)
	v_cmp_eq_u32_e32 vcc_lo, 0, v177
	v_and_b32_e32 v166, 3, v146
	v_clz_i32_u32_e32 v167, v166
	s_delay_alu instid0(VALU_DEP_1) | instskip(NEXT) | instid1(VALU_DEP_1)
	v_min_u32_e32 v167, 32, v167
	v_subrev_nc_u32_e32 v176, 29, v167
	v_sub_nc_u32_e32 v167, 30, v167
	s_delay_alu instid0(VALU_DEP_1) | instskip(SKIP_1) | instid1(VALU_DEP_2)
	v_dual_cndmask_b32 v167, v177, v167 :: v_dual_lshlrev_b32 v176, v176, v146
	v_lshlrev_b32_e32 v146, 24, v146
	v_and_b32_e32 v176, 3, v176
	s_delay_alu instid0(VALU_DEP_3) | instskip(NEXT) | instid1(VALU_DEP_3)
	v_lshl_add_u32 v167, v167, 23, 0x37800000
	v_and_b32_e32 v146, 0x80000000, v146
	s_delay_alu instid0(VALU_DEP_3) | instskip(NEXT) | instid1(VALU_DEP_1)
	v_cndmask_b32_e32 v166, v166, v176, vcc_lo
	v_lshlrev_b32_e32 v166, 21, v166
	s_delay_alu instid0(VALU_DEP_1)
	v_or3_b32 v166, v146, v167, v166
.LBB2_3494:                             ;   in Loop: Header=BB2_3273 Depth=3
	s_or_b32 exec_lo, exec_lo, s15
	v_lshrrev_b16 v146, 8, v8
	s_mov_b32 s14, 0
	s_mov_b32 s31, exec_lo
                                        ; implicit-def: $sgpr15
	s_delay_alu instid0(VALU_DEP_1)
	v_cmpx_lt_i16_e64 0x7f, v146
	s_xor_b32 s31, exec_lo, s31
	s_cbranch_execnz .LBB2_3809
; %bb.3495:                             ;   in Loop: Header=BB2_3273 Depth=3
	s_or_saveexec_b32 s31, s31
	v_mov_b32_e32 v167, s15
	s_xor_b32 exec_lo, exec_lo, s31
	s_cbranch_execnz .LBB2_3812
.LBB2_3496:                             ;   in Loop: Header=BB2_3273 Depth=3
	s_or_b32 exec_lo, exec_lo, s31
	s_and_saveexec_b32 s15, s14
	s_cbranch_execz .LBB2_3498
.LBB2_3497:                             ;   in Loop: Header=BB2_3273 Depth=3
	v_and_b32_e32 v167, 0xffff, v146
	v_lshlrev_b32_e32 v146, 24, v146
	s_delay_alu instid0(VALU_DEP_2) | instskip(NEXT) | instid1(VALU_DEP_2)
	v_and_b32_e32 v176, 3, v167
	v_and_b32_e32 v146, 0x80000000, v146
	s_delay_alu instid0(VALU_DEP_2) | instskip(NEXT) | instid1(VALU_DEP_1)
	v_clz_i32_u32_e32 v177, v176
	v_min_u32_e32 v177, 32, v177
	s_delay_alu instid0(VALU_DEP_1) | instskip(SKIP_1) | instid1(VALU_DEP_2)
	v_subrev_nc_u32_e32 v178, 29, v177
	v_sub_nc_u32_e32 v177, 30, v177
	v_lshlrev_b32_e32 v178, v178, v167
	v_bfe_u32 v167, v167, 2, 5
	s_delay_alu instid0(VALU_DEP_2) | instskip(NEXT) | instid1(VALU_DEP_2)
	v_and_b32_e32 v178, 3, v178
	v_cmp_eq_u32_e32 vcc_lo, 0, v167
	s_delay_alu instid0(VALU_DEP_2) | instskip(NEXT) | instid1(VALU_DEP_1)
	v_dual_cndmask_b32 v167, v167, v177 :: v_dual_cndmask_b32 v176, v176, v178
	v_lshl_add_u32 v167, v167, 23, 0x37800000
	s_delay_alu instid0(VALU_DEP_2) | instskip(NEXT) | instid1(VALU_DEP_1)
	v_lshlrev_b32_e32 v176, 21, v176
	v_or3_b32 v167, v146, v167, v176
.LBB2_3498:                             ;   in Loop: Header=BB2_3273 Depth=3
	s_or_b32 exec_lo, exec_lo, s15
	s_delay_alu instid0(VALU_DEP_1) | instskip(NEXT) | instid1(VALU_DEP_1)
	v_add_f32_e32 v166, v166, v167
	v_and_b32_e32 v146, 0x7f800000, v166
	s_delay_alu instid0(VALU_DEP_1)
	v_cmp_ne_u32_e32 vcc_lo, 0x7f800000, v146
	v_mov_b32_e32 v146, 0x80
	s_and_saveexec_b32 s15, vcc_lo
	s_cbranch_execz .LBB2_3506
; %bb.3499:                             ;   in Loop: Header=BB2_3273 Depth=3
	v_mov_b32_e32 v146, 0
	s_mov_b32 s31, exec_lo
	v_cmpx_ne_u32_e32 0, v166
	s_cbranch_execz .LBB2_3505
; %bb.3500:                             ;   in Loop: Header=BB2_3273 Depth=3
	v_bfe_u32 v146, v166, 23, 8
	s_delay_alu instid0(VALU_DEP_1) | instskip(SKIP_1) | instid1(VALU_DEP_2)
	v_sub_nc_u32_e32 v176, 0x70, v146
	v_cmp_gt_u32_e32 vcc_lo, 0x71, v146
	v_dual_cndmask_b32 v176, 0, v176 :: v_dual_and_b32 v167, 0x7fffff, v166
	s_delay_alu instid0(VALU_DEP_1) | instskip(SKIP_2) | instid1(VALU_DEP_4)
	v_or_b32_e32 v177, 0x800000, v167
	v_cmp_eq_u32_e32 vcc_lo, 0, v146
	v_add_nc_u32_e32 v146, 0xffffff91, v146
	v_cndmask_b32_e64 v176, v176, 0x6f, vcc_lo
	s_delay_alu instid0(VALU_DEP_4) | instskip(NEXT) | instid1(VALU_DEP_3)
	v_cndmask_b32_e32 v167, v177, v167, vcc_lo
	v_cndmask_b32_e64 v146, v146, 0xffffff92, vcc_lo
	s_delay_alu instid0(VALU_DEP_3) | instskip(NEXT) | instid1(VALU_DEP_3)
	v_lshl_add_u32 v177, 0x200000, v176, -1
	v_lshrrev_b32_e32 v178, v176, v167
	v_lshlrev_b32_e64 v180, v176, 0x100000
	s_delay_alu instid0(VALU_DEP_4) | instskip(NEXT) | instid1(VALU_DEP_4)
	v_add_nc_u32_e32 v176, v176, v146
	v_and_b32_e32 v167, v177, v167
	s_delay_alu instid0(VALU_DEP_4) | instskip(NEXT) | instid1(VALU_DEP_2)
	v_bfe_u32 v179, v178, 21, 1
	v_cmp_eq_u32_e64 s14, v167, v180
	s_delay_alu instid0(VALU_DEP_2) | instskip(NEXT) | instid1(VALU_DEP_1)
	v_add_nc_u32_e32 v177, -1, v179
	v_cndmask_b32_e64 v167, 0, v177, s14
	v_lshrrev_b32_e32 v177, 23, v178
	s_mov_b32 s14, exec_lo
	s_delay_alu instid0(VALU_DEP_2) | instskip(NEXT) | instid1(VALU_DEP_2)
	v_add_nc_u32_e32 v167, v167, v178
	v_xor_b32_e32 v177, 1, v177
	s_delay_alu instid0(VALU_DEP_2) | instskip(NEXT) | instid1(VALU_DEP_1)
	v_and_b32_e32 v146, 0x1fffff, v167
	v_add_nc_u32_e32 v167, v146, v178
                                        ; implicit-def: $vgpr146
	s_delay_alu instid0(VALU_DEP_3)
	v_cmpx_ne_u32_e64 v176, v177
	s_xor_b32 s14, exec_lo, s14
; %bb.3501:                             ;   in Loop: Header=BB2_3273 Depth=3
	s_delay_alu instid0(VALU_DEP_2) | instskip(SKIP_2) | instid1(VALU_DEP_2)
	v_cmp_lt_u32_e32 vcc_lo, 0xffffff, v167
	v_sub_nc_u32_e32 v146, v176, v177
	v_cndmask_b32_e64 v176, 0, 1, vcc_lo
	v_add_co_ci_u32_e32 v146, vcc_lo, 0, v146, vcc_lo
	s_delay_alu instid0(VALU_DEP_2)
	v_lshrrev_b32_e32 v167, v176, v167
; %bb.3502:                             ;   in Loop: Header=BB2_3273 Depth=3
	s_and_not1_saveexec_b32 s14, s14
; %bb.3503:                             ;   in Loop: Header=BB2_3273 Depth=3
	s_delay_alu instid0(VALU_DEP_1)
	v_bfe_u32 v146, v167, 23, 1
; %bb.3504:                             ;   in Loop: Header=BB2_3273 Depth=3
	s_or_b32 exec_lo, exec_lo, s14
	v_lshrrev_b32_e32 v167, 21, v167
	s_delay_alu instid0(VALU_DEP_2) | instskip(SKIP_2) | instid1(VALU_DEP_2)
	v_cmp_gt_i32_e32 vcc_lo, 32, v146
	v_lshrrev_b32_e32 v166, 24, v166
	v_min_i32_e32 v176, 31, v146
	v_dual_cndmask_b32 v167, 3, v167 :: v_dual_and_b32 v166, 0x80, v166
	s_delay_alu instid0(VALU_DEP_2) | instskip(NEXT) | instid1(VALU_DEP_2)
	v_lshlrev_b32_e32 v176, 2, v176
	v_or_b32_e32 v146, v146, v167
	s_delay_alu instid0(VALU_DEP_1) | instskip(SKIP_1) | instid1(VALU_DEP_1)
	v_cmp_ne_u32_e32 vcc_lo, 0, v146
	v_and_b32_e32 v177, 3, v167
	v_or3_b32 v166, v176, v166, v177
	s_delay_alu instid0(VALU_DEP_1)
	v_cndmask_b32_e32 v146, 0, v166, vcc_lo
.LBB2_3505:                             ;   in Loop: Header=BB2_3273 Depth=3
	s_or_b32 exec_lo, exec_lo, s31
.LBB2_3506:                             ;   in Loop: Header=BB2_3273 Depth=3
	s_delay_alu instid0(SALU_CYCLE_1) | instskip(SKIP_3) | instid1(VALU_DEP_1)
	s_or_b32 exec_lo, exec_lo, s15
	v_and_b32_e32 v167, 0xff, v160
	s_mov_b32 s14, 0
	s_mov_b32 s31, exec_lo
                                        ; implicit-def: $sgpr15
	v_cmpx_lt_i16_e64 0x7f, v167
	s_xor_b32 s31, exec_lo, s31
	s_cbranch_execnz .LBB2_3813
; %bb.3507:                             ;   in Loop: Header=BB2_3273 Depth=3
	s_or_saveexec_b32 s31, s31
	v_mov_b32_e32 v166, s15
	s_xor_b32 exec_lo, exec_lo, s31
	s_cbranch_execnz .LBB2_3816
.LBB2_3508:                             ;   in Loop: Header=BB2_3273 Depth=3
	s_or_b32 exec_lo, exec_lo, s31
	s_and_saveexec_b32 s15, s14
	s_cbranch_execz .LBB2_3510
.LBB2_3509:                             ;   in Loop: Header=BB2_3273 Depth=3
	v_bfe_u32 v177, v160, 2, 5
	s_delay_alu instid0(VALU_DEP_1) | instskip(SKIP_1) | instid1(VALU_DEP_1)
	v_cmp_eq_u32_e32 vcc_lo, 0, v177
	v_and_b32_e32 v166, 3, v160
	v_clz_i32_u32_e32 v167, v166
	s_delay_alu instid0(VALU_DEP_1) | instskip(NEXT) | instid1(VALU_DEP_1)
	v_min_u32_e32 v167, 32, v167
	v_subrev_nc_u32_e32 v176, 29, v167
	v_sub_nc_u32_e32 v167, 30, v167
	s_delay_alu instid0(VALU_DEP_1) | instskip(SKIP_1) | instid1(VALU_DEP_2)
	v_dual_cndmask_b32 v167, v177, v167 :: v_dual_lshlrev_b32 v176, v176, v160
	v_lshlrev_b32_e32 v160, 24, v160
	v_and_b32_e32 v176, 3, v176
	s_delay_alu instid0(VALU_DEP_3) | instskip(NEXT) | instid1(VALU_DEP_3)
	v_lshl_add_u32 v167, v167, 23, 0x37800000
	v_and_b32_e32 v160, 0x80000000, v160
	s_delay_alu instid0(VALU_DEP_3) | instskip(NEXT) | instid1(VALU_DEP_1)
	v_cndmask_b32_e32 v166, v166, v176, vcc_lo
	v_lshlrev_b32_e32 v166, 21, v166
	s_delay_alu instid0(VALU_DEP_1)
	v_or3_b32 v166, v160, v167, v166
.LBB2_3510:                             ;   in Loop: Header=BB2_3273 Depth=3
	s_or_b32 exec_lo, exec_lo, s15
	v_lshrrev_b32_e32 v160, 16, v8
	s_mov_b32 s14, 0
	s_mov_b32 s31, exec_lo
                                        ; implicit-def: $sgpr15
	s_delay_alu instid0(VALU_DEP_1) | instskip(NEXT) | instid1(VALU_DEP_1)
	v_and_b32_e32 v176, 0xff, v160
	v_cmpx_lt_i16_e64 0x7f, v176
	s_xor_b32 s31, exec_lo, s31
	s_cbranch_execnz .LBB2_3817
; %bb.3511:                             ;   in Loop: Header=BB2_3273 Depth=3
	s_or_saveexec_b32 s31, s31
	v_mov_b32_e32 v167, s15
	s_xor_b32 exec_lo, exec_lo, s31
	s_cbranch_execnz .LBB2_3820
.LBB2_3512:                             ;   in Loop: Header=BB2_3273 Depth=3
	s_or_b32 exec_lo, exec_lo, s31
	s_and_saveexec_b32 s15, s14
	s_cbranch_execz .LBB2_3514
.LBB2_3513:                             ;   in Loop: Header=BB2_3273 Depth=3
	v_bfe_u32 v167, v8, 16, 2
	v_lshlrev_b32_e32 v178, 8, v8
	s_delay_alu instid0(VALU_DEP_2) | instskip(NEXT) | instid1(VALU_DEP_1)
	v_clz_i32_u32_e32 v176, v167
	v_min_u32_e32 v176, 32, v176
	s_delay_alu instid0(VALU_DEP_1) | instskip(SKIP_1) | instid1(VALU_DEP_2)
	v_subrev_nc_u32_e32 v177, 29, v176
	v_sub_nc_u32_e32 v176, 30, v176
	v_lshlrev_b32_e32 v160, v177, v160
	v_bfe_u32 v177, v8, 18, 5
	s_delay_alu instid0(VALU_DEP_2) | instskip(NEXT) | instid1(VALU_DEP_2)
	v_and_b32_e32 v160, 3, v160
	v_cmp_eq_u32_e32 vcc_lo, 0, v177
	v_cndmask_b32_e32 v176, v177, v176, vcc_lo
	s_delay_alu instid0(VALU_DEP_3) | instskip(NEXT) | instid1(VALU_DEP_2)
	v_dual_cndmask_b32 v160, v167, v160 :: v_dual_and_b32 v167, 0x80000000, v178
	v_lshl_add_u32 v176, v176, 23, 0x37800000
	s_delay_alu instid0(VALU_DEP_2) | instskip(NEXT) | instid1(VALU_DEP_1)
	v_lshlrev_b32_e32 v160, 21, v160
	v_or3_b32 v167, v167, v176, v160
.LBB2_3514:                             ;   in Loop: Header=BB2_3273 Depth=3
	s_or_b32 exec_lo, exec_lo, s15
	s_delay_alu instid0(VALU_DEP_1) | instskip(NEXT) | instid1(VALU_DEP_1)
	v_add_f32_e32 v166, v166, v167
	v_and_b32_e32 v160, 0x7f800000, v166
	s_delay_alu instid0(VALU_DEP_1)
	v_cmp_ne_u32_e32 vcc_lo, 0x7f800000, v160
	v_mov_b32_e32 v160, 0x80
	s_and_saveexec_b32 s15, vcc_lo
	s_cbranch_execz .LBB2_3522
; %bb.3515:                             ;   in Loop: Header=BB2_3273 Depth=3
	v_mov_b32_e32 v160, 0
	s_mov_b32 s31, exec_lo
	v_cmpx_ne_u32_e32 0, v166
	s_cbranch_execz .LBB2_3521
; %bb.3516:                             ;   in Loop: Header=BB2_3273 Depth=3
	v_bfe_u32 v160, v166, 23, 8
	s_delay_alu instid0(VALU_DEP_1) | instskip(SKIP_1) | instid1(VALU_DEP_2)
	v_sub_nc_u32_e32 v176, 0x70, v160
	v_cmp_gt_u32_e32 vcc_lo, 0x71, v160
	v_dual_cndmask_b32 v176, 0, v176 :: v_dual_and_b32 v167, 0x7fffff, v166
	s_delay_alu instid0(VALU_DEP_1) | instskip(SKIP_2) | instid1(VALU_DEP_4)
	v_or_b32_e32 v177, 0x800000, v167
	v_cmp_eq_u32_e32 vcc_lo, 0, v160
	v_add_nc_u32_e32 v160, 0xffffff91, v160
	v_cndmask_b32_e64 v176, v176, 0x6f, vcc_lo
	s_delay_alu instid0(VALU_DEP_4) | instskip(NEXT) | instid1(VALU_DEP_3)
	v_cndmask_b32_e32 v167, v177, v167, vcc_lo
	v_cndmask_b32_e64 v160, v160, 0xffffff92, vcc_lo
	s_delay_alu instid0(VALU_DEP_3) | instskip(NEXT) | instid1(VALU_DEP_3)
	v_lshl_add_u32 v177, 0x200000, v176, -1
	v_lshrrev_b32_e32 v178, v176, v167
	v_lshlrev_b32_e64 v180, v176, 0x100000
	s_delay_alu instid0(VALU_DEP_4) | instskip(NEXT) | instid1(VALU_DEP_4)
	v_add_nc_u32_e32 v176, v176, v160
	v_and_b32_e32 v167, v177, v167
	s_delay_alu instid0(VALU_DEP_4) | instskip(NEXT) | instid1(VALU_DEP_2)
	v_bfe_u32 v179, v178, 21, 1
	v_cmp_eq_u32_e64 s14, v167, v180
	s_delay_alu instid0(VALU_DEP_2) | instskip(NEXT) | instid1(VALU_DEP_1)
	v_add_nc_u32_e32 v177, -1, v179
	v_cndmask_b32_e64 v167, 0, v177, s14
	v_lshrrev_b32_e32 v177, 23, v178
	s_mov_b32 s14, exec_lo
	s_delay_alu instid0(VALU_DEP_2) | instskip(NEXT) | instid1(VALU_DEP_2)
	v_add_nc_u32_e32 v167, v167, v178
	v_xor_b32_e32 v177, 1, v177
	s_delay_alu instid0(VALU_DEP_2) | instskip(NEXT) | instid1(VALU_DEP_1)
	v_and_b32_e32 v160, 0x1fffff, v167
	v_add_nc_u32_e32 v167, v160, v178
                                        ; implicit-def: $vgpr160
	s_delay_alu instid0(VALU_DEP_3)
	v_cmpx_ne_u32_e64 v176, v177
	s_xor_b32 s14, exec_lo, s14
; %bb.3517:                             ;   in Loop: Header=BB2_3273 Depth=3
	s_delay_alu instid0(VALU_DEP_2) | instskip(SKIP_2) | instid1(VALU_DEP_2)
	v_cmp_lt_u32_e32 vcc_lo, 0xffffff, v167
	v_sub_nc_u32_e32 v160, v176, v177
	v_cndmask_b32_e64 v176, 0, 1, vcc_lo
	v_add_co_ci_u32_e32 v160, vcc_lo, 0, v160, vcc_lo
	s_delay_alu instid0(VALU_DEP_2)
	v_lshrrev_b32_e32 v167, v176, v167
; %bb.3518:                             ;   in Loop: Header=BB2_3273 Depth=3
	s_and_not1_saveexec_b32 s14, s14
; %bb.3519:                             ;   in Loop: Header=BB2_3273 Depth=3
	s_delay_alu instid0(VALU_DEP_1)
	v_bfe_u32 v160, v167, 23, 1
; %bb.3520:                             ;   in Loop: Header=BB2_3273 Depth=3
	s_or_b32 exec_lo, exec_lo, s14
	v_lshrrev_b32_e32 v167, 21, v167
	s_delay_alu instid0(VALU_DEP_2) | instskip(SKIP_2) | instid1(VALU_DEP_2)
	v_cmp_gt_i32_e32 vcc_lo, 32, v160
	v_lshrrev_b32_e32 v166, 24, v166
	v_min_i32_e32 v176, 31, v160
	v_dual_cndmask_b32 v167, 3, v167 :: v_dual_and_b32 v166, 0x80, v166
	s_delay_alu instid0(VALU_DEP_2) | instskip(NEXT) | instid1(VALU_DEP_2)
	v_lshlrev_b32_e32 v176, 2, v176
	v_or_b32_e32 v160, v160, v167
	s_delay_alu instid0(VALU_DEP_1) | instskip(SKIP_1) | instid1(VALU_DEP_1)
	v_cmp_ne_u32_e32 vcc_lo, 0, v160
	v_and_b32_e32 v177, 3, v167
	v_or3_b32 v166, v176, v166, v177
	s_delay_alu instid0(VALU_DEP_1)
	v_cndmask_b32_e32 v160, 0, v166, vcc_lo
.LBB2_3521:                             ;   in Loop: Header=BB2_3273 Depth=3
	s_or_b32 exec_lo, exec_lo, s31
.LBB2_3522:                             ;   in Loop: Header=BB2_3273 Depth=3
	s_delay_alu instid0(SALU_CYCLE_1) | instskip(SKIP_3) | instid1(VALU_DEP_1)
	s_or_b32 exec_lo, exec_lo, s15
	v_and_b32_e32 v167, 0xff, v163
	s_mov_b32 s14, 0
	s_mov_b32 s31, exec_lo
                                        ; implicit-def: $sgpr15
	v_cmpx_lt_i16_e64 0x7f, v167
	s_xor_b32 s31, exec_lo, s31
	s_cbranch_execnz .LBB2_3821
; %bb.3523:                             ;   in Loop: Header=BB2_3273 Depth=3
	s_or_saveexec_b32 s31, s31
	v_mov_b32_e32 v166, s15
	s_xor_b32 exec_lo, exec_lo, s31
	s_cbranch_execnz .LBB2_3824
.LBB2_3524:                             ;   in Loop: Header=BB2_3273 Depth=3
	s_or_b32 exec_lo, exec_lo, s31
	s_and_saveexec_b32 s15, s14
	s_cbranch_execz .LBB2_3526
.LBB2_3525:                             ;   in Loop: Header=BB2_3273 Depth=3
	v_lshlrev_b32_e32 v163, 8, v163
	s_delay_alu instid0(VALU_DEP_1) | instskip(SKIP_1) | instid1(VALU_DEP_2)
	v_and_b32_e32 v166, 0xff00, v163
	v_bfe_u32 v163, v163, 10, 5
	v_bfe_u32 v176, v166, 8, 2
	s_delay_alu instid0(VALU_DEP_2) | instskip(NEXT) | instid1(VALU_DEP_2)
	v_cmp_eq_u32_e32 vcc_lo, 0, v163
	v_clz_i32_u32_e32 v177, v176
	s_delay_alu instid0(VALU_DEP_1) | instskip(NEXT) | instid1(VALU_DEP_1)
	v_min_u32_e32 v177, 32, v177
	v_subrev_nc_u32_e32 v178, 29, v177
	v_sub_nc_u32_e32 v177, 30, v177
	s_delay_alu instid0(VALU_DEP_2) | instskip(NEXT) | instid1(VALU_DEP_2)
	v_lshlrev_b32_e32 v167, v178, v167
	v_cndmask_b32_e32 v163, v163, v177, vcc_lo
	s_delay_alu instid0(VALU_DEP_2) | instskip(SKIP_1) | instid1(VALU_DEP_3)
	v_and_b32_e32 v167, 3, v167
	v_lshlrev_b32_e32 v166, 16, v166
	v_lshl_add_u32 v163, v163, 23, 0x37800000
	s_delay_alu instid0(VALU_DEP_2) | instskip(NEXT) | instid1(VALU_DEP_1)
	v_dual_cndmask_b32 v167, v176, v167 :: v_dual_and_b32 v166, 0x80000000, v166
	v_lshlrev_b32_e32 v167, 21, v167
	s_delay_alu instid0(VALU_DEP_1)
	v_or3_b32 v166, v166, v163, v167
.LBB2_3526:                             ;   in Loop: Header=BB2_3273 Depth=3
	s_or_b32 exec_lo, exec_lo, s15
	v_lshrrev_b32_e32 v163, 24, v8
	s_mov_b32 s14, 0
	s_mov_b32 s31, exec_lo
                                        ; implicit-def: $sgpr15
	s_delay_alu instid0(VALU_DEP_1)
	v_cmpx_lt_i16_e64 0x7f, v163
	s_xor_b32 s31, exec_lo, s31
	s_cbranch_execnz .LBB2_3825
; %bb.3527:                             ;   in Loop: Header=BB2_3273 Depth=3
	s_or_saveexec_b32 s31, s31
	v_mov_b32_e32 v167, s15
	s_xor_b32 exec_lo, exec_lo, s31
	s_cbranch_execnz .LBB2_3828
.LBB2_3528:                             ;   in Loop: Header=BB2_3273 Depth=3
	s_or_b32 exec_lo, exec_lo, s31
	s_and_saveexec_b32 s15, s14
	s_cbranch_execz .LBB2_3530
.LBB2_3529:                             ;   in Loop: Header=BB2_3273 Depth=3
	v_bfe_u32 v167, v8, 24, 2
	s_delay_alu instid0(VALU_DEP_1) | instskip(NEXT) | instid1(VALU_DEP_1)
	v_clz_i32_u32_e32 v176, v167
	v_min_u32_e32 v176, 32, v176
	s_delay_alu instid0(VALU_DEP_1) | instskip(SKIP_1) | instid1(VALU_DEP_2)
	v_subrev_nc_u32_e32 v177, 29, v176
	v_sub_nc_u32_e32 v176, 30, v176
	v_lshlrev_b32_e32 v163, v177, v163
	v_bfe_u32 v177, v8, 26, 5
	v_and_b32_e32 v8, 0x80000000, v8
	s_delay_alu instid0(VALU_DEP_2) | instskip(NEXT) | instid1(VALU_DEP_4)
	v_cmp_eq_u32_e32 vcc_lo, 0, v177
	v_dual_cndmask_b32 v176, v177, v176 :: v_dual_and_b32 v163, 3, v163
	s_delay_alu instid0(VALU_DEP_1) | instskip(NEXT) | instid1(VALU_DEP_2)
	v_cndmask_b32_e32 v163, v167, v163, vcc_lo
	v_lshl_add_u32 v167, v176, 23, 0x37800000
	s_delay_alu instid0(VALU_DEP_2) | instskip(NEXT) | instid1(VALU_DEP_1)
	v_lshlrev_b32_e32 v163, 21, v163
	v_or3_b32 v167, v8, v167, v163
.LBB2_3530:                             ;   in Loop: Header=BB2_3273 Depth=3
	s_or_b32 exec_lo, exec_lo, s15
	s_delay_alu instid0(VALU_DEP_1) | instskip(NEXT) | instid1(VALU_DEP_1)
	v_add_f32_e32 v163, v166, v167
	v_and_b32_e32 v8, 0x7f800000, v163
	s_delay_alu instid0(VALU_DEP_1)
	v_cmp_ne_u32_e32 vcc_lo, 0x7f800000, v8
	v_mov_b32_e32 v8, 0x80
	s_and_saveexec_b32 s15, vcc_lo
	s_cbranch_execz .LBB2_3538
; %bb.3531:                             ;   in Loop: Header=BB2_3273 Depth=3
	v_mov_b32_e32 v8, 0
	s_mov_b32 s31, exec_lo
	v_cmpx_ne_u32_e32 0, v163
	s_cbranch_execz .LBB2_3537
; %bb.3532:                             ;   in Loop: Header=BB2_3273 Depth=3
	v_bfe_u32 v8, v163, 23, 8
	v_and_b32_e32 v166, 0x7fffff, v163
	s_delay_alu instid0(VALU_DEP_2) | instskip(SKIP_1) | instid1(VALU_DEP_3)
	v_sub_nc_u32_e32 v167, 0x70, v8
	v_cmp_gt_u32_e32 vcc_lo, 0x71, v8
	v_or_b32_e32 v176, 0x800000, v166
	s_delay_alu instid0(VALU_DEP_3) | instskip(SKIP_2) | instid1(VALU_DEP_4)
	v_cndmask_b32_e32 v167, 0, v167, vcc_lo
	v_cmp_eq_u32_e32 vcc_lo, 0, v8
	v_add_nc_u32_e32 v8, 0xffffff91, v8
	v_cndmask_b32_e32 v166, v176, v166, vcc_lo
	s_delay_alu instid0(VALU_DEP_4) | instskip(NEXT) | instid1(VALU_DEP_3)
	v_cndmask_b32_e64 v167, v167, 0x6f, vcc_lo
	v_cndmask_b32_e64 v8, v8, 0xffffff92, vcc_lo
	s_delay_alu instid0(VALU_DEP_2) | instskip(SKIP_2) | instid1(VALU_DEP_4)
	v_lshrrev_b32_e32 v177, v167, v166
	v_lshl_add_u32 v176, 0x200000, v167, -1
	v_lshlrev_b32_e64 v179, v167, 0x100000
	v_add_nc_u32_e32 v167, v167, v8
	s_delay_alu instid0(VALU_DEP_4) | instskip(NEXT) | instid1(VALU_DEP_4)
	v_bfe_u32 v178, v177, 21, 1
	v_and_b32_e32 v166, v176, v166
	s_delay_alu instid0(VALU_DEP_2) | instskip(NEXT) | instid1(VALU_DEP_2)
	v_add_nc_u32_e32 v176, -1, v178
	v_cmp_eq_u32_e64 s14, v166, v179
	s_delay_alu instid0(VALU_DEP_1) | instskip(SKIP_2) | instid1(VALU_DEP_2)
	v_cndmask_b32_e64 v166, 0, v176, s14
	v_lshrrev_b32_e32 v176, 23, v177
	s_mov_b32 s14, exec_lo
	v_add_nc_u32_e32 v166, v166, v177
	s_delay_alu instid0(VALU_DEP_2) | instskip(NEXT) | instid1(VALU_DEP_2)
	v_xor_b32_e32 v176, 1, v176
	v_and_b32_e32 v8, 0x1fffff, v166
	s_delay_alu instid0(VALU_DEP_1) | instskip(NEXT) | instid1(VALU_DEP_3)
	v_add_nc_u32_e32 v166, v8, v177
                                        ; implicit-def: $vgpr8
	v_cmpx_ne_u32_e64 v167, v176
	s_xor_b32 s14, exec_lo, s14
; %bb.3533:                             ;   in Loop: Header=BB2_3273 Depth=3
	s_delay_alu instid0(VALU_DEP_2) | instskip(SKIP_2) | instid1(VALU_DEP_2)
	v_cmp_lt_u32_e32 vcc_lo, 0xffffff, v166
	v_sub_nc_u32_e32 v8, v167, v176
	v_cndmask_b32_e64 v167, 0, 1, vcc_lo
	v_add_co_ci_u32_e32 v8, vcc_lo, 0, v8, vcc_lo
	s_delay_alu instid0(VALU_DEP_2)
	v_lshrrev_b32_e32 v166, v167, v166
; %bb.3534:                             ;   in Loop: Header=BB2_3273 Depth=3
	s_and_not1_saveexec_b32 s14, s14
; %bb.3535:                             ;   in Loop: Header=BB2_3273 Depth=3
	s_delay_alu instid0(VALU_DEP_1)
	v_bfe_u32 v8, v166, 23, 1
; %bb.3536:                             ;   in Loop: Header=BB2_3273 Depth=3
	s_or_b32 exec_lo, exec_lo, s14
	v_lshrrev_b32_e32 v166, 21, v166
	s_delay_alu instid0(VALU_DEP_2) | instskip(SKIP_2) | instid1(VALU_DEP_2)
	v_cmp_gt_i32_e32 vcc_lo, 32, v8
	v_lshrrev_b32_e32 v163, 24, v163
	v_min_i32_e32 v167, 31, v8
	v_dual_cndmask_b32 v166, 3, v166 :: v_dual_and_b32 v163, 0x80, v163
	s_delay_alu instid0(VALU_DEP_2) | instskip(NEXT) | instid1(VALU_DEP_2)
	v_lshlrev_b32_e32 v167, 2, v167
	v_and_b32_e32 v176, 3, v166
	v_or_b32_e32 v8, v8, v166
	s_delay_alu instid0(VALU_DEP_2) | instskip(NEXT) | instid1(VALU_DEP_2)
	v_or3_b32 v163, v167, v163, v176
	v_cmp_ne_u32_e32 vcc_lo, 0, v8
	s_delay_alu instid0(VALU_DEP_2)
	v_cndmask_b32_e32 v8, 0, v163, vcc_lo
.LBB2_3537:                             ;   in Loop: Header=BB2_3273 Depth=3
	s_or_b32 exec_lo, exec_lo, s31
.LBB2_3538:                             ;   in Loop: Header=BB2_3273 Depth=3
	s_delay_alu instid0(SALU_CYCLE_1) | instskip(SKIP_3) | instid1(VALU_DEP_1)
	s_or_b32 exec_lo, exec_lo, s15
	v_or_b32_e32 v165, v165, v162
	s_mov_b32 s14, 0
	s_mov_b32 s31, exec_lo
                                        ; implicit-def: $sgpr15
	v_and_b32_e32 v163, 0xff, v165
	s_delay_alu instid0(VALU_DEP_1)
	v_cmpx_lt_i16_e64 0x7f, v163
	s_xor_b32 s31, exec_lo, s31
	s_cbranch_execnz .LBB2_3829
; %bb.3539:                             ;   in Loop: Header=BB2_3273 Depth=3
	s_or_saveexec_b32 s31, s31
	v_mov_b32_e32 v162, s15
	s_xor_b32 exec_lo, exec_lo, s31
	s_cbranch_execnz .LBB2_3832
.LBB2_3540:                             ;   in Loop: Header=BB2_3273 Depth=3
	s_or_b32 exec_lo, exec_lo, s31
	s_and_saveexec_b32 s15, s14
	s_cbranch_execz .LBB2_3542
.LBB2_3541:                             ;   in Loop: Header=BB2_3273 Depth=3
	v_bfe_u32 v167, v165, 2, 5
	v_lshlrev_b32_e32 v176, 24, v165
	s_delay_alu instid0(VALU_DEP_2) | instskip(SKIP_1) | instid1(VALU_DEP_1)
	v_cmp_eq_u32_e32 vcc_lo, 0, v167
	v_and_b32_e32 v162, 3, v165
	v_clz_i32_u32_e32 v163, v162
	s_delay_alu instid0(VALU_DEP_1) | instskip(NEXT) | instid1(VALU_DEP_1)
	v_min_u32_e32 v163, 32, v163
	v_subrev_nc_u32_e32 v166, 29, v163
	v_sub_nc_u32_e32 v163, 30, v163
	s_delay_alu instid0(VALU_DEP_1) | instskip(NEXT) | instid1(VALU_DEP_1)
	v_dual_cndmask_b32 v163, v167, v163 :: v_dual_lshlrev_b32 v166, v166, v165
	v_and_b32_e32 v166, 3, v166
	s_delay_alu instid0(VALU_DEP_2) | instskip(NEXT) | instid1(VALU_DEP_2)
	v_lshl_add_u32 v163, v163, 23, 0x37800000
	v_cndmask_b32_e32 v162, v162, v166, vcc_lo
	v_and_b32_e32 v166, 0x80000000, v176
	s_delay_alu instid0(VALU_DEP_2) | instskip(NEXT) | instid1(VALU_DEP_1)
	v_lshlrev_b32_e32 v162, 21, v162
	v_or3_b32 v162, v166, v163, v162
.LBB2_3542:                             ;   in Loop: Header=BB2_3273 Depth=3
	s_or_b32 exec_lo, exec_lo, s15
	v_and_b32_e32 v166, 0xff, v9
	s_mov_b32 s14, 0
	s_mov_b32 s31, exec_lo
                                        ; implicit-def: $sgpr15
	s_delay_alu instid0(VALU_DEP_1)
	v_cmpx_lt_i16_e64 0x7f, v166
	s_xor_b32 s31, exec_lo, s31
	s_cbranch_execnz .LBB2_3833
; %bb.3543:                             ;   in Loop: Header=BB2_3273 Depth=3
	s_or_saveexec_b32 s31, s31
	v_mov_b32_e32 v163, s15
	s_xor_b32 exec_lo, exec_lo, s31
	s_cbranch_execnz .LBB2_3836
.LBB2_3544:                             ;   in Loop: Header=BB2_3273 Depth=3
	s_or_b32 exec_lo, exec_lo, s31
	s_and_saveexec_b32 s15, s14
	s_cbranch_execz .LBB2_3546
.LBB2_3545:                             ;   in Loop: Header=BB2_3273 Depth=3
	v_bfe_u32 v176, v9, 2, 5
	v_lshlrev_b32_e32 v177, 24, v9
	s_delay_alu instid0(VALU_DEP_2) | instskip(SKIP_1) | instid1(VALU_DEP_1)
	v_cmp_eq_u32_e32 vcc_lo, 0, v176
	v_and_b32_e32 v163, 3, v9
	v_clz_i32_u32_e32 v166, v163
	s_delay_alu instid0(VALU_DEP_1) | instskip(NEXT) | instid1(VALU_DEP_1)
	v_min_u32_e32 v166, 32, v166
	v_subrev_nc_u32_e32 v167, 29, v166
	v_sub_nc_u32_e32 v166, 30, v166
	s_delay_alu instid0(VALU_DEP_1) | instskip(NEXT) | instid1(VALU_DEP_1)
	v_dual_cndmask_b32 v166, v176, v166 :: v_dual_lshlrev_b32 v167, v167, v9
	v_and_b32_e32 v167, 3, v167
	s_delay_alu instid0(VALU_DEP_2) | instskip(NEXT) | instid1(VALU_DEP_2)
	v_lshl_add_u32 v166, v166, 23, 0x37800000
	v_cndmask_b32_e32 v163, v163, v167, vcc_lo
	v_and_b32_e32 v167, 0x80000000, v177
	s_delay_alu instid0(VALU_DEP_2) | instskip(NEXT) | instid1(VALU_DEP_1)
	v_lshlrev_b32_e32 v163, 21, v163
	v_or3_b32 v163, v167, v166, v163
.LBB2_3546:                             ;   in Loop: Header=BB2_3273 Depth=3
	s_or_b32 exec_lo, exec_lo, s15
	s_delay_alu instid0(VALU_DEP_1) | instskip(NEXT) | instid1(VALU_DEP_1)
	v_add_f32_e32 v163, v162, v163
	v_and_b32_e32 v162, 0x7f800000, v163
	s_delay_alu instid0(VALU_DEP_1)
	v_cmp_ne_u32_e32 vcc_lo, 0x7f800000, v162
	v_mov_b32_e32 v162, 0x80
	s_and_saveexec_b32 s15, vcc_lo
	s_cbranch_execz .LBB2_3554
; %bb.3547:                             ;   in Loop: Header=BB2_3273 Depth=3
	v_mov_b32_e32 v162, 0
	s_mov_b32 s31, exec_lo
	v_cmpx_ne_u32_e32 0, v163
	s_cbranch_execz .LBB2_3553
; %bb.3548:                             ;   in Loop: Header=BB2_3273 Depth=3
	v_bfe_u32 v162, v163, 23, 8
	v_and_b32_e32 v166, 0x7fffff, v163
	s_delay_alu instid0(VALU_DEP_2) | instskip(SKIP_1) | instid1(VALU_DEP_3)
	v_sub_nc_u32_e32 v167, 0x70, v162
	v_cmp_gt_u32_e32 vcc_lo, 0x71, v162
	v_or_b32_e32 v176, 0x800000, v166
	s_delay_alu instid0(VALU_DEP_3) | instskip(SKIP_2) | instid1(VALU_DEP_4)
	v_cndmask_b32_e32 v167, 0, v167, vcc_lo
	v_cmp_eq_u32_e32 vcc_lo, 0, v162
	v_add_nc_u32_e32 v162, 0xffffff91, v162
	v_cndmask_b32_e32 v166, v176, v166, vcc_lo
	s_delay_alu instid0(VALU_DEP_4) | instskip(NEXT) | instid1(VALU_DEP_3)
	v_cndmask_b32_e64 v167, v167, 0x6f, vcc_lo
	v_cndmask_b32_e64 v162, v162, 0xffffff92, vcc_lo
	s_delay_alu instid0(VALU_DEP_2) | instskip(SKIP_2) | instid1(VALU_DEP_4)
	v_lshrrev_b32_e32 v177, v167, v166
	v_lshl_add_u32 v176, 0x200000, v167, -1
	v_lshlrev_b32_e64 v179, v167, 0x100000
	v_add_nc_u32_e32 v167, v167, v162
	s_delay_alu instid0(VALU_DEP_4) | instskip(NEXT) | instid1(VALU_DEP_4)
	v_bfe_u32 v178, v177, 21, 1
	v_and_b32_e32 v166, v176, v166
	s_delay_alu instid0(VALU_DEP_2) | instskip(NEXT) | instid1(VALU_DEP_2)
	v_add_nc_u32_e32 v176, -1, v178
	v_cmp_eq_u32_e64 s14, v166, v179
	s_delay_alu instid0(VALU_DEP_1) | instskip(SKIP_2) | instid1(VALU_DEP_2)
	v_cndmask_b32_e64 v166, 0, v176, s14
	v_lshrrev_b32_e32 v176, 23, v177
	s_mov_b32 s14, exec_lo
	v_add_nc_u32_e32 v166, v166, v177
	s_delay_alu instid0(VALU_DEP_2) | instskip(NEXT) | instid1(VALU_DEP_2)
	v_xor_b32_e32 v176, 1, v176
	v_and_b32_e32 v162, 0x1fffff, v166
	s_delay_alu instid0(VALU_DEP_1) | instskip(NEXT) | instid1(VALU_DEP_3)
	v_add_nc_u32_e32 v166, v162, v177
                                        ; implicit-def: $vgpr162
	v_cmpx_ne_u32_e64 v167, v176
	s_xor_b32 s14, exec_lo, s14
; %bb.3549:                             ;   in Loop: Header=BB2_3273 Depth=3
	s_delay_alu instid0(VALU_DEP_2) | instskip(SKIP_2) | instid1(VALU_DEP_2)
	v_cmp_lt_u32_e32 vcc_lo, 0xffffff, v166
	v_sub_nc_u32_e32 v162, v167, v176
	v_cndmask_b32_e64 v167, 0, 1, vcc_lo
	v_add_co_ci_u32_e32 v162, vcc_lo, 0, v162, vcc_lo
	s_delay_alu instid0(VALU_DEP_2)
	v_lshrrev_b32_e32 v166, v167, v166
; %bb.3550:                             ;   in Loop: Header=BB2_3273 Depth=3
	s_and_not1_saveexec_b32 s14, s14
; %bb.3551:                             ;   in Loop: Header=BB2_3273 Depth=3
	s_delay_alu instid0(VALU_DEP_1)
	v_bfe_u32 v162, v166, 23, 1
; %bb.3552:                             ;   in Loop: Header=BB2_3273 Depth=3
	s_or_b32 exec_lo, exec_lo, s14
	v_lshrrev_b32_e32 v166, 21, v166
	s_delay_alu instid0(VALU_DEP_2) | instskip(SKIP_2) | instid1(VALU_DEP_2)
	v_cmp_gt_i32_e32 vcc_lo, 32, v162
	v_lshrrev_b32_e32 v163, 24, v163
	v_min_i32_e32 v167, 31, v162
	v_dual_cndmask_b32 v166, 3, v166 :: v_dual_and_b32 v163, 0x80, v163
	s_delay_alu instid0(VALU_DEP_2) | instskip(NEXT) | instid1(VALU_DEP_2)
	v_lshlrev_b32_e32 v167, 2, v167
	v_and_b32_e32 v176, 3, v166
	v_or_b32_e32 v162, v162, v166
	s_delay_alu instid0(VALU_DEP_2) | instskip(NEXT) | instid1(VALU_DEP_2)
	v_or3_b32 v163, v167, v163, v176
	v_cmp_ne_u32_e32 vcc_lo, 0, v162
	s_delay_alu instid0(VALU_DEP_2)
	v_cndmask_b32_e32 v162, 0, v163, vcc_lo
.LBB2_3553:                             ;   in Loop: Header=BB2_3273 Depth=3
	s_or_b32 exec_lo, exec_lo, s31
.LBB2_3554:                             ;   in Loop: Header=BB2_3273 Depth=3
	s_delay_alu instid0(SALU_CYCLE_1) | instskip(SKIP_3) | instid1(VALU_DEP_1)
	s_or_b32 exec_lo, exec_lo, s15
	v_lshrrev_b16 v166, 8, v165
	s_mov_b32 s14, 0
	s_mov_b32 s31, exec_lo
                                        ; implicit-def: $sgpr15
	v_cmpx_lt_i16_e64 0x7f, v166
	s_xor_b32 s31, exec_lo, s31
	s_cbranch_execnz .LBB2_3837
; %bb.3555:                             ;   in Loop: Header=BB2_3273 Depth=3
	s_or_saveexec_b32 s31, s31
	v_mov_b32_e32 v163, s15
	s_xor_b32 exec_lo, exec_lo, s31
	s_cbranch_execnz .LBB2_3840
.LBB2_3556:                             ;   in Loop: Header=BB2_3273 Depth=3
	s_or_b32 exec_lo, exec_lo, s31
	s_and_saveexec_b32 s15, s14
	s_cbranch_execz .LBB2_3558
.LBB2_3557:                             ;   in Loop: Header=BB2_3273 Depth=3
	v_and_b32_e32 v163, 0xffff, v166
	s_delay_alu instid0(VALU_DEP_1) | instskip(NEXT) | instid1(VALU_DEP_1)
	v_and_b32_e32 v167, 3, v163
	v_clz_i32_u32_e32 v176, v167
	s_delay_alu instid0(VALU_DEP_1) | instskip(NEXT) | instid1(VALU_DEP_1)
	v_min_u32_e32 v176, 32, v176
	v_subrev_nc_u32_e32 v177, 29, v176
	v_sub_nc_u32_e32 v176, 30, v176
	s_delay_alu instid0(VALU_DEP_2) | instskip(SKIP_1) | instid1(VALU_DEP_2)
	v_lshlrev_b32_e32 v177, v177, v163
	v_bfe_u32 v163, v163, 2, 5
	v_and_b32_e32 v177, 3, v177
	s_delay_alu instid0(VALU_DEP_2) | instskip(SKIP_1) | instid1(VALU_DEP_1)
	v_cmp_eq_u32_e32 vcc_lo, 0, v163
	v_dual_cndmask_b32 v163, v163, v176 :: v_dual_lshlrev_b32 v166, 24, v166
	v_dual_cndmask_b32 v167, v167, v177 :: v_dual_and_b32 v166, 0x80000000, v166
	s_delay_alu instid0(VALU_DEP_2) | instskip(NEXT) | instid1(VALU_DEP_2)
	v_lshl_add_u32 v163, v163, 23, 0x37800000
	v_lshlrev_b32_e32 v167, 21, v167
	s_delay_alu instid0(VALU_DEP_1)
	v_or3_b32 v163, v166, v163, v167
.LBB2_3558:                             ;   in Loop: Header=BB2_3273 Depth=3
	s_or_b32 exec_lo, exec_lo, s15
	v_lshrrev_b16 v166, 8, v9
	s_mov_b32 s14, 0
	s_mov_b32 s31, exec_lo
                                        ; implicit-def: $sgpr15
	s_delay_alu instid0(VALU_DEP_1)
	v_cmpx_lt_i16_e64 0x7f, v166
	s_xor_b32 s31, exec_lo, s31
	s_cbranch_execnz .LBB2_3841
; %bb.3559:                             ;   in Loop: Header=BB2_3273 Depth=3
	s_or_saveexec_b32 s31, s31
	v_mov_b32_e32 v167, s15
	s_xor_b32 exec_lo, exec_lo, s31
	s_cbranch_execnz .LBB2_3844
.LBB2_3560:                             ;   in Loop: Header=BB2_3273 Depth=3
	s_or_b32 exec_lo, exec_lo, s31
	s_and_saveexec_b32 s15, s14
	s_cbranch_execz .LBB2_3562
.LBB2_3561:                             ;   in Loop: Header=BB2_3273 Depth=3
	v_and_b32_e32 v167, 0xffff, v166
	v_lshlrev_b32_e32 v166, 24, v166
	s_delay_alu instid0(VALU_DEP_2) | instskip(NEXT) | instid1(VALU_DEP_2)
	v_and_b32_e32 v176, 3, v167
	v_and_b32_e32 v166, 0x80000000, v166
	s_delay_alu instid0(VALU_DEP_2) | instskip(NEXT) | instid1(VALU_DEP_1)
	v_clz_i32_u32_e32 v177, v176
	v_min_u32_e32 v177, 32, v177
	s_delay_alu instid0(VALU_DEP_1) | instskip(SKIP_1) | instid1(VALU_DEP_2)
	v_subrev_nc_u32_e32 v178, 29, v177
	v_sub_nc_u32_e32 v177, 30, v177
	v_lshlrev_b32_e32 v178, v178, v167
	v_bfe_u32 v167, v167, 2, 5
	s_delay_alu instid0(VALU_DEP_2) | instskip(NEXT) | instid1(VALU_DEP_2)
	v_and_b32_e32 v178, 3, v178
	v_cmp_eq_u32_e32 vcc_lo, 0, v167
	s_delay_alu instid0(VALU_DEP_2) | instskip(NEXT) | instid1(VALU_DEP_1)
	v_dual_cndmask_b32 v167, v167, v177 :: v_dual_cndmask_b32 v176, v176, v178
	v_lshl_add_u32 v167, v167, 23, 0x37800000
	s_delay_alu instid0(VALU_DEP_2) | instskip(NEXT) | instid1(VALU_DEP_1)
	v_lshlrev_b32_e32 v176, 21, v176
	v_or3_b32 v167, v166, v167, v176
.LBB2_3562:                             ;   in Loop: Header=BB2_3273 Depth=3
	s_or_b32 exec_lo, exec_lo, s15
	s_delay_alu instid0(VALU_DEP_1) | instskip(NEXT) | instid1(VALU_DEP_1)
	v_add_f32_e32 v166, v163, v167
	v_and_b32_e32 v163, 0x7f800000, v166
	s_delay_alu instid0(VALU_DEP_1)
	v_cmp_ne_u32_e32 vcc_lo, 0x7f800000, v163
	v_mov_b32_e32 v163, 0x8000
	s_and_saveexec_b32 s15, vcc_lo
	s_cbranch_execz .LBB2_3570
; %bb.3563:                             ;   in Loop: Header=BB2_3273 Depth=3
	v_mov_b32_e32 v163, 0
	s_mov_b32 s31, exec_lo
	v_cmpx_ne_u32_e32 0, v166
	s_cbranch_execz .LBB2_3569
; %bb.3564:                             ;   in Loop: Header=BB2_3273 Depth=3
	v_bfe_u32 v163, v166, 23, 8
	s_delay_alu instid0(VALU_DEP_1) | instskip(SKIP_1) | instid1(VALU_DEP_2)
	v_sub_nc_u32_e32 v176, 0x70, v163
	v_cmp_gt_u32_e32 vcc_lo, 0x71, v163
	v_dual_cndmask_b32 v176, 0, v176 :: v_dual_and_b32 v167, 0x7fffff, v166
	s_delay_alu instid0(VALU_DEP_1) | instskip(SKIP_2) | instid1(VALU_DEP_4)
	v_or_b32_e32 v177, 0x800000, v167
	v_cmp_eq_u32_e32 vcc_lo, 0, v163
	v_add_nc_u32_e32 v163, 0xffffff91, v163
	v_cndmask_b32_e64 v176, v176, 0x6f, vcc_lo
	s_delay_alu instid0(VALU_DEP_4) | instskip(NEXT) | instid1(VALU_DEP_3)
	v_cndmask_b32_e32 v167, v177, v167, vcc_lo
	v_cndmask_b32_e64 v163, v163, 0xffffff92, vcc_lo
	s_delay_alu instid0(VALU_DEP_3) | instskip(NEXT) | instid1(VALU_DEP_3)
	v_lshl_add_u32 v177, 0x200000, v176, -1
	v_lshrrev_b32_e32 v178, v176, v167
	v_lshlrev_b32_e64 v180, v176, 0x100000
	s_delay_alu instid0(VALU_DEP_4) | instskip(NEXT) | instid1(VALU_DEP_4)
	v_add_nc_u32_e32 v176, v176, v163
	v_and_b32_e32 v167, v177, v167
	s_delay_alu instid0(VALU_DEP_4) | instskip(NEXT) | instid1(VALU_DEP_2)
	v_bfe_u32 v179, v178, 21, 1
	v_cmp_eq_u32_e64 s14, v167, v180
	s_delay_alu instid0(VALU_DEP_2) | instskip(NEXT) | instid1(VALU_DEP_1)
	v_add_nc_u32_e32 v177, -1, v179
	v_cndmask_b32_e64 v167, 0, v177, s14
	v_lshrrev_b32_e32 v177, 23, v178
	s_mov_b32 s14, exec_lo
	s_delay_alu instid0(VALU_DEP_2) | instskip(NEXT) | instid1(VALU_DEP_2)
	v_add_nc_u32_e32 v167, v167, v178
	v_xor_b32_e32 v177, 1, v177
	s_delay_alu instid0(VALU_DEP_2) | instskip(NEXT) | instid1(VALU_DEP_1)
	v_and_b32_e32 v163, 0x1fffff, v167
	v_add_nc_u32_e32 v167, v163, v178
                                        ; implicit-def: $vgpr163
	s_delay_alu instid0(VALU_DEP_3)
	v_cmpx_ne_u32_e64 v176, v177
	s_xor_b32 s14, exec_lo, s14
; %bb.3565:                             ;   in Loop: Header=BB2_3273 Depth=3
	s_delay_alu instid0(VALU_DEP_2) | instskip(SKIP_2) | instid1(VALU_DEP_2)
	v_cmp_lt_u32_e32 vcc_lo, 0xffffff, v167
	v_sub_nc_u32_e32 v163, v176, v177
	v_cndmask_b32_e64 v176, 0, 1, vcc_lo
	v_add_co_ci_u32_e32 v163, vcc_lo, 0, v163, vcc_lo
	s_delay_alu instid0(VALU_DEP_2)
	v_lshrrev_b32_e32 v167, v176, v167
; %bb.3566:                             ;   in Loop: Header=BB2_3273 Depth=3
	s_and_not1_saveexec_b32 s14, s14
; %bb.3567:                             ;   in Loop: Header=BB2_3273 Depth=3
	s_delay_alu instid0(VALU_DEP_1)
	v_bfe_u32 v163, v167, 23, 1
; %bb.3568:                             ;   in Loop: Header=BB2_3273 Depth=3
	s_or_b32 exec_lo, exec_lo, s14
	v_lshrrev_b32_e32 v167, 21, v167
	s_delay_alu instid0(VALU_DEP_2) | instskip(SKIP_2) | instid1(VALU_DEP_2)
	v_cmp_gt_i32_e32 vcc_lo, 32, v163
	v_min_i32_e32 v176, 31, v163
	v_lshrrev_b32_e32 v166, 24, v166
	v_dual_cndmask_b32 v167, 3, v167 :: v_dual_lshlrev_b32 v176, 2, v176
	s_delay_alu instid0(VALU_DEP_2) | instskip(NEXT) | instid1(VALU_DEP_2)
	v_and_b32_e32 v166, 0x80, v166
	v_or_b32_e32 v163, v163, v167
	v_and_b32_e32 v177, 3, v167
	s_delay_alu instid0(VALU_DEP_2) | instskip(SKIP_1) | instid1(VALU_DEP_1)
	v_cmp_ne_u32_e32 vcc_lo, 0, v163
	v_and_b32_e32 v176, 0xfc, v176
	v_or3_b32 v166, v166, v176, v177
	s_delay_alu instid0(VALU_DEP_1) | instskip(NEXT) | instid1(VALU_DEP_1)
	v_lshlrev_b32_e32 v166, 8, v166
	v_cndmask_b32_e32 v163, 0, v166, vcc_lo
.LBB2_3569:                             ;   in Loop: Header=BB2_3273 Depth=3
	s_or_b32 exec_lo, exec_lo, s31
.LBB2_3570:                             ;   in Loop: Header=BB2_3273 Depth=3
	s_delay_alu instid0(SALU_CYCLE_1) | instskip(SKIP_3) | instid1(VALU_DEP_1)
	s_or_b32 exec_lo, exec_lo, s15
	v_or_b32_e32 v164, v164, v161
	s_mov_b32 s14, 0
	s_mov_b32 s31, exec_lo
                                        ; implicit-def: $sgpr15
	v_and_b32_e32 v166, 0xff, v164
	s_delay_alu instid0(VALU_DEP_1)
	v_cmpx_lt_i16_e64 0x7f, v166
	s_xor_b32 s31, exec_lo, s31
	s_cbranch_execnz .LBB2_3845
; %bb.3571:                             ;   in Loop: Header=BB2_3273 Depth=3
	s_or_saveexec_b32 s31, s31
	v_mov_b32_e32 v161, s15
	s_xor_b32 exec_lo, exec_lo, s31
	s_cbranch_execnz .LBB2_3848
.LBB2_3572:                             ;   in Loop: Header=BB2_3273 Depth=3
	s_or_b32 exec_lo, exec_lo, s31
	v_lshl_or_b32 v164, v164, 16, v165
	s_and_saveexec_b32 s15, s14
	s_cbranch_execz .LBB2_3574
.LBB2_3573:                             ;   in Loop: Header=BB2_3273 Depth=3
	s_delay_alu instid0(VALU_DEP_1) | instskip(SKIP_1) | instid1(VALU_DEP_2)
	v_bfe_u32 v161, v164, 16, 2
	v_lshrrev_b32_e32 v166, 16, v164
	v_clz_i32_u32_e32 v165, v161
	s_delay_alu instid0(VALU_DEP_1) | instskip(NEXT) | instid1(VALU_DEP_1)
	v_min_u32_e32 v165, 32, v165
	v_subrev_nc_u32_e32 v167, 29, v165
	v_sub_nc_u32_e32 v165, 30, v165
	s_delay_alu instid0(VALU_DEP_2) | instskip(SKIP_1) | instid1(VALU_DEP_1)
	v_lshlrev_b32_e32 v166, v167, v166
	v_bfe_u32 v167, v164, 18, 5
	v_cmp_eq_u32_e32 vcc_lo, 0, v167
	s_delay_alu instid0(VALU_DEP_3) | instskip(NEXT) | instid1(VALU_DEP_1)
	v_dual_cndmask_b32 v165, v167, v165 :: v_dual_and_b32 v166, 3, v166
	v_dual_cndmask_b32 v161, v161, v166 :: v_dual_lshlrev_b32 v176, 8, v164
	s_delay_alu instid0(VALU_DEP_2) | instskip(NEXT) | instid1(VALU_DEP_2)
	v_lshl_add_u32 v165, v165, 23, 0x37800000
	v_and_b32_e32 v166, 0x80000000, v176
	s_delay_alu instid0(VALU_DEP_3) | instskip(NEXT) | instid1(VALU_DEP_1)
	v_lshlrev_b32_e32 v161, 21, v161
	v_or3_b32 v161, v166, v165, v161
.LBB2_3574:                             ;   in Loop: Header=BB2_3273 Depth=3
	s_or_b32 exec_lo, exec_lo, s15
	v_lshrrev_b32_e32 v165, 16, v9
	s_mov_b32 s14, 0
	s_mov_b32 s31, exec_lo
                                        ; implicit-def: $sgpr15
	s_delay_alu instid0(VALU_DEP_1) | instskip(NEXT) | instid1(VALU_DEP_1)
	v_and_b32_e32 v167, 0xff, v165
	v_cmpx_lt_i16_e64 0x7f, v167
	s_xor_b32 s31, exec_lo, s31
	s_cbranch_execnz .LBB2_3849
; %bb.3575:                             ;   in Loop: Header=BB2_3273 Depth=3
	s_or_saveexec_b32 s31, s31
	v_mov_b32_e32 v166, s15
	s_xor_b32 exec_lo, exec_lo, s31
	s_cbranch_execnz .LBB2_3852
.LBB2_3576:                             ;   in Loop: Header=BB2_3273 Depth=3
	s_or_b32 exec_lo, exec_lo, s31
	s_and_saveexec_b32 s15, s14
	s_cbranch_execz .LBB2_3578
.LBB2_3577:                             ;   in Loop: Header=BB2_3273 Depth=3
	v_bfe_u32 v166, v9, 16, 2
	v_lshlrev_b32_e32 v177, 8, v9
	s_delay_alu instid0(VALU_DEP_2) | instskip(NEXT) | instid1(VALU_DEP_1)
	v_clz_i32_u32_e32 v167, v166
	v_min_u32_e32 v167, 32, v167
	s_delay_alu instid0(VALU_DEP_1) | instskip(SKIP_1) | instid1(VALU_DEP_2)
	v_subrev_nc_u32_e32 v176, 29, v167
	v_sub_nc_u32_e32 v167, 30, v167
	v_lshlrev_b32_e32 v165, v176, v165
	v_bfe_u32 v176, v9, 18, 5
	s_delay_alu instid0(VALU_DEP_2) | instskip(NEXT) | instid1(VALU_DEP_2)
	v_and_b32_e32 v165, 3, v165
	v_cmp_eq_u32_e32 vcc_lo, 0, v176
	v_cndmask_b32_e32 v167, v176, v167, vcc_lo
	s_delay_alu instid0(VALU_DEP_3) | instskip(SKIP_1) | instid1(VALU_DEP_3)
	v_cndmask_b32_e32 v165, v166, v165, vcc_lo
	v_and_b32_e32 v166, 0x80000000, v177
	v_lshl_add_u32 v167, v167, 23, 0x37800000
	s_delay_alu instid0(VALU_DEP_3) | instskip(NEXT) | instid1(VALU_DEP_1)
	v_lshlrev_b32_e32 v165, 21, v165
	v_or3_b32 v166, v166, v167, v165
.LBB2_3578:                             ;   in Loop: Header=BB2_3273 Depth=3
	s_or_b32 exec_lo, exec_lo, s15
	s_delay_alu instid0(VALU_DEP_1) | instskip(NEXT) | instid1(VALU_DEP_1)
	v_add_f32_e32 v165, v161, v166
	v_and_b32_e32 v161, 0x7f800000, v165
	s_delay_alu instid0(VALU_DEP_1)
	v_cmp_ne_u32_e32 vcc_lo, 0x7f800000, v161
	v_mov_b32_e32 v161, 0x80
	s_and_saveexec_b32 s15, vcc_lo
	s_cbranch_execz .LBB2_3586
; %bb.3579:                             ;   in Loop: Header=BB2_3273 Depth=3
	v_mov_b32_e32 v161, 0
	s_mov_b32 s31, exec_lo
	v_cmpx_ne_u32_e32 0, v165
	s_cbranch_execz .LBB2_3585
; %bb.3580:                             ;   in Loop: Header=BB2_3273 Depth=3
	v_bfe_u32 v161, v165, 23, 8
	s_delay_alu instid0(VALU_DEP_1) | instskip(SKIP_1) | instid1(VALU_DEP_2)
	v_sub_nc_u32_e32 v167, 0x70, v161
	v_cmp_gt_u32_e32 vcc_lo, 0x71, v161
	v_dual_cndmask_b32 v167, 0, v167 :: v_dual_and_b32 v166, 0x7fffff, v165
	s_delay_alu instid0(VALU_DEP_1) | instskip(SKIP_2) | instid1(VALU_DEP_4)
	v_or_b32_e32 v176, 0x800000, v166
	v_cmp_eq_u32_e32 vcc_lo, 0, v161
	v_add_nc_u32_e32 v161, 0xffffff91, v161
	v_cndmask_b32_e64 v167, v167, 0x6f, vcc_lo
	s_delay_alu instid0(VALU_DEP_4) | instskip(NEXT) | instid1(VALU_DEP_3)
	v_cndmask_b32_e32 v166, v176, v166, vcc_lo
	v_cndmask_b32_e64 v161, v161, 0xffffff92, vcc_lo
	s_delay_alu instid0(VALU_DEP_3) | instskip(NEXT) | instid1(VALU_DEP_3)
	v_lshl_add_u32 v176, 0x200000, v167, -1
	v_lshrrev_b32_e32 v177, v167, v166
	v_lshlrev_b32_e64 v179, v167, 0x100000
	s_delay_alu instid0(VALU_DEP_4) | instskip(NEXT) | instid1(VALU_DEP_4)
	v_add_nc_u32_e32 v167, v167, v161
	v_and_b32_e32 v166, v176, v166
	s_delay_alu instid0(VALU_DEP_4) | instskip(NEXT) | instid1(VALU_DEP_2)
	v_bfe_u32 v178, v177, 21, 1
	v_cmp_eq_u32_e64 s14, v166, v179
	s_delay_alu instid0(VALU_DEP_2) | instskip(NEXT) | instid1(VALU_DEP_1)
	v_add_nc_u32_e32 v176, -1, v178
	v_cndmask_b32_e64 v166, 0, v176, s14
	v_lshrrev_b32_e32 v176, 23, v177
	s_mov_b32 s14, exec_lo
	s_delay_alu instid0(VALU_DEP_2) | instskip(NEXT) | instid1(VALU_DEP_2)
	v_add_nc_u32_e32 v166, v166, v177
	v_xor_b32_e32 v176, 1, v176
	s_delay_alu instid0(VALU_DEP_2) | instskip(NEXT) | instid1(VALU_DEP_1)
	v_and_b32_e32 v161, 0x1fffff, v166
	v_add_nc_u32_e32 v166, v161, v177
                                        ; implicit-def: $vgpr161
	s_delay_alu instid0(VALU_DEP_3)
	v_cmpx_ne_u32_e64 v167, v176
	s_xor_b32 s14, exec_lo, s14
; %bb.3581:                             ;   in Loop: Header=BB2_3273 Depth=3
	s_delay_alu instid0(VALU_DEP_2) | instskip(SKIP_2) | instid1(VALU_DEP_2)
	v_cmp_lt_u32_e32 vcc_lo, 0xffffff, v166
	v_sub_nc_u32_e32 v161, v167, v176
	v_cndmask_b32_e64 v167, 0, 1, vcc_lo
	v_add_co_ci_u32_e32 v161, vcc_lo, 0, v161, vcc_lo
	s_delay_alu instid0(VALU_DEP_2)
	v_lshrrev_b32_e32 v166, v167, v166
; %bb.3582:                             ;   in Loop: Header=BB2_3273 Depth=3
	s_and_not1_saveexec_b32 s14, s14
; %bb.3583:                             ;   in Loop: Header=BB2_3273 Depth=3
	s_delay_alu instid0(VALU_DEP_1)
	v_bfe_u32 v161, v166, 23, 1
; %bb.3584:                             ;   in Loop: Header=BB2_3273 Depth=3
	s_or_b32 exec_lo, exec_lo, s14
	v_lshrrev_b32_e32 v166, 21, v166
	s_delay_alu instid0(VALU_DEP_2) | instskip(SKIP_2) | instid1(VALU_DEP_2)
	v_cmp_gt_i32_e32 vcc_lo, 32, v161
	v_min_i32_e32 v167, 31, v161
	v_lshrrev_b32_e32 v165, 24, v165
	v_dual_cndmask_b32 v166, 3, v166 :: v_dual_lshlrev_b32 v167, 2, v167
	s_delay_alu instid0(VALU_DEP_2) | instskip(NEXT) | instid1(VALU_DEP_2)
	v_and_b32_e32 v165, 0x80, v165
	v_or_b32_e32 v161, v161, v166
	s_delay_alu instid0(VALU_DEP_3) | instskip(NEXT) | instid1(VALU_DEP_2)
	v_and_b32_e32 v167, 0xfc, v167
	v_cmp_ne_u32_e32 vcc_lo, 0, v161
	v_and_b32_e32 v176, 3, v166
	s_delay_alu instid0(VALU_DEP_1) | instskip(NEXT) | instid1(VALU_DEP_1)
	v_or3_b32 v165, v167, v165, v176
	v_cndmask_b32_e32 v161, 0, v165, vcc_lo
.LBB2_3585:                             ;   in Loop: Header=BB2_3273 Depth=3
	s_or_b32 exec_lo, exec_lo, s31
.LBB2_3586:                             ;   in Loop: Header=BB2_3273 Depth=3
	s_delay_alu instid0(SALU_CYCLE_1) | instskip(SKIP_3) | instid1(VALU_DEP_1)
	s_or_b32 exec_lo, exec_lo, s15
	v_lshrrev_b32_e32 v166, 24, v164
	s_mov_b32 s14, 0
	s_mov_b32 s31, exec_lo
                                        ; implicit-def: $sgpr15
	v_cmpx_lt_i16_e64 0x7f, v166
	s_xor_b32 s31, exec_lo, s31
	s_cbranch_execnz .LBB2_3853
; %bb.3587:                             ;   in Loop: Header=BB2_3273 Depth=3
	s_or_saveexec_b32 s31, s31
	v_mov_b32_e32 v165, s15
	s_xor_b32 exec_lo, exec_lo, s31
	s_cbranch_execnz .LBB2_3856
.LBB2_3588:                             ;   in Loop: Header=BB2_3273 Depth=3
	s_or_b32 exec_lo, exec_lo, s31
	s_and_saveexec_b32 s15, s14
	s_cbranch_execz .LBB2_3590
.LBB2_3589:                             ;   in Loop: Header=BB2_3273 Depth=3
	v_bfe_u32 v165, v164, 24, 2
	s_delay_alu instid0(VALU_DEP_1) | instskip(NEXT) | instid1(VALU_DEP_1)
	v_clz_i32_u32_e32 v167, v165
	v_min_u32_e32 v167, 32, v167
	s_delay_alu instid0(VALU_DEP_1) | instskip(SKIP_1) | instid1(VALU_DEP_2)
	v_subrev_nc_u32_e32 v176, 29, v167
	v_sub_nc_u32_e32 v167, 30, v167
	v_lshlrev_b32_e32 v166, v176, v166
	v_bfe_u32 v176, v164, 26, 5
	v_and_b32_e32 v164, 0x80000000, v164
	s_delay_alu instid0(VALU_DEP_2) | instskip(NEXT) | instid1(VALU_DEP_4)
	v_cmp_eq_u32_e32 vcc_lo, 0, v176
	v_dual_cndmask_b32 v167, v176, v167 :: v_dual_and_b32 v166, 3, v166
	s_delay_alu instid0(VALU_DEP_1) | instskip(NEXT) | instid1(VALU_DEP_2)
	v_cndmask_b32_e32 v165, v165, v166, vcc_lo
	v_lshl_add_u32 v166, v167, 23, 0x37800000
	s_delay_alu instid0(VALU_DEP_2) | instskip(NEXT) | instid1(VALU_DEP_1)
	v_lshlrev_b32_e32 v165, 21, v165
	v_or3_b32 v165, v164, v166, v165
.LBB2_3590:                             ;   in Loop: Header=BB2_3273 Depth=3
	s_or_b32 exec_lo, exec_lo, s15
	v_lshrrev_b32_e32 v164, 24, v9
	s_mov_b32 s14, 0
	s_mov_b32 s31, exec_lo
                                        ; implicit-def: $sgpr15
	s_delay_alu instid0(VALU_DEP_1)
	v_cmpx_lt_i16_e64 0x7f, v164
	s_xor_b32 s31, exec_lo, s31
	s_cbranch_execnz .LBB2_3857
; %bb.3591:                             ;   in Loop: Header=BB2_3273 Depth=3
	s_or_saveexec_b32 s31, s31
	v_mov_b32_e32 v166, s15
	s_xor_b32 exec_lo, exec_lo, s31
	s_cbranch_execnz .LBB2_3860
.LBB2_3592:                             ;   in Loop: Header=BB2_3273 Depth=3
	s_or_b32 exec_lo, exec_lo, s31
	s_and_saveexec_b32 s15, s14
	s_cbranch_execz .LBB2_3594
.LBB2_3593:                             ;   in Loop: Header=BB2_3273 Depth=3
	v_bfe_u32 v166, v9, 24, 2
	s_delay_alu instid0(VALU_DEP_1) | instskip(NEXT) | instid1(VALU_DEP_1)
	v_clz_i32_u32_e32 v167, v166
	v_min_u32_e32 v167, 32, v167
	s_delay_alu instid0(VALU_DEP_1) | instskip(SKIP_1) | instid1(VALU_DEP_2)
	v_subrev_nc_u32_e32 v176, 29, v167
	v_sub_nc_u32_e32 v167, 30, v167
	v_lshlrev_b32_e32 v164, v176, v164
	v_bfe_u32 v176, v9, 26, 5
	v_and_b32_e32 v9, 0x80000000, v9
	s_delay_alu instid0(VALU_DEP_2) | instskip(NEXT) | instid1(VALU_DEP_4)
	v_cmp_eq_u32_e32 vcc_lo, 0, v176
	v_dual_cndmask_b32 v167, v176, v167 :: v_dual_and_b32 v164, 3, v164
	s_delay_alu instid0(VALU_DEP_1) | instskip(NEXT) | instid1(VALU_DEP_2)
	v_cndmask_b32_e32 v164, v166, v164, vcc_lo
	v_lshl_add_u32 v166, v167, 23, 0x37800000
	s_delay_alu instid0(VALU_DEP_2) | instskip(NEXT) | instid1(VALU_DEP_1)
	v_lshlrev_b32_e32 v164, 21, v164
	v_or3_b32 v166, v9, v166, v164
.LBB2_3594:                             ;   in Loop: Header=BB2_3273 Depth=3
	s_or_b32 exec_lo, exec_lo, s15
	s_delay_alu instid0(VALU_DEP_1) | instskip(NEXT) | instid1(VALU_DEP_1)
	v_add_f32_e32 v164, v165, v166
	v_and_b32_e32 v9, 0x7f800000, v164
	s_delay_alu instid0(VALU_DEP_1)
	v_cmp_ne_u32_e32 vcc_lo, 0x7f800000, v9
	v_mov_b32_e32 v9, 0x8000
	s_and_saveexec_b32 s15, vcc_lo
	s_cbranch_execz .LBB2_3602
; %bb.3595:                             ;   in Loop: Header=BB2_3273 Depth=3
	v_mov_b32_e32 v9, 0
	s_mov_b32 s31, exec_lo
	v_cmpx_ne_u32_e32 0, v164
	s_cbranch_execz .LBB2_3601
; %bb.3596:                             ;   in Loop: Header=BB2_3273 Depth=3
	v_bfe_u32 v9, v164, 23, 8
	s_delay_alu instid0(VALU_DEP_1) | instskip(SKIP_1) | instid1(VALU_DEP_2)
	v_sub_nc_u32_e32 v166, 0x70, v9
	v_cmp_gt_u32_e32 vcc_lo, 0x71, v9
	v_dual_cndmask_b32 v166, 0, v166 :: v_dual_and_b32 v165, 0x7fffff, v164
	s_delay_alu instid0(VALU_DEP_1) | instskip(SKIP_2) | instid1(VALU_DEP_4)
	v_or_b32_e32 v167, 0x800000, v165
	v_cmp_eq_u32_e32 vcc_lo, 0, v9
	v_add_nc_u32_e32 v9, 0xffffff91, v9
	v_cndmask_b32_e64 v166, v166, 0x6f, vcc_lo
	s_delay_alu instid0(VALU_DEP_4) | instskip(NEXT) | instid1(VALU_DEP_3)
	v_cndmask_b32_e32 v165, v167, v165, vcc_lo
	v_cndmask_b32_e64 v9, v9, 0xffffff92, vcc_lo
	s_delay_alu instid0(VALU_DEP_3) | instskip(NEXT) | instid1(VALU_DEP_3)
	v_lshl_add_u32 v167, 0x200000, v166, -1
	v_lshrrev_b32_e32 v176, v166, v165
	v_lshlrev_b32_e64 v178, v166, 0x100000
	s_delay_alu instid0(VALU_DEP_4) | instskip(NEXT) | instid1(VALU_DEP_4)
	v_add_nc_u32_e32 v166, v166, v9
	v_and_b32_e32 v165, v167, v165
	s_delay_alu instid0(VALU_DEP_4) | instskip(NEXT) | instid1(VALU_DEP_2)
	v_bfe_u32 v177, v176, 21, 1
	v_cmp_eq_u32_e64 s14, v165, v178
	s_delay_alu instid0(VALU_DEP_2) | instskip(NEXT) | instid1(VALU_DEP_1)
	v_add_nc_u32_e32 v167, -1, v177
	v_cndmask_b32_e64 v165, 0, v167, s14
	v_lshrrev_b32_e32 v167, 23, v176
	s_mov_b32 s14, exec_lo
	s_delay_alu instid0(VALU_DEP_2) | instskip(NEXT) | instid1(VALU_DEP_2)
	v_add_nc_u32_e32 v165, v165, v176
	v_xor_b32_e32 v167, 1, v167
	s_delay_alu instid0(VALU_DEP_2) | instskip(NEXT) | instid1(VALU_DEP_1)
	v_and_b32_e32 v9, 0x1fffff, v165
	v_add_nc_u32_e32 v165, v9, v176
                                        ; implicit-def: $vgpr9
	s_delay_alu instid0(VALU_DEP_3)
	v_cmpx_ne_u32_e64 v166, v167
	s_xor_b32 s14, exec_lo, s14
; %bb.3597:                             ;   in Loop: Header=BB2_3273 Depth=3
	s_delay_alu instid0(VALU_DEP_2) | instskip(SKIP_2) | instid1(VALU_DEP_2)
	v_cmp_lt_u32_e32 vcc_lo, 0xffffff, v165
	v_sub_nc_u32_e32 v9, v166, v167
	v_cndmask_b32_e64 v166, 0, 1, vcc_lo
	v_add_co_ci_u32_e32 v9, vcc_lo, 0, v9, vcc_lo
	s_delay_alu instid0(VALU_DEP_2)
	v_lshrrev_b32_e32 v165, v166, v165
; %bb.3598:                             ;   in Loop: Header=BB2_3273 Depth=3
	s_and_not1_saveexec_b32 s14, s14
; %bb.3599:                             ;   in Loop: Header=BB2_3273 Depth=3
	s_delay_alu instid0(VALU_DEP_1)
	v_bfe_u32 v9, v165, 23, 1
; %bb.3600:                             ;   in Loop: Header=BB2_3273 Depth=3
	s_or_b32 exec_lo, exec_lo, s14
	v_lshrrev_b32_e32 v165, 21, v165
	s_delay_alu instid0(VALU_DEP_2) | instskip(SKIP_2) | instid1(VALU_DEP_2)
	v_cmp_gt_i32_e32 vcc_lo, 32, v9
	v_min_i32_e32 v166, 31, v9
	v_lshrrev_b32_e32 v164, 24, v164
	v_dual_cndmask_b32 v165, 3, v165 :: v_dual_lshlrev_b32 v166, 2, v166
	s_delay_alu instid0(VALU_DEP_2) | instskip(NEXT) | instid1(VALU_DEP_2)
	v_and_b32_e32 v164, 0x80, v164
	v_or_b32_e32 v9, v9, v165
	v_and_b32_e32 v167, 3, v165
	s_delay_alu instid0(VALU_DEP_2) | instskip(SKIP_1) | instid1(VALU_DEP_1)
	v_cmp_ne_u32_e32 vcc_lo, 0, v9
	v_and_b32_e32 v166, 0xfc, v166
	v_or3_b32 v164, v164, v166, v167
	s_delay_alu instid0(VALU_DEP_1) | instskip(NEXT) | instid1(VALU_DEP_1)
	v_lshlrev_b32_e32 v164, 8, v164
	v_cndmask_b32_e32 v9, 0, v164, vcc_lo
.LBB2_3601:                             ;   in Loop: Header=BB2_3273 Depth=3
	s_or_b32 exec_lo, exec_lo, s31
.LBB2_3602:                             ;   in Loop: Header=BB2_3273 Depth=3
	s_delay_alu instid0(SALU_CYCLE_1) | instskip(SKIP_3) | instid1(VALU_DEP_1)
	s_or_b32 exec_lo, exec_lo, s15
	v_and_b32_e32 v165, 0xff, v151
	s_mov_b32 s14, 0
	s_mov_b32 s31, exec_lo
                                        ; implicit-def: $sgpr15
	v_cmpx_lt_i16_e64 0x7f, v165
	s_xor_b32 s31, exec_lo, s31
	s_cbranch_execnz .LBB2_3861
; %bb.3603:                             ;   in Loop: Header=BB2_3273 Depth=3
	s_or_saveexec_b32 s31, s31
	v_mov_b32_e32 v164, s15
	s_xor_b32 exec_lo, exec_lo, s31
	s_cbranch_execnz .LBB2_3864
.LBB2_3604:                             ;   in Loop: Header=BB2_3273 Depth=3
	s_or_b32 exec_lo, exec_lo, s31
	s_and_saveexec_b32 s15, s14
	s_cbranch_execz .LBB2_3606
.LBB2_3605:                             ;   in Loop: Header=BB2_3273 Depth=3
	v_bfe_u32 v167, v151, 2, 5
	s_delay_alu instid0(VALU_DEP_1) | instskip(SKIP_1) | instid1(VALU_DEP_1)
	v_cmp_eq_u32_e32 vcc_lo, 0, v167
	v_and_b32_e32 v164, 3, v151
	v_clz_i32_u32_e32 v165, v164
	s_delay_alu instid0(VALU_DEP_1) | instskip(NEXT) | instid1(VALU_DEP_1)
	v_min_u32_e32 v165, 32, v165
	v_subrev_nc_u32_e32 v166, 29, v165
	v_sub_nc_u32_e32 v165, 30, v165
	s_delay_alu instid0(VALU_DEP_1) | instskip(NEXT) | instid1(VALU_DEP_1)
	v_dual_cndmask_b32 v165, v167, v165 :: v_dual_lshlrev_b32 v166, v166, v151
	v_and_b32_e32 v166, 3, v166
	v_lshlrev_b32_e32 v151, 24, v151
	s_delay_alu instid0(VALU_DEP_3) | instskip(NEXT) | instid1(VALU_DEP_2)
	v_lshl_add_u32 v165, v165, 23, 0x37800000
	v_dual_cndmask_b32 v164, v164, v166 :: v_dual_and_b32 v151, 0x80000000, v151
	s_delay_alu instid0(VALU_DEP_1) | instskip(NEXT) | instid1(VALU_DEP_1)
	v_lshlrev_b32_e32 v164, 21, v164
	v_or3_b32 v164, v151, v165, v164
.LBB2_3606:                             ;   in Loop: Header=BB2_3273 Depth=3
	s_or_b32 exec_lo, exec_lo, s15
	v_and_b32_e32 v165, 0xff, v10
	s_mov_b32 s14, 0
	s_mov_b32 s31, exec_lo
                                        ; implicit-def: $sgpr15
	s_delay_alu instid0(VALU_DEP_1)
	v_cmpx_lt_i16_e64 0x7f, v165
	s_xor_b32 s31, exec_lo, s31
	s_cbranch_execnz .LBB2_3865
; %bb.3607:                             ;   in Loop: Header=BB2_3273 Depth=3
	s_or_saveexec_b32 s31, s31
	v_mov_b32_e32 v151, s15
	s_xor_b32 exec_lo, exec_lo, s31
	s_cbranch_execnz .LBB2_3868
.LBB2_3608:                             ;   in Loop: Header=BB2_3273 Depth=3
	s_or_b32 exec_lo, exec_lo, s31
	s_and_saveexec_b32 s15, s14
	s_cbranch_execz .LBB2_3610
.LBB2_3609:                             ;   in Loop: Header=BB2_3273 Depth=3
	v_and_b32_e32 v151, 3, v10
	v_bfe_u32 v167, v10, 2, 5
	v_lshlrev_b32_e32 v176, 24, v10
	s_delay_alu instid0(VALU_DEP_3) | instskip(NEXT) | instid1(VALU_DEP_3)
	v_clz_i32_u32_e32 v165, v151
	v_cmp_eq_u32_e32 vcc_lo, 0, v167
	s_delay_alu instid0(VALU_DEP_2) | instskip(NEXT) | instid1(VALU_DEP_1)
	v_min_u32_e32 v165, 32, v165
	v_subrev_nc_u32_e32 v166, 29, v165
	v_sub_nc_u32_e32 v165, 30, v165
	s_delay_alu instid0(VALU_DEP_1) | instskip(NEXT) | instid1(VALU_DEP_1)
	v_dual_cndmask_b32 v165, v167, v165 :: v_dual_lshlrev_b32 v166, v166, v10
	v_and_b32_e32 v166, 3, v166
	s_delay_alu instid0(VALU_DEP_2) | instskip(NEXT) | instid1(VALU_DEP_2)
	v_lshl_add_u32 v165, v165, 23, 0x37800000
	v_dual_cndmask_b32 v151, v151, v166 :: v_dual_and_b32 v166, 0x80000000, v176
	s_delay_alu instid0(VALU_DEP_1) | instskip(NEXT) | instid1(VALU_DEP_1)
	v_lshlrev_b32_e32 v151, 21, v151
	v_or3_b32 v151, v166, v165, v151
.LBB2_3610:                             ;   in Loop: Header=BB2_3273 Depth=3
	s_or_b32 exec_lo, exec_lo, s15
	s_delay_alu instid0(VALU_DEP_1) | instskip(NEXT) | instid1(VALU_DEP_1)
	v_add_f32_e32 v164, v164, v151
	v_and_b32_e32 v151, 0x7f800000, v164
	s_delay_alu instid0(VALU_DEP_1)
	v_cmp_ne_u32_e32 vcc_lo, 0x7f800000, v151
	v_mov_b32_e32 v151, 0x80
	s_and_saveexec_b32 s15, vcc_lo
	s_cbranch_execz .LBB2_3618
; %bb.3611:                             ;   in Loop: Header=BB2_3273 Depth=3
	v_mov_b32_e32 v151, 0
	s_mov_b32 s31, exec_lo
	v_cmpx_ne_u32_e32 0, v164
	s_cbranch_execz .LBB2_3617
; %bb.3612:                             ;   in Loop: Header=BB2_3273 Depth=3
	v_bfe_u32 v151, v164, 23, 8
	s_delay_alu instid0(VALU_DEP_1) | instskip(SKIP_1) | instid1(VALU_DEP_2)
	v_sub_nc_u32_e32 v166, 0x70, v151
	v_cmp_gt_u32_e32 vcc_lo, 0x71, v151
	v_dual_cndmask_b32 v166, 0, v166 :: v_dual_and_b32 v165, 0x7fffff, v164
	s_delay_alu instid0(VALU_DEP_1) | instskip(SKIP_2) | instid1(VALU_DEP_4)
	v_or_b32_e32 v167, 0x800000, v165
	v_cmp_eq_u32_e32 vcc_lo, 0, v151
	v_add_nc_u32_e32 v151, 0xffffff91, v151
	v_cndmask_b32_e64 v166, v166, 0x6f, vcc_lo
	s_delay_alu instid0(VALU_DEP_2) | instskip(SKIP_1) | instid1(VALU_DEP_3)
	v_cndmask_b32_e64 v151, v151, 0xffffff92, vcc_lo
	v_cndmask_b32_e32 v165, v167, v165, vcc_lo
	v_lshl_add_u32 v167, 0x200000, v166, -1
	v_lshlrev_b32_e64 v178, v166, 0x100000
	s_delay_alu instid0(VALU_DEP_3) | instskip(SKIP_1) | instid1(VALU_DEP_4)
	v_lshrrev_b32_e32 v176, v166, v165
	v_add_nc_u32_e32 v166, v166, v151
	v_and_b32_e32 v165, v167, v165
	s_delay_alu instid0(VALU_DEP_3) | instskip(NEXT) | instid1(VALU_DEP_2)
	v_bfe_u32 v177, v176, 21, 1
	v_cmp_eq_u32_e64 s14, v165, v178
	s_delay_alu instid0(VALU_DEP_2) | instskip(NEXT) | instid1(VALU_DEP_1)
	v_add_nc_u32_e32 v167, -1, v177
	v_cndmask_b32_e64 v165, 0, v167, s14
	v_lshrrev_b32_e32 v167, 23, v176
	s_mov_b32 s14, exec_lo
	s_delay_alu instid0(VALU_DEP_2) | instskip(NEXT) | instid1(VALU_DEP_2)
	v_add_nc_u32_e32 v165, v165, v176
	v_xor_b32_e32 v167, 1, v167
	s_delay_alu instid0(VALU_DEP_2) | instskip(NEXT) | instid1(VALU_DEP_1)
	v_and_b32_e32 v151, 0x1fffff, v165
	v_add_nc_u32_e32 v165, v151, v176
                                        ; implicit-def: $vgpr151
	s_delay_alu instid0(VALU_DEP_3)
	v_cmpx_ne_u32_e64 v166, v167
	s_xor_b32 s14, exec_lo, s14
; %bb.3613:                             ;   in Loop: Header=BB2_3273 Depth=3
	s_delay_alu instid0(VALU_DEP_2) | instskip(SKIP_2) | instid1(VALU_DEP_2)
	v_cmp_lt_u32_e32 vcc_lo, 0xffffff, v165
	v_sub_nc_u32_e32 v151, v166, v167
	v_cndmask_b32_e64 v166, 0, 1, vcc_lo
	v_add_co_ci_u32_e32 v151, vcc_lo, 0, v151, vcc_lo
	s_delay_alu instid0(VALU_DEP_2)
	v_lshrrev_b32_e32 v165, v166, v165
; %bb.3614:                             ;   in Loop: Header=BB2_3273 Depth=3
	s_and_not1_saveexec_b32 s14, s14
; %bb.3615:                             ;   in Loop: Header=BB2_3273 Depth=3
	s_delay_alu instid0(VALU_DEP_1)
	v_bfe_u32 v151, v165, 23, 1
; %bb.3616:                             ;   in Loop: Header=BB2_3273 Depth=3
	s_or_b32 exec_lo, exec_lo, s14
	v_lshrrev_b32_e32 v165, 21, v165
	s_delay_alu instid0(VALU_DEP_2) | instskip(SKIP_2) | instid1(VALU_DEP_2)
	v_cmp_gt_i32_e32 vcc_lo, 32, v151
	v_lshrrev_b32_e32 v164, 24, v164
	v_min_i32_e32 v166, 31, v151
	v_dual_cndmask_b32 v165, 3, v165 :: v_dual_and_b32 v164, 0x80, v164
	s_delay_alu instid0(VALU_DEP_1) | instskip(SKIP_1) | instid1(VALU_DEP_2)
	v_or_b32_e32 v151, v151, v165
	v_and_b32_e32 v167, 3, v165
	v_cmp_ne_u32_e32 vcc_lo, 0, v151
	v_lshlrev_b32_e32 v166, 2, v166
	s_delay_alu instid0(VALU_DEP_1) | instskip(NEXT) | instid1(VALU_DEP_1)
	v_or3_b32 v164, v166, v164, v167
	v_cndmask_b32_e32 v151, 0, v164, vcc_lo
.LBB2_3617:                             ;   in Loop: Header=BB2_3273 Depth=3
	s_or_b32 exec_lo, exec_lo, s31
.LBB2_3618:                             ;   in Loop: Header=BB2_3273 Depth=3
	s_delay_alu instid0(SALU_CYCLE_1) | instskip(SKIP_3) | instid1(VALU_DEP_1)
	s_or_b32 exec_lo, exec_lo, s15
	v_and_b32_e32 v165, 0xff, v149
	s_mov_b32 s14, 0
	s_mov_b32 s31, exec_lo
                                        ; implicit-def: $sgpr15
	v_cmpx_lt_i16_e64 0x7f, v165
	s_xor_b32 s31, exec_lo, s31
	s_cbranch_execnz .LBB2_3869
; %bb.3619:                             ;   in Loop: Header=BB2_3273 Depth=3
	s_or_saveexec_b32 s31, s31
	v_mov_b32_e32 v164, s15
	s_xor_b32 exec_lo, exec_lo, s31
	s_cbranch_execnz .LBB2_3872
.LBB2_3620:                             ;   in Loop: Header=BB2_3273 Depth=3
	s_or_b32 exec_lo, exec_lo, s31
	s_and_saveexec_b32 s15, s14
	s_cbranch_execz .LBB2_3622
.LBB2_3621:                             ;   in Loop: Header=BB2_3273 Depth=3
	v_and_b32_e32 v164, 3, v149
	v_bfe_u32 v167, v149, 2, 5
	s_delay_alu instid0(VALU_DEP_2) | instskip(NEXT) | instid1(VALU_DEP_2)
	v_clz_i32_u32_e32 v165, v164
	v_cmp_eq_u32_e32 vcc_lo, 0, v167
	s_delay_alu instid0(VALU_DEP_2) | instskip(NEXT) | instid1(VALU_DEP_1)
	v_min_u32_e32 v165, 32, v165
	v_subrev_nc_u32_e32 v166, 29, v165
	v_sub_nc_u32_e32 v165, 30, v165
	s_delay_alu instid0(VALU_DEP_2) | instskip(NEXT) | instid1(VALU_DEP_1)
	v_lshlrev_b32_e32 v166, v166, v149
	v_dual_cndmask_b32 v165, v167, v165 :: v_dual_and_b32 v166, 3, v166
	v_lshlrev_b32_e32 v149, 24, v149
	s_delay_alu instid0(VALU_DEP_2) | instskip(NEXT) | instid1(VALU_DEP_2)
	v_lshl_add_u32 v165, v165, 23, 0x37800000
	v_dual_cndmask_b32 v164, v164, v166 :: v_dual_and_b32 v149, 0x80000000, v149
	s_delay_alu instid0(VALU_DEP_1) | instskip(NEXT) | instid1(VALU_DEP_1)
	v_lshlrev_b32_e32 v164, 21, v164
	v_or3_b32 v164, v149, v165, v164
.LBB2_3622:                             ;   in Loop: Header=BB2_3273 Depth=3
	s_or_b32 exec_lo, exec_lo, s15
	v_lshrrev_b16 v149, 8, v10
	s_mov_b32 s14, 0
	s_mov_b32 s31, exec_lo
                                        ; implicit-def: $sgpr15
	s_delay_alu instid0(VALU_DEP_1)
	v_cmpx_lt_i16_e64 0x7f, v149
	s_xor_b32 s31, exec_lo, s31
	s_cbranch_execnz .LBB2_3873
; %bb.3623:                             ;   in Loop: Header=BB2_3273 Depth=3
	s_or_saveexec_b32 s31, s31
	v_mov_b32_e32 v165, s15
	s_xor_b32 exec_lo, exec_lo, s31
	s_cbranch_execnz .LBB2_3876
.LBB2_3624:                             ;   in Loop: Header=BB2_3273 Depth=3
	s_or_b32 exec_lo, exec_lo, s31
	s_and_saveexec_b32 s15, s14
	s_cbranch_execz .LBB2_3626
.LBB2_3625:                             ;   in Loop: Header=BB2_3273 Depth=3
	v_and_b32_e32 v165, 0xffff, v149
	v_lshlrev_b32_e32 v149, 24, v149
	s_delay_alu instid0(VALU_DEP_2) | instskip(NEXT) | instid1(VALU_DEP_2)
	v_and_b32_e32 v166, 3, v165
	v_and_b32_e32 v149, 0x80000000, v149
	s_delay_alu instid0(VALU_DEP_2) | instskip(NEXT) | instid1(VALU_DEP_1)
	v_clz_i32_u32_e32 v167, v166
	v_min_u32_e32 v167, 32, v167
	s_delay_alu instid0(VALU_DEP_1) | instskip(SKIP_1) | instid1(VALU_DEP_2)
	v_subrev_nc_u32_e32 v176, 29, v167
	v_sub_nc_u32_e32 v167, 30, v167
	v_lshlrev_b32_e32 v176, v176, v165
	v_bfe_u32 v165, v165, 2, 5
	s_delay_alu instid0(VALU_DEP_2) | instskip(NEXT) | instid1(VALU_DEP_2)
	v_and_b32_e32 v176, 3, v176
	v_cmp_eq_u32_e32 vcc_lo, 0, v165
	s_delay_alu instid0(VALU_DEP_2) | instskip(NEXT) | instid1(VALU_DEP_1)
	v_dual_cndmask_b32 v165, v165, v167 :: v_dual_cndmask_b32 v166, v166, v176
	v_lshl_add_u32 v165, v165, 23, 0x37800000
	s_delay_alu instid0(VALU_DEP_2) | instskip(NEXT) | instid1(VALU_DEP_1)
	v_lshlrev_b32_e32 v166, 21, v166
	v_or3_b32 v165, v149, v165, v166
.LBB2_3626:                             ;   in Loop: Header=BB2_3273 Depth=3
	s_or_b32 exec_lo, exec_lo, s15
	s_delay_alu instid0(VALU_DEP_1) | instskip(NEXT) | instid1(VALU_DEP_1)
	v_add_f32_e32 v164, v164, v165
	v_and_b32_e32 v149, 0x7f800000, v164
	s_delay_alu instid0(VALU_DEP_1)
	v_cmp_ne_u32_e32 vcc_lo, 0x7f800000, v149
	v_mov_b32_e32 v149, 0x80
	s_and_saveexec_b32 s15, vcc_lo
	s_cbranch_execz .LBB2_3634
; %bb.3627:                             ;   in Loop: Header=BB2_3273 Depth=3
	v_mov_b32_e32 v149, 0
	s_mov_b32 s31, exec_lo
	v_cmpx_ne_u32_e32 0, v164
	s_cbranch_execz .LBB2_3633
; %bb.3628:                             ;   in Loop: Header=BB2_3273 Depth=3
	v_bfe_u32 v149, v164, 23, 8
	s_delay_alu instid0(VALU_DEP_1) | instskip(SKIP_1) | instid1(VALU_DEP_2)
	v_sub_nc_u32_e32 v166, 0x70, v149
	v_cmp_gt_u32_e32 vcc_lo, 0x71, v149
	v_dual_cndmask_b32 v166, 0, v166 :: v_dual_and_b32 v165, 0x7fffff, v164
	s_delay_alu instid0(VALU_DEP_1) | instskip(SKIP_2) | instid1(VALU_DEP_4)
	v_or_b32_e32 v167, 0x800000, v165
	v_cmp_eq_u32_e32 vcc_lo, 0, v149
	v_add_nc_u32_e32 v149, 0xffffff91, v149
	v_cndmask_b32_e64 v166, v166, 0x6f, vcc_lo
	s_delay_alu instid0(VALU_DEP_4) | instskip(NEXT) | instid1(VALU_DEP_3)
	v_cndmask_b32_e32 v165, v167, v165, vcc_lo
	v_cndmask_b32_e64 v149, v149, 0xffffff92, vcc_lo
	s_delay_alu instid0(VALU_DEP_3) | instskip(NEXT) | instid1(VALU_DEP_3)
	v_lshl_add_u32 v167, 0x200000, v166, -1
	v_lshrrev_b32_e32 v176, v166, v165
	v_lshlrev_b32_e64 v178, v166, 0x100000
	s_delay_alu instid0(VALU_DEP_4) | instskip(NEXT) | instid1(VALU_DEP_4)
	v_add_nc_u32_e32 v166, v166, v149
	v_and_b32_e32 v165, v167, v165
	s_delay_alu instid0(VALU_DEP_4) | instskip(NEXT) | instid1(VALU_DEP_2)
	v_bfe_u32 v177, v176, 21, 1
	v_cmp_eq_u32_e64 s14, v165, v178
	s_delay_alu instid0(VALU_DEP_2) | instskip(NEXT) | instid1(VALU_DEP_1)
	v_add_nc_u32_e32 v167, -1, v177
	v_cndmask_b32_e64 v165, 0, v167, s14
	v_lshrrev_b32_e32 v167, 23, v176
	s_mov_b32 s14, exec_lo
	s_delay_alu instid0(VALU_DEP_2) | instskip(NEXT) | instid1(VALU_DEP_2)
	v_add_nc_u32_e32 v165, v165, v176
	v_xor_b32_e32 v167, 1, v167
	s_delay_alu instid0(VALU_DEP_2) | instskip(NEXT) | instid1(VALU_DEP_1)
	v_and_b32_e32 v149, 0x1fffff, v165
	v_add_nc_u32_e32 v165, v149, v176
                                        ; implicit-def: $vgpr149
	s_delay_alu instid0(VALU_DEP_3)
	v_cmpx_ne_u32_e64 v166, v167
	s_xor_b32 s14, exec_lo, s14
; %bb.3629:                             ;   in Loop: Header=BB2_3273 Depth=3
	s_delay_alu instid0(VALU_DEP_2) | instskip(SKIP_2) | instid1(VALU_DEP_2)
	v_cmp_lt_u32_e32 vcc_lo, 0xffffff, v165
	v_sub_nc_u32_e32 v149, v166, v167
	v_cndmask_b32_e64 v166, 0, 1, vcc_lo
	v_add_co_ci_u32_e32 v149, vcc_lo, 0, v149, vcc_lo
	s_delay_alu instid0(VALU_DEP_2)
	v_lshrrev_b32_e32 v165, v166, v165
; %bb.3630:                             ;   in Loop: Header=BB2_3273 Depth=3
	s_and_not1_saveexec_b32 s14, s14
; %bb.3631:                             ;   in Loop: Header=BB2_3273 Depth=3
	s_delay_alu instid0(VALU_DEP_1)
	v_bfe_u32 v149, v165, 23, 1
; %bb.3632:                             ;   in Loop: Header=BB2_3273 Depth=3
	s_or_b32 exec_lo, exec_lo, s14
	v_lshrrev_b32_e32 v165, 21, v165
	s_delay_alu instid0(VALU_DEP_2) | instskip(SKIP_2) | instid1(VALU_DEP_2)
	v_cmp_gt_i32_e32 vcc_lo, 32, v149
	v_lshrrev_b32_e32 v164, 24, v164
	v_min_i32_e32 v166, 31, v149
	v_dual_cndmask_b32 v165, 3, v165 :: v_dual_and_b32 v164, 0x80, v164
	s_delay_alu instid0(VALU_DEP_1) | instskip(SKIP_1) | instid1(VALU_DEP_2)
	v_or_b32_e32 v149, v149, v165
	v_and_b32_e32 v167, 3, v165
	v_cmp_ne_u32_e32 vcc_lo, 0, v149
	v_lshlrev_b32_e32 v166, 2, v166
	s_delay_alu instid0(VALU_DEP_1) | instskip(NEXT) | instid1(VALU_DEP_1)
	v_or3_b32 v164, v166, v164, v167
	v_cndmask_b32_e32 v149, 0, v164, vcc_lo
.LBB2_3633:                             ;   in Loop: Header=BB2_3273 Depth=3
	s_or_b32 exec_lo, exec_lo, s31
.LBB2_3634:                             ;   in Loop: Header=BB2_3273 Depth=3
	s_delay_alu instid0(SALU_CYCLE_1) | instskip(SKIP_3) | instid1(VALU_DEP_1)
	s_or_b32 exec_lo, exec_lo, s15
	v_and_b32_e32 v165, 0xff, v148
	s_mov_b32 s14, 0
	s_mov_b32 s31, exec_lo
                                        ; implicit-def: $sgpr15
	v_cmpx_lt_i16_e64 0x7f, v165
	s_xor_b32 s31, exec_lo, s31
	s_cbranch_execnz .LBB2_3877
; %bb.3635:                             ;   in Loop: Header=BB2_3273 Depth=3
	s_or_saveexec_b32 s31, s31
	v_mov_b32_e32 v164, s15
	s_xor_b32 exec_lo, exec_lo, s31
	s_cbranch_execnz .LBB2_3880
.LBB2_3636:                             ;   in Loop: Header=BB2_3273 Depth=3
	s_or_b32 exec_lo, exec_lo, s31
	s_and_saveexec_b32 s15, s14
	s_cbranch_execz .LBB2_3638
.LBB2_3637:                             ;   in Loop: Header=BB2_3273 Depth=3
	v_bfe_u32 v167, v148, 2, 5
	s_delay_alu instid0(VALU_DEP_1) | instskip(SKIP_1) | instid1(VALU_DEP_1)
	v_cmp_eq_u32_e32 vcc_lo, 0, v167
	v_and_b32_e32 v164, 3, v148
	v_clz_i32_u32_e32 v165, v164
	s_delay_alu instid0(VALU_DEP_1) | instskip(NEXT) | instid1(VALU_DEP_1)
	v_min_u32_e32 v165, 32, v165
	v_subrev_nc_u32_e32 v166, 29, v165
	v_sub_nc_u32_e32 v165, 30, v165
	s_delay_alu instid0(VALU_DEP_1) | instskip(SKIP_1) | instid1(VALU_DEP_2)
	v_dual_cndmask_b32 v165, v167, v165 :: v_dual_lshlrev_b32 v166, v166, v148
	v_lshlrev_b32_e32 v148, 24, v148
	v_and_b32_e32 v166, 3, v166
	s_delay_alu instid0(VALU_DEP_3) | instskip(NEXT) | instid1(VALU_DEP_3)
	v_lshl_add_u32 v165, v165, 23, 0x37800000
	v_and_b32_e32 v148, 0x80000000, v148
	s_delay_alu instid0(VALU_DEP_3) | instskip(NEXT) | instid1(VALU_DEP_1)
	v_cndmask_b32_e32 v164, v164, v166, vcc_lo
	v_lshlrev_b32_e32 v164, 21, v164
	s_delay_alu instid0(VALU_DEP_1)
	v_or3_b32 v164, v148, v165, v164
.LBB2_3638:                             ;   in Loop: Header=BB2_3273 Depth=3
	s_or_b32 exec_lo, exec_lo, s15
	v_lshrrev_b32_e32 v148, 16, v10
	s_mov_b32 s14, 0
	s_mov_b32 s31, exec_lo
                                        ; implicit-def: $sgpr15
	s_delay_alu instid0(VALU_DEP_1) | instskip(NEXT) | instid1(VALU_DEP_1)
	v_and_b32_e32 v166, 0xff, v148
	v_cmpx_lt_i16_e64 0x7f, v166
	s_xor_b32 s31, exec_lo, s31
	s_cbranch_execnz .LBB2_3881
; %bb.3639:                             ;   in Loop: Header=BB2_3273 Depth=3
	s_or_saveexec_b32 s31, s31
	v_mov_b32_e32 v165, s15
	s_xor_b32 exec_lo, exec_lo, s31
	s_cbranch_execnz .LBB2_3884
.LBB2_3640:                             ;   in Loop: Header=BB2_3273 Depth=3
	s_or_b32 exec_lo, exec_lo, s31
	s_and_saveexec_b32 s15, s14
	s_cbranch_execz .LBB2_3642
.LBB2_3641:                             ;   in Loop: Header=BB2_3273 Depth=3
	v_bfe_u32 v165, v10, 16, 2
	v_lshlrev_b32_e32 v176, 8, v10
	s_delay_alu instid0(VALU_DEP_2) | instskip(NEXT) | instid1(VALU_DEP_1)
	v_clz_i32_u32_e32 v166, v165
	v_min_u32_e32 v166, 32, v166
	s_delay_alu instid0(VALU_DEP_1) | instskip(SKIP_1) | instid1(VALU_DEP_2)
	v_subrev_nc_u32_e32 v167, 29, v166
	v_sub_nc_u32_e32 v166, 30, v166
	v_lshlrev_b32_e32 v148, v167, v148
	v_bfe_u32 v167, v10, 18, 5
	s_delay_alu instid0(VALU_DEP_2) | instskip(NEXT) | instid1(VALU_DEP_2)
	v_and_b32_e32 v148, 3, v148
	v_cmp_eq_u32_e32 vcc_lo, 0, v167
	v_cndmask_b32_e32 v166, v167, v166, vcc_lo
	s_delay_alu instid0(VALU_DEP_3) | instskip(SKIP_1) | instid1(VALU_DEP_3)
	v_cndmask_b32_e32 v148, v165, v148, vcc_lo
	v_and_b32_e32 v165, 0x80000000, v176
	v_lshl_add_u32 v166, v166, 23, 0x37800000
	s_delay_alu instid0(VALU_DEP_3) | instskip(NEXT) | instid1(VALU_DEP_1)
	v_lshlrev_b32_e32 v148, 21, v148
	v_or3_b32 v165, v165, v166, v148
.LBB2_3642:                             ;   in Loop: Header=BB2_3273 Depth=3
	s_or_b32 exec_lo, exec_lo, s15
	s_delay_alu instid0(VALU_DEP_1) | instskip(NEXT) | instid1(VALU_DEP_1)
	v_add_f32_e32 v164, v164, v165
	v_and_b32_e32 v148, 0x7f800000, v164
	s_delay_alu instid0(VALU_DEP_1)
	v_cmp_ne_u32_e32 vcc_lo, 0x7f800000, v148
	v_mov_b32_e32 v148, 0x80
	s_and_saveexec_b32 s15, vcc_lo
	s_cbranch_execz .LBB2_3650
; %bb.3643:                             ;   in Loop: Header=BB2_3273 Depth=3
	v_mov_b32_e32 v148, 0
	s_mov_b32 s31, exec_lo
	v_cmpx_ne_u32_e32 0, v164
	s_cbranch_execz .LBB2_3649
; %bb.3644:                             ;   in Loop: Header=BB2_3273 Depth=3
	v_bfe_u32 v148, v164, 23, 8
	s_delay_alu instid0(VALU_DEP_1) | instskip(SKIP_1) | instid1(VALU_DEP_2)
	v_sub_nc_u32_e32 v166, 0x70, v148
	v_cmp_gt_u32_e32 vcc_lo, 0x71, v148
	v_dual_cndmask_b32 v166, 0, v166 :: v_dual_and_b32 v165, 0x7fffff, v164
	s_delay_alu instid0(VALU_DEP_1) | instskip(SKIP_2) | instid1(VALU_DEP_4)
	v_or_b32_e32 v167, 0x800000, v165
	v_cmp_eq_u32_e32 vcc_lo, 0, v148
	v_add_nc_u32_e32 v148, 0xffffff91, v148
	v_cndmask_b32_e64 v166, v166, 0x6f, vcc_lo
	s_delay_alu instid0(VALU_DEP_4) | instskip(NEXT) | instid1(VALU_DEP_3)
	v_cndmask_b32_e32 v165, v167, v165, vcc_lo
	v_cndmask_b32_e64 v148, v148, 0xffffff92, vcc_lo
	s_delay_alu instid0(VALU_DEP_3) | instskip(NEXT) | instid1(VALU_DEP_3)
	v_lshl_add_u32 v167, 0x200000, v166, -1
	v_lshrrev_b32_e32 v176, v166, v165
	v_lshlrev_b32_e64 v178, v166, 0x100000
	s_delay_alu instid0(VALU_DEP_4) | instskip(NEXT) | instid1(VALU_DEP_4)
	v_add_nc_u32_e32 v166, v166, v148
	v_and_b32_e32 v165, v167, v165
	s_delay_alu instid0(VALU_DEP_4) | instskip(NEXT) | instid1(VALU_DEP_2)
	v_bfe_u32 v177, v176, 21, 1
	v_cmp_eq_u32_e64 s14, v165, v178
	s_delay_alu instid0(VALU_DEP_2) | instskip(NEXT) | instid1(VALU_DEP_1)
	v_add_nc_u32_e32 v167, -1, v177
	v_cndmask_b32_e64 v165, 0, v167, s14
	v_lshrrev_b32_e32 v167, 23, v176
	s_mov_b32 s14, exec_lo
	s_delay_alu instid0(VALU_DEP_2) | instskip(NEXT) | instid1(VALU_DEP_2)
	v_add_nc_u32_e32 v165, v165, v176
	v_xor_b32_e32 v167, 1, v167
	s_delay_alu instid0(VALU_DEP_2) | instskip(NEXT) | instid1(VALU_DEP_1)
	v_and_b32_e32 v148, 0x1fffff, v165
	v_add_nc_u32_e32 v165, v148, v176
                                        ; implicit-def: $vgpr148
	s_delay_alu instid0(VALU_DEP_3)
	v_cmpx_ne_u32_e64 v166, v167
	s_xor_b32 s14, exec_lo, s14
; %bb.3645:                             ;   in Loop: Header=BB2_3273 Depth=3
	s_delay_alu instid0(VALU_DEP_2) | instskip(SKIP_2) | instid1(VALU_DEP_2)
	v_cmp_lt_u32_e32 vcc_lo, 0xffffff, v165
	v_sub_nc_u32_e32 v148, v166, v167
	v_cndmask_b32_e64 v166, 0, 1, vcc_lo
	v_add_co_ci_u32_e32 v148, vcc_lo, 0, v148, vcc_lo
	s_delay_alu instid0(VALU_DEP_2)
	v_lshrrev_b32_e32 v165, v166, v165
; %bb.3646:                             ;   in Loop: Header=BB2_3273 Depth=3
	s_and_not1_saveexec_b32 s14, s14
; %bb.3647:                             ;   in Loop: Header=BB2_3273 Depth=3
	s_delay_alu instid0(VALU_DEP_1)
	v_bfe_u32 v148, v165, 23, 1
; %bb.3648:                             ;   in Loop: Header=BB2_3273 Depth=3
	s_or_b32 exec_lo, exec_lo, s14
	v_lshrrev_b32_e32 v165, 21, v165
	s_delay_alu instid0(VALU_DEP_2) | instskip(SKIP_2) | instid1(VALU_DEP_2)
	v_cmp_gt_i32_e32 vcc_lo, 32, v148
	v_lshrrev_b32_e32 v164, 24, v164
	v_min_i32_e32 v166, 31, v148
	v_dual_cndmask_b32 v165, 3, v165 :: v_dual_and_b32 v164, 0x80, v164
	s_delay_alu instid0(VALU_DEP_2) | instskip(NEXT) | instid1(VALU_DEP_2)
	v_lshlrev_b32_e32 v166, 2, v166
	v_or_b32_e32 v148, v148, v165
	s_delay_alu instid0(VALU_DEP_1) | instskip(SKIP_1) | instid1(VALU_DEP_1)
	v_cmp_ne_u32_e32 vcc_lo, 0, v148
	v_and_b32_e32 v167, 3, v165
	v_or3_b32 v164, v166, v164, v167
	s_delay_alu instid0(VALU_DEP_1)
	v_cndmask_b32_e32 v148, 0, v164, vcc_lo
.LBB2_3649:                             ;   in Loop: Header=BB2_3273 Depth=3
	s_or_b32 exec_lo, exec_lo, s31
.LBB2_3650:                             ;   in Loop: Header=BB2_3273 Depth=3
	s_delay_alu instid0(SALU_CYCLE_1) | instskip(SKIP_3) | instid1(VALU_DEP_1)
	s_or_b32 exec_lo, exec_lo, s15
	v_and_b32_e32 v165, 0xff, v145
	s_mov_b32 s14, 0
	s_mov_b32 s31, exec_lo
                                        ; implicit-def: $sgpr15
	v_cmpx_lt_i16_e64 0x7f, v165
	s_xor_b32 s31, exec_lo, s31
	s_cbranch_execnz .LBB2_3885
; %bb.3651:                             ;   in Loop: Header=BB2_3273 Depth=3
	s_or_saveexec_b32 s31, s31
	v_mov_b32_e32 v164, s15
	s_xor_b32 exec_lo, exec_lo, s31
	s_cbranch_execnz .LBB2_3888
.LBB2_3652:                             ;   in Loop: Header=BB2_3273 Depth=3
	s_or_b32 exec_lo, exec_lo, s31
	s_and_saveexec_b32 s15, s14
	s_cbranch_execz .LBB2_3654
.LBB2_3653:                             ;   in Loop: Header=BB2_3273 Depth=3
	v_lshlrev_b32_e32 v145, 8, v145
	s_delay_alu instid0(VALU_DEP_1) | instskip(SKIP_1) | instid1(VALU_DEP_2)
	v_and_b32_e32 v164, 0xff00, v145
	v_bfe_u32 v145, v145, 10, 5
	v_bfe_u32 v166, v164, 8, 2
	s_delay_alu instid0(VALU_DEP_2) | instskip(NEXT) | instid1(VALU_DEP_2)
	v_cmp_eq_u32_e32 vcc_lo, 0, v145
	v_clz_i32_u32_e32 v167, v166
	s_delay_alu instid0(VALU_DEP_1) | instskip(NEXT) | instid1(VALU_DEP_1)
	v_min_u32_e32 v167, 32, v167
	v_subrev_nc_u32_e32 v176, 29, v167
	v_sub_nc_u32_e32 v167, 30, v167
	s_delay_alu instid0(VALU_DEP_2) | instskip(NEXT) | instid1(VALU_DEP_2)
	v_lshlrev_b32_e32 v165, v176, v165
	v_cndmask_b32_e32 v145, v145, v167, vcc_lo
	s_delay_alu instid0(VALU_DEP_2) | instskip(SKIP_1) | instid1(VALU_DEP_3)
	v_and_b32_e32 v165, 3, v165
	v_lshlrev_b32_e32 v164, 16, v164
	v_lshl_add_u32 v145, v145, 23, 0x37800000
	s_delay_alu instid0(VALU_DEP_2) | instskip(NEXT) | instid1(VALU_DEP_1)
	v_dual_cndmask_b32 v165, v166, v165 :: v_dual_and_b32 v164, 0x80000000, v164
	v_lshlrev_b32_e32 v165, 21, v165
	s_delay_alu instid0(VALU_DEP_1)
	v_or3_b32 v164, v164, v145, v165
.LBB2_3654:                             ;   in Loop: Header=BB2_3273 Depth=3
	s_or_b32 exec_lo, exec_lo, s15
	v_lshrrev_b32_e32 v145, 24, v10
	s_mov_b32 s14, 0
	s_mov_b32 s31, exec_lo
                                        ; implicit-def: $sgpr15
	s_delay_alu instid0(VALU_DEP_1)
	v_cmpx_lt_i16_e64 0x7f, v145
	s_xor_b32 s31, exec_lo, s31
	s_cbranch_execnz .LBB2_3889
; %bb.3655:                             ;   in Loop: Header=BB2_3273 Depth=3
	s_or_saveexec_b32 s31, s31
	v_mov_b32_e32 v165, s15
	s_xor_b32 exec_lo, exec_lo, s31
	s_cbranch_execnz .LBB2_3892
.LBB2_3656:                             ;   in Loop: Header=BB2_3273 Depth=3
	s_or_b32 exec_lo, exec_lo, s31
	s_and_saveexec_b32 s15, s14
	s_cbranch_execz .LBB2_3658
.LBB2_3657:                             ;   in Loop: Header=BB2_3273 Depth=3
	v_bfe_u32 v165, v10, 24, 2
	s_delay_alu instid0(VALU_DEP_1) | instskip(NEXT) | instid1(VALU_DEP_1)
	v_clz_i32_u32_e32 v166, v165
	v_min_u32_e32 v166, 32, v166
	s_delay_alu instid0(VALU_DEP_1) | instskip(SKIP_1) | instid1(VALU_DEP_2)
	v_subrev_nc_u32_e32 v167, 29, v166
	v_sub_nc_u32_e32 v166, 30, v166
	v_lshlrev_b32_e32 v145, v167, v145
	v_bfe_u32 v167, v10, 26, 5
	v_and_b32_e32 v10, 0x80000000, v10
	s_delay_alu instid0(VALU_DEP_2) | instskip(NEXT) | instid1(VALU_DEP_4)
	v_cmp_eq_u32_e32 vcc_lo, 0, v167
	v_dual_cndmask_b32 v166, v167, v166 :: v_dual_and_b32 v145, 3, v145
	s_delay_alu instid0(VALU_DEP_1) | instskip(NEXT) | instid1(VALU_DEP_2)
	v_cndmask_b32_e32 v145, v165, v145, vcc_lo
	v_lshl_add_u32 v165, v166, 23, 0x37800000
	s_delay_alu instid0(VALU_DEP_2) | instskip(NEXT) | instid1(VALU_DEP_1)
	v_lshlrev_b32_e32 v145, 21, v145
	v_or3_b32 v165, v10, v165, v145
.LBB2_3658:                             ;   in Loop: Header=BB2_3273 Depth=3
	s_or_b32 exec_lo, exec_lo, s15
	s_delay_alu instid0(VALU_DEP_1) | instskip(NEXT) | instid1(VALU_DEP_1)
	v_add_f32_e32 v145, v164, v165
	v_and_b32_e32 v10, 0x7f800000, v145
	s_delay_alu instid0(VALU_DEP_1)
	v_cmp_ne_u32_e32 vcc_lo, 0x7f800000, v10
	v_mov_b32_e32 v10, 0x80
	s_and_saveexec_b32 s15, vcc_lo
	s_cbranch_execz .LBB2_3666
; %bb.3659:                             ;   in Loop: Header=BB2_3273 Depth=3
	v_mov_b32_e32 v10, 0
	s_mov_b32 s31, exec_lo
	v_cmpx_ne_u32_e32 0, v145
	s_cbranch_execz .LBB2_3665
; %bb.3660:                             ;   in Loop: Header=BB2_3273 Depth=3
	v_bfe_u32 v10, v145, 23, 8
	v_and_b32_e32 v164, 0x7fffff, v145
	s_delay_alu instid0(VALU_DEP_2) | instskip(SKIP_1) | instid1(VALU_DEP_3)
	v_sub_nc_u32_e32 v165, 0x70, v10
	v_cmp_gt_u32_e32 vcc_lo, 0x71, v10
	v_or_b32_e32 v166, 0x800000, v164
	s_delay_alu instid0(VALU_DEP_3) | instskip(SKIP_2) | instid1(VALU_DEP_4)
	v_cndmask_b32_e32 v165, 0, v165, vcc_lo
	v_cmp_eq_u32_e32 vcc_lo, 0, v10
	v_add_nc_u32_e32 v10, 0xffffff91, v10
	v_cndmask_b32_e32 v164, v166, v164, vcc_lo
	s_delay_alu instid0(VALU_DEP_4) | instskip(NEXT) | instid1(VALU_DEP_3)
	v_cndmask_b32_e64 v165, v165, 0x6f, vcc_lo
	v_cndmask_b32_e64 v10, v10, 0xffffff92, vcc_lo
	s_delay_alu instid0(VALU_DEP_2) | instskip(SKIP_2) | instid1(VALU_DEP_4)
	v_lshrrev_b32_e32 v167, v165, v164
	v_lshl_add_u32 v166, 0x200000, v165, -1
	v_lshlrev_b32_e64 v177, v165, 0x100000
	v_add_nc_u32_e32 v165, v165, v10
	s_delay_alu instid0(VALU_DEP_4) | instskip(NEXT) | instid1(VALU_DEP_4)
	v_bfe_u32 v176, v167, 21, 1
	v_and_b32_e32 v164, v166, v164
	s_delay_alu instid0(VALU_DEP_2) | instskip(NEXT) | instid1(VALU_DEP_2)
	v_add_nc_u32_e32 v166, -1, v176
	v_cmp_eq_u32_e64 s14, v164, v177
	s_delay_alu instid0(VALU_DEP_1) | instskip(SKIP_2) | instid1(VALU_DEP_2)
	v_cndmask_b32_e64 v164, 0, v166, s14
	v_lshrrev_b32_e32 v166, 23, v167
	s_mov_b32 s14, exec_lo
	v_add_nc_u32_e32 v164, v164, v167
	s_delay_alu instid0(VALU_DEP_2) | instskip(NEXT) | instid1(VALU_DEP_2)
	v_xor_b32_e32 v166, 1, v166
	v_and_b32_e32 v10, 0x1fffff, v164
	s_delay_alu instid0(VALU_DEP_1) | instskip(NEXT) | instid1(VALU_DEP_3)
	v_add_nc_u32_e32 v164, v10, v167
                                        ; implicit-def: $vgpr10
	v_cmpx_ne_u32_e64 v165, v166
	s_xor_b32 s14, exec_lo, s14
; %bb.3661:                             ;   in Loop: Header=BB2_3273 Depth=3
	s_delay_alu instid0(VALU_DEP_2) | instskip(SKIP_2) | instid1(VALU_DEP_2)
	v_cmp_lt_u32_e32 vcc_lo, 0xffffff, v164
	v_sub_nc_u32_e32 v10, v165, v166
	v_cndmask_b32_e64 v165, 0, 1, vcc_lo
	v_add_co_ci_u32_e32 v10, vcc_lo, 0, v10, vcc_lo
	s_delay_alu instid0(VALU_DEP_2)
	v_lshrrev_b32_e32 v164, v165, v164
; %bb.3662:                             ;   in Loop: Header=BB2_3273 Depth=3
	s_and_not1_saveexec_b32 s14, s14
; %bb.3663:                             ;   in Loop: Header=BB2_3273 Depth=3
	s_delay_alu instid0(VALU_DEP_1)
	v_bfe_u32 v10, v164, 23, 1
; %bb.3664:                             ;   in Loop: Header=BB2_3273 Depth=3
	s_or_b32 exec_lo, exec_lo, s14
	v_lshrrev_b32_e32 v164, 21, v164
	s_delay_alu instid0(VALU_DEP_2) | instskip(SKIP_2) | instid1(VALU_DEP_2)
	v_cmp_gt_i32_e32 vcc_lo, 32, v10
	v_lshrrev_b32_e32 v145, 24, v145
	v_min_i32_e32 v165, 31, v10
	v_dual_cndmask_b32 v164, 3, v164 :: v_dual_and_b32 v145, 0x80, v145
	s_delay_alu instid0(VALU_DEP_2) | instskip(NEXT) | instid1(VALU_DEP_2)
	v_lshlrev_b32_e32 v165, 2, v165
	v_and_b32_e32 v166, 3, v164
	v_or_b32_e32 v10, v10, v164
	s_delay_alu instid0(VALU_DEP_2) | instskip(NEXT) | instid1(VALU_DEP_2)
	v_or3_b32 v145, v165, v145, v166
	v_cmp_ne_u32_e32 vcc_lo, 0, v10
	s_delay_alu instid0(VALU_DEP_2)
	v_cndmask_b32_e32 v10, 0, v145, vcc_lo
.LBB2_3665:                             ;   in Loop: Header=BB2_3273 Depth=3
	s_or_b32 exec_lo, exec_lo, s31
.LBB2_3666:                             ;   in Loop: Header=BB2_3273 Depth=3
	s_delay_alu instid0(SALU_CYCLE_1) | instskip(SKIP_3) | instid1(VALU_DEP_1)
	s_or_b32 exec_lo, exec_lo, s15
	v_or_b32_e32 v145, v150, v144
	s_mov_b32 s14, 0
	s_mov_b32 s31, exec_lo
                                        ; implicit-def: $sgpr15
	v_and_b32_e32 v150, 0xff, v145
	s_delay_alu instid0(VALU_DEP_1)
	v_cmpx_lt_i16_e64 0x7f, v150
	s_xor_b32 s31, exec_lo, s31
	s_cbranch_execnz .LBB2_3893
; %bb.3667:                             ;   in Loop: Header=BB2_3273 Depth=3
	s_or_saveexec_b32 s31, s31
	v_mov_b32_e32 v144, s15
	s_xor_b32 exec_lo, exec_lo, s31
	s_cbranch_execnz .LBB2_3896
.LBB2_3668:                             ;   in Loop: Header=BB2_3273 Depth=3
	s_or_b32 exec_lo, exec_lo, s31
	s_and_saveexec_b32 s15, s14
	s_cbranch_execz .LBB2_3670
.LBB2_3669:                             ;   in Loop: Header=BB2_3273 Depth=3
	v_and_b32_e32 v144, 3, v145
	v_bfe_u32 v165, v145, 2, 5
	v_lshlrev_b32_e32 v166, 24, v145
	s_delay_alu instid0(VALU_DEP_3) | instskip(NEXT) | instid1(VALU_DEP_3)
	v_clz_i32_u32_e32 v150, v144
	v_cmp_eq_u32_e32 vcc_lo, 0, v165
	s_delay_alu instid0(VALU_DEP_2) | instskip(NEXT) | instid1(VALU_DEP_1)
	v_min_u32_e32 v150, 32, v150
	v_subrev_nc_u32_e32 v164, 29, v150
	v_sub_nc_u32_e32 v150, 30, v150
	s_delay_alu instid0(VALU_DEP_2) | instskip(NEXT) | instid1(VALU_DEP_2)
	v_lshlrev_b32_e32 v164, v164, v145
	v_cndmask_b32_e32 v150, v165, v150, vcc_lo
	s_delay_alu instid0(VALU_DEP_2) | instskip(NEXT) | instid1(VALU_DEP_2)
	v_and_b32_e32 v164, 3, v164
	v_lshl_add_u32 v150, v150, 23, 0x37800000
	s_delay_alu instid0(VALU_DEP_2) | instskip(SKIP_1) | instid1(VALU_DEP_2)
	v_cndmask_b32_e32 v144, v144, v164, vcc_lo
	v_and_b32_e32 v164, 0x80000000, v166
	v_lshlrev_b32_e32 v144, 21, v144
	s_delay_alu instid0(VALU_DEP_1)
	v_or3_b32 v144, v164, v150, v144
.LBB2_3670:                             ;   in Loop: Header=BB2_3273 Depth=3
	s_or_b32 exec_lo, exec_lo, s15
	v_and_b32_e32 v164, 0xff, v11
	s_mov_b32 s14, 0
	s_mov_b32 s31, exec_lo
                                        ; implicit-def: $sgpr15
	s_delay_alu instid0(VALU_DEP_1)
	v_cmpx_lt_i16_e64 0x7f, v164
	s_xor_b32 s31, exec_lo, s31
	s_cbranch_execnz .LBB2_3897
; %bb.3671:                             ;   in Loop: Header=BB2_3273 Depth=3
	s_or_saveexec_b32 s31, s31
	v_mov_b32_e32 v150, s15
	s_xor_b32 exec_lo, exec_lo, s31
	s_cbranch_execnz .LBB2_3900
.LBB2_3672:                             ;   in Loop: Header=BB2_3273 Depth=3
	s_or_b32 exec_lo, exec_lo, s31
	s_and_saveexec_b32 s15, s14
	s_cbranch_execz .LBB2_3674
.LBB2_3673:                             ;   in Loop: Header=BB2_3273 Depth=3
	v_and_b32_e32 v150, 3, v11
	v_bfe_u32 v166, v11, 2, 5
	s_delay_alu instid0(VALU_DEP_2) | instskip(NEXT) | instid1(VALU_DEP_2)
	v_clz_i32_u32_e32 v164, v150
	v_cmp_eq_u32_e32 vcc_lo, 0, v166
	s_delay_alu instid0(VALU_DEP_2) | instskip(NEXT) | instid1(VALU_DEP_1)
	v_min_u32_e32 v164, 32, v164
	v_subrev_nc_u32_e32 v165, 29, v164
	v_sub_nc_u32_e32 v164, 30, v164
	s_delay_alu instid0(VALU_DEP_1) | instskip(NEXT) | instid1(VALU_DEP_1)
	v_dual_cndmask_b32 v164, v166, v164 :: v_dual_lshlrev_b32 v165, v165, v11
	v_and_b32_e32 v165, 3, v165
	v_lshlrev_b32_e32 v167, 24, v11
	s_delay_alu instid0(VALU_DEP_3) | instskip(NEXT) | instid1(VALU_DEP_2)
	v_lshl_add_u32 v164, v164, 23, 0x37800000
	v_dual_cndmask_b32 v150, v150, v165 :: v_dual_and_b32 v165, 0x80000000, v167
	s_delay_alu instid0(VALU_DEP_1) | instskip(NEXT) | instid1(VALU_DEP_1)
	v_lshlrev_b32_e32 v150, 21, v150
	v_or3_b32 v150, v165, v164, v150
.LBB2_3674:                             ;   in Loop: Header=BB2_3273 Depth=3
	s_or_b32 exec_lo, exec_lo, s15
	s_delay_alu instid0(VALU_DEP_1) | instskip(NEXT) | instid1(VALU_DEP_1)
	v_add_f32_e32 v150, v144, v150
	v_and_b32_e32 v144, 0x7f800000, v150
	s_delay_alu instid0(VALU_DEP_1)
	v_cmp_ne_u32_e32 vcc_lo, 0x7f800000, v144
	v_mov_b32_e32 v144, 0x80
	s_and_saveexec_b32 s15, vcc_lo
	s_cbranch_execz .LBB2_3682
; %bb.3675:                             ;   in Loop: Header=BB2_3273 Depth=3
	v_mov_b32_e32 v144, 0
	s_mov_b32 s31, exec_lo
	v_cmpx_ne_u32_e32 0, v150
	s_cbranch_execz .LBB2_3681
; %bb.3676:                             ;   in Loop: Header=BB2_3273 Depth=3
	v_bfe_u32 v144, v150, 23, 8
	s_delay_alu instid0(VALU_DEP_1) | instskip(SKIP_1) | instid1(VALU_DEP_2)
	v_sub_nc_u32_e32 v165, 0x70, v144
	v_cmp_gt_u32_e32 vcc_lo, 0x71, v144
	v_dual_cndmask_b32 v165, 0, v165 :: v_dual_and_b32 v164, 0x7fffff, v150
	s_delay_alu instid0(VALU_DEP_1) | instskip(SKIP_2) | instid1(VALU_DEP_4)
	v_or_b32_e32 v166, 0x800000, v164
	v_cmp_eq_u32_e32 vcc_lo, 0, v144
	v_add_nc_u32_e32 v144, 0xffffff91, v144
	v_cndmask_b32_e64 v165, v165, 0x6f, vcc_lo
	s_delay_alu instid0(VALU_DEP_4) | instskip(NEXT) | instid1(VALU_DEP_3)
	v_cndmask_b32_e32 v164, v166, v164, vcc_lo
	v_cndmask_b32_e64 v144, v144, 0xffffff92, vcc_lo
	s_delay_alu instid0(VALU_DEP_3) | instskip(NEXT) | instid1(VALU_DEP_3)
	v_lshl_add_u32 v166, 0x200000, v165, -1
	v_lshrrev_b32_e32 v167, v165, v164
	v_lshlrev_b32_e64 v177, v165, 0x100000
	s_delay_alu instid0(VALU_DEP_4) | instskip(NEXT) | instid1(VALU_DEP_4)
	v_add_nc_u32_e32 v165, v165, v144
	v_and_b32_e32 v164, v166, v164
	s_delay_alu instid0(VALU_DEP_4) | instskip(NEXT) | instid1(VALU_DEP_2)
	v_bfe_u32 v176, v167, 21, 1
	v_cmp_eq_u32_e64 s14, v164, v177
	s_delay_alu instid0(VALU_DEP_2) | instskip(NEXT) | instid1(VALU_DEP_1)
	v_add_nc_u32_e32 v166, -1, v176
	v_cndmask_b32_e64 v164, 0, v166, s14
	v_lshrrev_b32_e32 v166, 23, v167
	s_mov_b32 s14, exec_lo
	s_delay_alu instid0(VALU_DEP_2) | instskip(NEXT) | instid1(VALU_DEP_2)
	v_add_nc_u32_e32 v164, v164, v167
	v_xor_b32_e32 v166, 1, v166
	s_delay_alu instid0(VALU_DEP_2) | instskip(NEXT) | instid1(VALU_DEP_1)
	v_and_b32_e32 v144, 0x1fffff, v164
	v_add_nc_u32_e32 v164, v144, v167
                                        ; implicit-def: $vgpr144
	s_delay_alu instid0(VALU_DEP_3)
	v_cmpx_ne_u32_e64 v165, v166
	s_xor_b32 s14, exec_lo, s14
; %bb.3677:                             ;   in Loop: Header=BB2_3273 Depth=3
	s_delay_alu instid0(VALU_DEP_2) | instskip(SKIP_2) | instid1(VALU_DEP_2)
	v_cmp_lt_u32_e32 vcc_lo, 0xffffff, v164
	v_sub_nc_u32_e32 v144, v165, v166
	v_cndmask_b32_e64 v165, 0, 1, vcc_lo
	v_add_co_ci_u32_e32 v144, vcc_lo, 0, v144, vcc_lo
	s_delay_alu instid0(VALU_DEP_2)
	v_lshrrev_b32_e32 v164, v165, v164
; %bb.3678:                             ;   in Loop: Header=BB2_3273 Depth=3
	s_and_not1_saveexec_b32 s14, s14
; %bb.3679:                             ;   in Loop: Header=BB2_3273 Depth=3
	s_delay_alu instid0(VALU_DEP_1)
	v_bfe_u32 v144, v164, 23, 1
; %bb.3680:                             ;   in Loop: Header=BB2_3273 Depth=3
	s_or_b32 exec_lo, exec_lo, s14
	v_lshrrev_b32_e32 v164, 21, v164
	s_delay_alu instid0(VALU_DEP_2) | instskip(SKIP_2) | instid1(VALU_DEP_4)
	v_cmp_gt_i32_e32 vcc_lo, 32, v144
	v_lshrrev_b32_e32 v150, 24, v150
	v_min_i32_e32 v165, 31, v144
	v_cndmask_b32_e32 v164, 3, v164, vcc_lo
	s_delay_alu instid0(VALU_DEP_3) | instskip(NEXT) | instid1(VALU_DEP_3)
	v_and_b32_e32 v150, 0x80, v150
	v_lshlrev_b32_e32 v165, 2, v165
	s_delay_alu instid0(VALU_DEP_3) | instskip(SKIP_1) | instid1(VALU_DEP_2)
	v_and_b32_e32 v166, 3, v164
	v_or_b32_e32 v144, v144, v164
	v_or3_b32 v150, v165, v150, v166
	s_delay_alu instid0(VALU_DEP_2) | instskip(NEXT) | instid1(VALU_DEP_2)
	v_cmp_ne_u32_e32 vcc_lo, 0, v144
	v_cndmask_b32_e32 v144, 0, v150, vcc_lo
.LBB2_3681:                             ;   in Loop: Header=BB2_3273 Depth=3
	s_or_b32 exec_lo, exec_lo, s31
.LBB2_3682:                             ;   in Loop: Header=BB2_3273 Depth=3
	s_delay_alu instid0(SALU_CYCLE_1) | instskip(SKIP_3) | instid1(VALU_DEP_1)
	s_or_b32 exec_lo, exec_lo, s15
	v_lshrrev_b16 v164, 8, v145
	s_mov_b32 s14, 0
	s_mov_b32 s31, exec_lo
                                        ; implicit-def: $sgpr15
	v_cmpx_lt_i16_e64 0x7f, v164
	s_xor_b32 s31, exec_lo, s31
	s_cbranch_execnz .LBB2_3901
; %bb.3683:                             ;   in Loop: Header=BB2_3273 Depth=3
	s_or_saveexec_b32 s31, s31
	v_mov_b32_e32 v150, s15
	s_xor_b32 exec_lo, exec_lo, s31
	s_cbranch_execnz .LBB2_3904
.LBB2_3684:                             ;   in Loop: Header=BB2_3273 Depth=3
	s_or_b32 exec_lo, exec_lo, s31
	s_and_saveexec_b32 s15, s14
	s_cbranch_execz .LBB2_3686
.LBB2_3685:                             ;   in Loop: Header=BB2_3273 Depth=3
	v_and_b32_e32 v150, 0xffff, v164
	v_lshlrev_b32_e32 v164, 24, v164
	s_delay_alu instid0(VALU_DEP_2) | instskip(NEXT) | instid1(VALU_DEP_2)
	v_and_b32_e32 v165, 3, v150
	v_and_b32_e32 v164, 0x80000000, v164
	s_delay_alu instid0(VALU_DEP_2) | instskip(NEXT) | instid1(VALU_DEP_1)
	v_clz_i32_u32_e32 v166, v165
	v_min_u32_e32 v166, 32, v166
	s_delay_alu instid0(VALU_DEP_1) | instskip(SKIP_1) | instid1(VALU_DEP_2)
	v_subrev_nc_u32_e32 v167, 29, v166
	v_sub_nc_u32_e32 v166, 30, v166
	v_lshlrev_b32_e32 v167, v167, v150
	v_bfe_u32 v150, v150, 2, 5
	s_delay_alu instid0(VALU_DEP_1) | instskip(NEXT) | instid1(VALU_DEP_3)
	v_cmp_eq_u32_e32 vcc_lo, 0, v150
	v_dual_cndmask_b32 v150, v150, v166 :: v_dual_and_b32 v167, 3, v167
	s_delay_alu instid0(VALU_DEP_1) | instskip(NEXT) | instid1(VALU_DEP_2)
	v_cndmask_b32_e32 v165, v165, v167, vcc_lo
	v_lshl_add_u32 v150, v150, 23, 0x37800000
	s_delay_alu instid0(VALU_DEP_2) | instskip(NEXT) | instid1(VALU_DEP_1)
	v_lshlrev_b32_e32 v165, 21, v165
	v_or3_b32 v150, v164, v150, v165
.LBB2_3686:                             ;   in Loop: Header=BB2_3273 Depth=3
	s_or_b32 exec_lo, exec_lo, s15
	v_lshrrev_b16 v164, 8, v11
	s_mov_b32 s14, 0
	s_mov_b32 s31, exec_lo
                                        ; implicit-def: $sgpr15
	s_delay_alu instid0(VALU_DEP_1)
	v_cmpx_lt_i16_e64 0x7f, v164
	s_xor_b32 s31, exec_lo, s31
	s_cbranch_execnz .LBB2_3905
; %bb.3687:                             ;   in Loop: Header=BB2_3273 Depth=3
	s_or_saveexec_b32 s31, s31
	v_mov_b32_e32 v165, s15
	s_xor_b32 exec_lo, exec_lo, s31
	s_cbranch_execnz .LBB2_3908
.LBB2_3688:                             ;   in Loop: Header=BB2_3273 Depth=3
	s_or_b32 exec_lo, exec_lo, s31
	s_and_saveexec_b32 s15, s14
	s_cbranch_execz .LBB2_3690
.LBB2_3689:                             ;   in Loop: Header=BB2_3273 Depth=3
	v_and_b32_e32 v165, 0xffff, v164
	v_lshlrev_b32_e32 v164, 24, v164
	s_delay_alu instid0(VALU_DEP_2) | instskip(NEXT) | instid1(VALU_DEP_2)
	v_and_b32_e32 v166, 3, v165
	v_and_b32_e32 v164, 0x80000000, v164
	s_delay_alu instid0(VALU_DEP_2) | instskip(NEXT) | instid1(VALU_DEP_1)
	v_clz_i32_u32_e32 v167, v166
	v_min_u32_e32 v167, 32, v167
	s_delay_alu instid0(VALU_DEP_1) | instskip(SKIP_1) | instid1(VALU_DEP_2)
	v_subrev_nc_u32_e32 v176, 29, v167
	v_sub_nc_u32_e32 v167, 30, v167
	v_lshlrev_b32_e32 v176, v176, v165
	v_bfe_u32 v165, v165, 2, 5
	s_delay_alu instid0(VALU_DEP_2) | instskip(NEXT) | instid1(VALU_DEP_2)
	v_and_b32_e32 v176, 3, v176
	v_cmp_eq_u32_e32 vcc_lo, 0, v165
	s_delay_alu instid0(VALU_DEP_2) | instskip(NEXT) | instid1(VALU_DEP_1)
	v_dual_cndmask_b32 v165, v165, v167 :: v_dual_cndmask_b32 v166, v166, v176
	v_lshl_add_u32 v165, v165, 23, 0x37800000
	s_delay_alu instid0(VALU_DEP_2) | instskip(NEXT) | instid1(VALU_DEP_1)
	v_lshlrev_b32_e32 v166, 21, v166
	v_or3_b32 v165, v164, v165, v166
.LBB2_3690:                             ;   in Loop: Header=BB2_3273 Depth=3
	s_or_b32 exec_lo, exec_lo, s15
	s_delay_alu instid0(VALU_DEP_1) | instskip(NEXT) | instid1(VALU_DEP_1)
	v_add_f32_e32 v164, v150, v165
	v_and_b32_e32 v150, 0x7f800000, v164
	s_delay_alu instid0(VALU_DEP_1)
	v_cmp_ne_u32_e32 vcc_lo, 0x7f800000, v150
	v_mov_b32_e32 v150, 0x8000
	s_and_saveexec_b32 s15, vcc_lo
	s_cbranch_execz .LBB2_3698
; %bb.3691:                             ;   in Loop: Header=BB2_3273 Depth=3
	v_mov_b32_e32 v150, 0
	s_mov_b32 s31, exec_lo
	v_cmpx_ne_u32_e32 0, v164
	s_cbranch_execz .LBB2_3697
; %bb.3692:                             ;   in Loop: Header=BB2_3273 Depth=3
	v_bfe_u32 v150, v164, 23, 8
	s_delay_alu instid0(VALU_DEP_1) | instskip(SKIP_1) | instid1(VALU_DEP_2)
	v_sub_nc_u32_e32 v166, 0x70, v150
	v_cmp_gt_u32_e32 vcc_lo, 0x71, v150
	v_dual_cndmask_b32 v166, 0, v166 :: v_dual_and_b32 v165, 0x7fffff, v164
	s_delay_alu instid0(VALU_DEP_1) | instskip(SKIP_2) | instid1(VALU_DEP_4)
	v_or_b32_e32 v167, 0x800000, v165
	v_cmp_eq_u32_e32 vcc_lo, 0, v150
	v_add_nc_u32_e32 v150, 0xffffff91, v150
	v_cndmask_b32_e64 v166, v166, 0x6f, vcc_lo
	s_delay_alu instid0(VALU_DEP_4) | instskip(NEXT) | instid1(VALU_DEP_3)
	v_cndmask_b32_e32 v165, v167, v165, vcc_lo
	v_cndmask_b32_e64 v150, v150, 0xffffff92, vcc_lo
	s_delay_alu instid0(VALU_DEP_3) | instskip(NEXT) | instid1(VALU_DEP_3)
	v_lshl_add_u32 v167, 0x200000, v166, -1
	v_lshrrev_b32_e32 v176, v166, v165
	v_lshlrev_b32_e64 v178, v166, 0x100000
	s_delay_alu instid0(VALU_DEP_4) | instskip(NEXT) | instid1(VALU_DEP_4)
	v_add_nc_u32_e32 v166, v166, v150
	v_and_b32_e32 v165, v167, v165
	s_delay_alu instid0(VALU_DEP_4) | instskip(NEXT) | instid1(VALU_DEP_2)
	v_bfe_u32 v177, v176, 21, 1
	v_cmp_eq_u32_e64 s14, v165, v178
	s_delay_alu instid0(VALU_DEP_2) | instskip(NEXT) | instid1(VALU_DEP_1)
	v_add_nc_u32_e32 v167, -1, v177
	v_cndmask_b32_e64 v165, 0, v167, s14
	v_lshrrev_b32_e32 v167, 23, v176
	s_mov_b32 s14, exec_lo
	s_delay_alu instid0(VALU_DEP_2) | instskip(NEXT) | instid1(VALU_DEP_2)
	v_add_nc_u32_e32 v165, v165, v176
	v_xor_b32_e32 v167, 1, v167
	s_delay_alu instid0(VALU_DEP_2) | instskip(NEXT) | instid1(VALU_DEP_1)
	v_and_b32_e32 v150, 0x1fffff, v165
	v_add_nc_u32_e32 v165, v150, v176
                                        ; implicit-def: $vgpr150
	s_delay_alu instid0(VALU_DEP_3)
	v_cmpx_ne_u32_e64 v166, v167
	s_xor_b32 s14, exec_lo, s14
; %bb.3693:                             ;   in Loop: Header=BB2_3273 Depth=3
	s_delay_alu instid0(VALU_DEP_2) | instskip(SKIP_2) | instid1(VALU_DEP_2)
	v_cmp_lt_u32_e32 vcc_lo, 0xffffff, v165
	v_sub_nc_u32_e32 v150, v166, v167
	v_cndmask_b32_e64 v166, 0, 1, vcc_lo
	v_add_co_ci_u32_e32 v150, vcc_lo, 0, v150, vcc_lo
	s_delay_alu instid0(VALU_DEP_2)
	v_lshrrev_b32_e32 v165, v166, v165
; %bb.3694:                             ;   in Loop: Header=BB2_3273 Depth=3
	s_and_not1_saveexec_b32 s14, s14
; %bb.3695:                             ;   in Loop: Header=BB2_3273 Depth=3
	s_delay_alu instid0(VALU_DEP_1)
	v_bfe_u32 v150, v165, 23, 1
; %bb.3696:                             ;   in Loop: Header=BB2_3273 Depth=3
	s_or_b32 exec_lo, exec_lo, s14
	v_lshrrev_b32_e32 v165, 21, v165
	s_delay_alu instid0(VALU_DEP_2) | instskip(SKIP_2) | instid1(VALU_DEP_2)
	v_cmp_gt_i32_e32 vcc_lo, 32, v150
	v_min_i32_e32 v166, 31, v150
	v_lshrrev_b32_e32 v164, 24, v164
	v_dual_cndmask_b32 v165, 3, v165 :: v_dual_lshlrev_b32 v166, 2, v166
	s_delay_alu instid0(VALU_DEP_2) | instskip(NEXT) | instid1(VALU_DEP_2)
	v_and_b32_e32 v164, 0x80, v164
	v_or_b32_e32 v150, v150, v165
	s_delay_alu instid0(VALU_DEP_3) | instskip(NEXT) | instid1(VALU_DEP_2)
	v_and_b32_e32 v166, 0xfc, v166
	v_cmp_ne_u32_e32 vcc_lo, 0, v150
	v_and_b32_e32 v167, 3, v165
	s_delay_alu instid0(VALU_DEP_1) | instskip(NEXT) | instid1(VALU_DEP_1)
	v_or3_b32 v164, v164, v166, v167
	v_lshlrev_b32_e32 v164, 8, v164
	s_delay_alu instid0(VALU_DEP_1)
	v_cndmask_b32_e32 v150, 0, v164, vcc_lo
.LBB2_3697:                             ;   in Loop: Header=BB2_3273 Depth=3
	s_or_b32 exec_lo, exec_lo, s31
.LBB2_3698:                             ;   in Loop: Header=BB2_3273 Depth=3
	s_delay_alu instid0(SALU_CYCLE_1) | instskip(SKIP_3) | instid1(VALU_DEP_1)
	s_or_b32 exec_lo, exec_lo, s15
	v_or_b32_e32 v147, v147, v135
	s_mov_b32 s14, 0
	s_mov_b32 s31, exec_lo
                                        ; implicit-def: $sgpr15
	v_and_b32_e32 v164, 0xff, v147
	s_delay_alu instid0(VALU_DEP_1)
	v_cmpx_lt_i16_e64 0x7f, v164
	s_xor_b32 s31, exec_lo, s31
	s_cbranch_execnz .LBB2_3909
; %bb.3699:                             ;   in Loop: Header=BB2_3273 Depth=3
	s_or_saveexec_b32 s31, s31
	v_mov_b32_e32 v135, s15
	s_xor_b32 exec_lo, exec_lo, s31
	s_cbranch_execnz .LBB2_3912
.LBB2_3700:                             ;   in Loop: Header=BB2_3273 Depth=3
	s_or_b32 exec_lo, exec_lo, s31
	v_lshl_or_b32 v145, v147, 16, v145
	s_and_saveexec_b32 s15, s14
	s_cbranch_execz .LBB2_3702
.LBB2_3701:                             ;   in Loop: Header=BB2_3273 Depth=3
	s_delay_alu instid0(VALU_DEP_1) | instskip(SKIP_1) | instid1(VALU_DEP_2)
	v_bfe_u32 v135, v145, 16, 2
	v_lshrrev_b32_e32 v164, 16, v145
	v_clz_i32_u32_e32 v147, v135
	s_delay_alu instid0(VALU_DEP_1) | instskip(NEXT) | instid1(VALU_DEP_1)
	v_min_u32_e32 v147, 32, v147
	v_subrev_nc_u32_e32 v165, 29, v147
	v_sub_nc_u32_e32 v147, 30, v147
	s_delay_alu instid0(VALU_DEP_2) | instskip(SKIP_1) | instid1(VALU_DEP_1)
	v_lshlrev_b32_e32 v164, v165, v164
	v_bfe_u32 v165, v145, 18, 5
	v_cmp_eq_u32_e32 vcc_lo, 0, v165
	s_delay_alu instid0(VALU_DEP_3) | instskip(NEXT) | instid1(VALU_DEP_1)
	v_dual_cndmask_b32 v147, v165, v147 :: v_dual_and_b32 v164, 3, v164
	v_dual_cndmask_b32 v135, v135, v164 :: v_dual_lshlrev_b32 v166, 8, v145
	s_delay_alu instid0(VALU_DEP_2) | instskip(NEXT) | instid1(VALU_DEP_2)
	v_lshl_add_u32 v147, v147, 23, 0x37800000
	v_and_b32_e32 v164, 0x80000000, v166
	s_delay_alu instid0(VALU_DEP_3) | instskip(NEXT) | instid1(VALU_DEP_1)
	v_lshlrev_b32_e32 v135, 21, v135
	v_or3_b32 v135, v164, v147, v135
.LBB2_3702:                             ;   in Loop: Header=BB2_3273 Depth=3
	s_or_b32 exec_lo, exec_lo, s15
	v_lshrrev_b32_e32 v147, 16, v11
	s_mov_b32 s14, 0
	s_mov_b32 s31, exec_lo
                                        ; implicit-def: $sgpr15
	s_delay_alu instid0(VALU_DEP_1) | instskip(NEXT) | instid1(VALU_DEP_1)
	v_and_b32_e32 v165, 0xff, v147
	v_cmpx_lt_i16_e64 0x7f, v165
	s_xor_b32 s31, exec_lo, s31
	s_cbranch_execnz .LBB2_3913
; %bb.3703:                             ;   in Loop: Header=BB2_3273 Depth=3
	s_or_saveexec_b32 s31, s31
	v_mov_b32_e32 v164, s15
	s_xor_b32 exec_lo, exec_lo, s31
	s_cbranch_execnz .LBB2_3916
.LBB2_3704:                             ;   in Loop: Header=BB2_3273 Depth=3
	s_or_b32 exec_lo, exec_lo, s31
	s_and_saveexec_b32 s15, s14
	s_cbranch_execz .LBB2_3706
.LBB2_3705:                             ;   in Loop: Header=BB2_3273 Depth=3
	v_bfe_u32 v164, v11, 16, 2
	v_lshlrev_b32_e32 v167, 8, v11
	s_delay_alu instid0(VALU_DEP_2) | instskip(NEXT) | instid1(VALU_DEP_1)
	v_clz_i32_u32_e32 v165, v164
	v_min_u32_e32 v165, 32, v165
	s_delay_alu instid0(VALU_DEP_1) | instskip(SKIP_1) | instid1(VALU_DEP_2)
	v_subrev_nc_u32_e32 v166, 29, v165
	v_sub_nc_u32_e32 v165, 30, v165
	v_lshlrev_b32_e32 v147, v166, v147
	v_bfe_u32 v166, v11, 18, 5
	s_delay_alu instid0(VALU_DEP_2) | instskip(NEXT) | instid1(VALU_DEP_2)
	v_and_b32_e32 v147, 3, v147
	v_cmp_eq_u32_e32 vcc_lo, 0, v166
	v_cndmask_b32_e32 v165, v166, v165, vcc_lo
	s_delay_alu instid0(VALU_DEP_3) | instskip(SKIP_1) | instid1(VALU_DEP_3)
	v_cndmask_b32_e32 v147, v164, v147, vcc_lo
	v_and_b32_e32 v164, 0x80000000, v167
	v_lshl_add_u32 v165, v165, 23, 0x37800000
	s_delay_alu instid0(VALU_DEP_3) | instskip(NEXT) | instid1(VALU_DEP_1)
	v_lshlrev_b32_e32 v147, 21, v147
	v_or3_b32 v164, v164, v165, v147
.LBB2_3706:                             ;   in Loop: Header=BB2_3273 Depth=3
	s_or_b32 exec_lo, exec_lo, s15
	s_delay_alu instid0(VALU_DEP_1) | instskip(NEXT) | instid1(VALU_DEP_1)
	v_add_f32_e32 v147, v135, v164
	v_and_b32_e32 v135, 0x7f800000, v147
	s_delay_alu instid0(VALU_DEP_1)
	v_cmp_ne_u32_e32 vcc_lo, 0x7f800000, v135
	v_mov_b32_e32 v135, 0x80
	s_and_saveexec_b32 s15, vcc_lo
	s_cbranch_execz .LBB2_3714
; %bb.3707:                             ;   in Loop: Header=BB2_3273 Depth=3
	v_mov_b32_e32 v135, 0
	s_mov_b32 s31, exec_lo
	v_cmpx_ne_u32_e32 0, v147
	s_cbranch_execz .LBB2_3713
; %bb.3708:                             ;   in Loop: Header=BB2_3273 Depth=3
	v_bfe_u32 v135, v147, 23, 8
	s_delay_alu instid0(VALU_DEP_1) | instskip(SKIP_1) | instid1(VALU_DEP_2)
	v_sub_nc_u32_e32 v165, 0x70, v135
	v_cmp_gt_u32_e32 vcc_lo, 0x71, v135
	v_dual_cndmask_b32 v165, 0, v165 :: v_dual_and_b32 v164, 0x7fffff, v147
	s_delay_alu instid0(VALU_DEP_1) | instskip(SKIP_2) | instid1(VALU_DEP_4)
	v_or_b32_e32 v166, 0x800000, v164
	v_cmp_eq_u32_e32 vcc_lo, 0, v135
	v_add_nc_u32_e32 v135, 0xffffff91, v135
	v_cndmask_b32_e64 v165, v165, 0x6f, vcc_lo
	s_delay_alu instid0(VALU_DEP_4) | instskip(NEXT) | instid1(VALU_DEP_3)
	v_cndmask_b32_e32 v164, v166, v164, vcc_lo
	v_cndmask_b32_e64 v135, v135, 0xffffff92, vcc_lo
	s_delay_alu instid0(VALU_DEP_3) | instskip(NEXT) | instid1(VALU_DEP_3)
	v_lshl_add_u32 v166, 0x200000, v165, -1
	v_lshrrev_b32_e32 v167, v165, v164
	v_lshlrev_b32_e64 v177, v165, 0x100000
	s_delay_alu instid0(VALU_DEP_4) | instskip(NEXT) | instid1(VALU_DEP_4)
	v_add_nc_u32_e32 v165, v165, v135
	v_and_b32_e32 v164, v166, v164
	s_delay_alu instid0(VALU_DEP_4) | instskip(NEXT) | instid1(VALU_DEP_2)
	v_bfe_u32 v176, v167, 21, 1
	v_cmp_eq_u32_e64 s14, v164, v177
	s_delay_alu instid0(VALU_DEP_2) | instskip(NEXT) | instid1(VALU_DEP_1)
	v_add_nc_u32_e32 v166, -1, v176
	v_cndmask_b32_e64 v164, 0, v166, s14
	v_lshrrev_b32_e32 v166, 23, v167
	s_mov_b32 s14, exec_lo
	s_delay_alu instid0(VALU_DEP_2) | instskip(NEXT) | instid1(VALU_DEP_2)
	v_add_nc_u32_e32 v164, v164, v167
	v_xor_b32_e32 v166, 1, v166
	s_delay_alu instid0(VALU_DEP_2) | instskip(NEXT) | instid1(VALU_DEP_1)
	v_and_b32_e32 v135, 0x1fffff, v164
	v_add_nc_u32_e32 v164, v135, v167
                                        ; implicit-def: $vgpr135
	s_delay_alu instid0(VALU_DEP_3)
	v_cmpx_ne_u32_e64 v165, v166
	s_xor_b32 s14, exec_lo, s14
; %bb.3709:                             ;   in Loop: Header=BB2_3273 Depth=3
	s_delay_alu instid0(VALU_DEP_2) | instskip(SKIP_2) | instid1(VALU_DEP_2)
	v_cmp_lt_u32_e32 vcc_lo, 0xffffff, v164
	v_sub_nc_u32_e32 v135, v165, v166
	v_cndmask_b32_e64 v165, 0, 1, vcc_lo
	v_add_co_ci_u32_e32 v135, vcc_lo, 0, v135, vcc_lo
	s_delay_alu instid0(VALU_DEP_2)
	v_lshrrev_b32_e32 v164, v165, v164
; %bb.3710:                             ;   in Loop: Header=BB2_3273 Depth=3
	s_and_not1_saveexec_b32 s14, s14
; %bb.3711:                             ;   in Loop: Header=BB2_3273 Depth=3
	s_delay_alu instid0(VALU_DEP_1)
	v_bfe_u32 v135, v164, 23, 1
; %bb.3712:                             ;   in Loop: Header=BB2_3273 Depth=3
	s_or_b32 exec_lo, exec_lo, s14
	v_lshrrev_b32_e32 v164, 21, v164
	s_delay_alu instid0(VALU_DEP_2) | instskip(SKIP_2) | instid1(VALU_DEP_2)
	v_cmp_gt_i32_e32 vcc_lo, 32, v135
	v_min_i32_e32 v165, 31, v135
	v_lshrrev_b32_e32 v147, 24, v147
	v_dual_cndmask_b32 v164, 3, v164 :: v_dual_lshlrev_b32 v165, 2, v165
	s_delay_alu instid0(VALU_DEP_2) | instskip(NEXT) | instid1(VALU_DEP_2)
	v_and_b32_e32 v147, 0x80, v147
	v_or_b32_e32 v135, v135, v164
	s_delay_alu instid0(VALU_DEP_3) | instskip(NEXT) | instid1(VALU_DEP_2)
	v_and_b32_e32 v165, 0xfc, v165
	v_cmp_ne_u32_e32 vcc_lo, 0, v135
	v_and_b32_e32 v166, 3, v164
	s_delay_alu instid0(VALU_DEP_1) | instskip(NEXT) | instid1(VALU_DEP_1)
	v_or3_b32 v147, v165, v147, v166
	v_cndmask_b32_e32 v135, 0, v147, vcc_lo
.LBB2_3713:                             ;   in Loop: Header=BB2_3273 Depth=3
	s_or_b32 exec_lo, exec_lo, s31
.LBB2_3714:                             ;   in Loop: Header=BB2_3273 Depth=3
	s_delay_alu instid0(SALU_CYCLE_1) | instskip(SKIP_3) | instid1(VALU_DEP_1)
	s_or_b32 exec_lo, exec_lo, s15
	v_lshrrev_b32_e32 v164, 24, v145
	s_mov_b32 s14, 0
	s_mov_b32 s31, exec_lo
                                        ; implicit-def: $sgpr15
	v_cmpx_lt_i16_e64 0x7f, v164
	s_xor_b32 s31, exec_lo, s31
	s_cbranch_execnz .LBB2_3917
; %bb.3715:                             ;   in Loop: Header=BB2_3273 Depth=3
	s_or_saveexec_b32 s31, s31
	v_mov_b32_e32 v147, s15
	s_xor_b32 exec_lo, exec_lo, s31
	s_cbranch_execnz .LBB2_3920
.LBB2_3716:                             ;   in Loop: Header=BB2_3273 Depth=3
	s_or_b32 exec_lo, exec_lo, s31
	s_and_saveexec_b32 s15, s14
	s_cbranch_execz .LBB2_3718
.LBB2_3717:                             ;   in Loop: Header=BB2_3273 Depth=3
	v_bfe_u32 v147, v145, 24, 2
	s_delay_alu instid0(VALU_DEP_1) | instskip(NEXT) | instid1(VALU_DEP_1)
	v_clz_i32_u32_e32 v165, v147
	v_min_u32_e32 v165, 32, v165
	s_delay_alu instid0(VALU_DEP_1) | instskip(SKIP_1) | instid1(VALU_DEP_2)
	v_subrev_nc_u32_e32 v166, 29, v165
	v_sub_nc_u32_e32 v165, 30, v165
	v_lshlrev_b32_e32 v164, v166, v164
	v_bfe_u32 v166, v145, 26, 5
	v_and_b32_e32 v145, 0x80000000, v145
	s_delay_alu instid0(VALU_DEP_2) | instskip(NEXT) | instid1(VALU_DEP_4)
	v_cmp_eq_u32_e32 vcc_lo, 0, v166
	v_dual_cndmask_b32 v165, v166, v165 :: v_dual_and_b32 v164, 3, v164
	s_delay_alu instid0(VALU_DEP_1) | instskip(NEXT) | instid1(VALU_DEP_2)
	v_cndmask_b32_e32 v147, v147, v164, vcc_lo
	v_lshl_add_u32 v164, v165, 23, 0x37800000
	s_delay_alu instid0(VALU_DEP_2) | instskip(NEXT) | instid1(VALU_DEP_1)
	v_lshlrev_b32_e32 v147, 21, v147
	v_or3_b32 v147, v145, v164, v147
.LBB2_3718:                             ;   in Loop: Header=BB2_3273 Depth=3
	s_or_b32 exec_lo, exec_lo, s15
	v_lshrrev_b32_e32 v145, 24, v11
	s_mov_b32 s14, 0
	s_mov_b32 s31, exec_lo
                                        ; implicit-def: $sgpr15
	s_delay_alu instid0(VALU_DEP_1)
	v_cmpx_lt_i16_e64 0x7f, v145
	s_xor_b32 s31, exec_lo, s31
	s_cbranch_execnz .LBB2_3921
; %bb.3719:                             ;   in Loop: Header=BB2_3273 Depth=3
	s_or_saveexec_b32 s31, s31
	v_mov_b32_e32 v164, s15
	s_xor_b32 exec_lo, exec_lo, s31
	s_cbranch_execnz .LBB2_3924
.LBB2_3720:                             ;   in Loop: Header=BB2_3273 Depth=3
	s_or_b32 exec_lo, exec_lo, s31
	s_and_saveexec_b32 s15, s14
	s_cbranch_execz .LBB2_3722
.LBB2_3721:                             ;   in Loop: Header=BB2_3273 Depth=3
	v_bfe_u32 v164, v11, 24, 2
	s_delay_alu instid0(VALU_DEP_1) | instskip(NEXT) | instid1(VALU_DEP_1)
	v_clz_i32_u32_e32 v165, v164
	v_min_u32_e32 v165, 32, v165
	s_delay_alu instid0(VALU_DEP_1) | instskip(SKIP_1) | instid1(VALU_DEP_2)
	v_subrev_nc_u32_e32 v166, 29, v165
	v_sub_nc_u32_e32 v165, 30, v165
	v_lshlrev_b32_e32 v145, v166, v145
	v_bfe_u32 v166, v11, 26, 5
	v_and_b32_e32 v11, 0x80000000, v11
	s_delay_alu instid0(VALU_DEP_3) | instskip(NEXT) | instid1(VALU_DEP_3)
	v_and_b32_e32 v145, 3, v145
	v_cmp_eq_u32_e32 vcc_lo, 0, v166
	v_cndmask_b32_e32 v165, v166, v165, vcc_lo
	s_delay_alu instid0(VALU_DEP_3) | instskip(NEXT) | instid1(VALU_DEP_2)
	v_cndmask_b32_e32 v145, v164, v145, vcc_lo
	v_lshl_add_u32 v164, v165, 23, 0x37800000
	s_delay_alu instid0(VALU_DEP_2) | instskip(NEXT) | instid1(VALU_DEP_1)
	v_lshlrev_b32_e32 v145, 21, v145
	v_or3_b32 v164, v11, v164, v145
.LBB2_3722:                             ;   in Loop: Header=BB2_3273 Depth=3
	s_or_b32 exec_lo, exec_lo, s15
	s_delay_alu instid0(VALU_DEP_1) | instskip(NEXT) | instid1(VALU_DEP_1)
	v_add_f32_e32 v11, v147, v164
	v_and_b32_e32 v145, 0x7f800000, v11
	s_delay_alu instid0(VALU_DEP_1)
	v_cmp_ne_u32_e32 vcc_lo, 0x7f800000, v145
	v_mov_b32_e32 v145, 0x8000
	s_and_saveexec_b32 s15, vcc_lo
	s_cbranch_execz .LBB2_3730
; %bb.3723:                             ;   in Loop: Header=BB2_3273 Depth=3
	v_mov_b32_e32 v145, 0
	s_mov_b32 s31, exec_lo
	v_cmpx_ne_u32_e32 0, v11
	s_cbranch_execz .LBB2_3729
; %bb.3724:                             ;   in Loop: Header=BB2_3273 Depth=3
	v_bfe_u32 v145, v11, 23, 8
	s_delay_alu instid0(VALU_DEP_1) | instskip(SKIP_1) | instid1(VALU_DEP_2)
	v_sub_nc_u32_e32 v164, 0x70, v145
	v_cmp_gt_u32_e32 vcc_lo, 0x71, v145
	v_dual_cndmask_b32 v164, 0, v164 :: v_dual_and_b32 v147, 0x7fffff, v11
	s_delay_alu instid0(VALU_DEP_1) | instskip(SKIP_2) | instid1(VALU_DEP_4)
	v_or_b32_e32 v165, 0x800000, v147
	v_cmp_eq_u32_e32 vcc_lo, 0, v145
	v_add_nc_u32_e32 v145, 0xffffff91, v145
	v_cndmask_b32_e64 v164, v164, 0x6f, vcc_lo
	s_delay_alu instid0(VALU_DEP_2) | instskip(SKIP_1) | instid1(VALU_DEP_3)
	v_cndmask_b32_e64 v145, v145, 0xffffff92, vcc_lo
	v_cndmask_b32_e32 v147, v165, v147, vcc_lo
	v_lshl_add_u32 v165, 0x200000, v164, -1
	v_lshlrev_b32_e64 v176, v164, 0x100000
	s_delay_alu instid0(VALU_DEP_3) | instskip(SKIP_1) | instid1(VALU_DEP_4)
	v_lshrrev_b32_e32 v166, v164, v147
	v_add_nc_u32_e32 v164, v164, v145
	v_and_b32_e32 v147, v165, v147
	s_delay_alu instid0(VALU_DEP_3) | instskip(NEXT) | instid1(VALU_DEP_2)
	v_bfe_u32 v167, v166, 21, 1
	v_cmp_eq_u32_e64 s14, v147, v176
	s_delay_alu instid0(VALU_DEP_2) | instskip(NEXT) | instid1(VALU_DEP_1)
	v_add_nc_u32_e32 v165, -1, v167
	v_cndmask_b32_e64 v147, 0, v165, s14
	v_lshrrev_b32_e32 v165, 23, v166
	s_mov_b32 s14, exec_lo
	s_delay_alu instid0(VALU_DEP_2) | instskip(NEXT) | instid1(VALU_DEP_2)
	v_add_nc_u32_e32 v147, v147, v166
	v_xor_b32_e32 v165, 1, v165
	s_delay_alu instid0(VALU_DEP_2) | instskip(NEXT) | instid1(VALU_DEP_1)
	v_and_b32_e32 v145, 0x1fffff, v147
	v_add_nc_u32_e32 v147, v145, v166
                                        ; implicit-def: $vgpr145
	s_delay_alu instid0(VALU_DEP_3)
	v_cmpx_ne_u32_e64 v164, v165
	s_xor_b32 s14, exec_lo, s14
; %bb.3725:                             ;   in Loop: Header=BB2_3273 Depth=3
	s_delay_alu instid0(VALU_DEP_2) | instskip(SKIP_2) | instid1(VALU_DEP_2)
	v_cmp_lt_u32_e32 vcc_lo, 0xffffff, v147
	v_sub_nc_u32_e32 v145, v164, v165
	v_cndmask_b32_e64 v164, 0, 1, vcc_lo
	v_add_co_ci_u32_e32 v145, vcc_lo, 0, v145, vcc_lo
	s_delay_alu instid0(VALU_DEP_2)
	v_lshrrev_b32_e32 v147, v164, v147
; %bb.3726:                             ;   in Loop: Header=BB2_3273 Depth=3
	s_and_not1_saveexec_b32 s14, s14
; %bb.3727:                             ;   in Loop: Header=BB2_3273 Depth=3
	s_delay_alu instid0(VALU_DEP_1)
	v_bfe_u32 v145, v147, 23, 1
; %bb.3728:                             ;   in Loop: Header=BB2_3273 Depth=3
	s_or_b32 exec_lo, exec_lo, s14
	v_lshrrev_b32_e32 v147, 21, v147
	s_delay_alu instid0(VALU_DEP_2) | instskip(SKIP_2) | instid1(VALU_DEP_2)
	v_cmp_gt_i32_e32 vcc_lo, 32, v145
	v_min_i32_e32 v164, 31, v145
	v_lshrrev_b32_e32 v11, 24, v11
	v_dual_cndmask_b32 v147, 3, v147 :: v_dual_lshlrev_b32 v164, 2, v164
	s_delay_alu instid0(VALU_DEP_2) | instskip(NEXT) | instid1(VALU_DEP_2)
	v_and_b32_e32 v11, 0x80, v11
	v_or_b32_e32 v145, v145, v147
	v_and_b32_e32 v165, 3, v147
	s_delay_alu instid0(VALU_DEP_2) | instskip(SKIP_1) | instid1(VALU_DEP_1)
	v_cmp_ne_u32_e32 vcc_lo, 0, v145
	v_and_b32_e32 v164, 0xfc, v164
	v_or3_b32 v11, v11, v164, v165
	s_delay_alu instid0(VALU_DEP_1) | instskip(NEXT) | instid1(VALU_DEP_1)
	v_lshlrev_b32_e32 v11, 8, v11
	v_cndmask_b32_e32 v145, 0, v11, vcc_lo
.LBB2_3729:                             ;   in Loop: Header=BB2_3273 Depth=3
	s_or_b32 exec_lo, exec_lo, s31
.LBB2_3730:                             ;   in Loop: Header=BB2_3273 Depth=3
	s_delay_alu instid0(SALU_CYCLE_1)
	s_or_b32 exec_lo, exec_lo, s15
	v_or_b32_e32 v9, v9, v161
	v_and_b32_e32 v11, 0xff, v160
	v_lshlrev_b32_e32 v146, 8, v146
	v_and_b32_e32 v148, 0xff, v148
	v_lshlrev_b32_e32 v149, 8, v149
	v_or_b32_e32 v135, v145, v135
	v_and_b32_e32 v147, 0xff, v162
	v_lshlrev_b32_e32 v8, 24, v8
	v_lshlrev_b32_e32 v9, 16, v9
	;; [unrolled: 1-line block ×3, first 2 shown]
	v_perm_b32 v134, v146, v134, 0xc0c0500
	v_lshlrev_b32_e32 v10, 24, v10
	v_lshlrev_b32_e32 v145, 16, v148
	v_perm_b32 v146, v149, v151, 0xc0c0500
	v_and_b32_e32 v144, 0xff, v144
	v_lshlrev_b32_e32 v135, 16, v135
	v_or3_b32 v9, v163, v147, v9
	v_or3_b32 v8, v8, v11, v134
	;; [unrolled: 1-line block ×3, first 2 shown]
	s_mov_b64 s[14:15], 0
	v_or3_b32 v11, v150, v144, v135
	s_mov_b32 s31, -1
.LBB2_3731:                             ;   Parent Loop BB2_51 Depth=1
                                        ;     Parent Loop BB2_3186 Depth=2
                                        ;       Parent Loop BB2_3273 Depth=3
                                        ; =>      This Inner Loop Header: Depth=4
	s_cmp_eq_u32 s14, 0
	v_cndmask_b32_e64 v144, 0, 1, s31
	s_cselect_b32 vcc_lo, -1, 0
	s_cmp_eq_u32 s14, 1
	s_mov_b32 s31, 0
	s_cselect_b32 s14, -1, 0
	s_delay_alu instid0(SALU_CYCLE_1) | instskip(SKIP_1) | instid1(VALU_DEP_2)
	v_cndmask_b32_e64 v134, v51, v53, s14
	v_cndmask_b32_e64 v135, v52, v54, s14
	v_add_co_u32 v145, s15, 0x200, v134
	s_delay_alu instid0(VALU_DEP_1) | instskip(SKIP_1) | instid1(VALU_DEP_3)
	v_add_co_ci_u32_e64 v146, s15, 0, v135, s15
	v_cmp_ne_u32_e64 s15, 1, v144
	v_cndmask_b32_e64 v53, v53, v145, s14
	v_cndmask_b32_e32 v51, v51, v145, vcc_lo
	s_delay_alu instid0(VALU_DEP_4)
	v_cndmask_b32_e64 v54, v54, v146, s14
	v_cndmask_b32_e32 v52, v52, v146, vcc_lo
	s_and_b32 vcc_lo, exec_lo, s15
	s_mov_b64 s[14:15], 1
	global_store_b128 v[134:135], v[8:11], off glc slc dlc
	s_cbranch_vccz .LBB2_3731
; %bb.3732:                             ;   in Loop: Header=BB2_3273 Depth=3
	v_add_co_u32 v64, vcc_lo, v64, v96
	v_add_co_ci_u32_e32 v65, vcc_lo, v65, v97, vcc_lo
	v_add_co_u32 v66, vcc_lo, v66, v96
	v_sub_nc_u32_e32 v130, v130, v82
	v_add_co_ci_u32_e32 v67, vcc_lo, v67, v97, vcc_lo
	v_add_co_u32 v51, vcc_lo, v51, v83
	v_add_co_ci_u32_e32 v52, vcc_lo, v52, v86, vcc_lo
	s_delay_alu instid0(VALU_DEP_4) | instskip(SKIP_1) | instid1(VALU_DEP_1)
	v_cmp_gt_i32_e32 vcc_lo, 16, v130
	v_add_co_u32 v53, s14, v53, v83
	v_add_co_ci_u32_e64 v54, s14, v54, v86, s14
	v_sub_nc_u32_e32 v132, v132, v71
	s_or_b32 s17, vcc_lo, s17
	s_delay_alu instid0(SALU_CYCLE_1)
	s_and_not1_b32 exec_lo, exec_lo, s17
	s_cbranch_execnz .LBB2_3273
	s_branch .LBB2_3926
.LBB2_3733:                             ;   in Loop: Header=BB2_3273 Depth=3
	s_mov_b32 s14, -1
	s_mov_b32 s35, exec_lo
                                        ; implicit-def: $sgpr31
	v_cmpx_eq_u16_e64 0x80, v135
; %bb.3734:                             ;   in Loop: Header=BB2_3273 Depth=3
	s_mov_b32 s31, 0x7f800001
	s_xor_b32 s14, exec_lo, -1
; %bb.3735:                             ;   in Loop: Header=BB2_3273 Depth=3
	s_or_b32 exec_lo, exec_lo, s35
	s_delay_alu instid0(SALU_CYCLE_1)
	s_and_b32 s14, s14, exec_lo
                                        ; implicit-def: $vgpr135
	s_or_saveexec_b32 s34, s34
	v_mov_b32_e32 v134, s31
	s_xor_b32 exec_lo, exec_lo, s34
	s_cbranch_execz .LBB2_3284
.LBB2_3736:                             ;   in Loop: Header=BB2_3273 Depth=3
	v_cmp_ne_u16_e64 vcc_lo, 0, v135
	v_mov_b32_e32 v134, 0
	s_and_not1_b32 s14, s14, exec_lo
	s_delay_alu instid0(VALU_DEP_2) | instskip(NEXT) | instid1(SALU_CYCLE_1)
	s_and_b32 vcc_lo, vcc_lo, exec_lo
	s_or_b32 s14, s14, vcc_lo
	s_or_b32 exec_lo, exec_lo, s34
	s_and_saveexec_b32 s31, s14
	s_cbranch_execnz .LBB2_3285
	s_branch .LBB2_3286
.LBB2_3737:                             ;   in Loop: Header=BB2_3273 Depth=3
	s_mov_b32 s14, -1
	s_mov_b32 s35, exec_lo
                                        ; implicit-def: $sgpr31
	v_cmpx_eq_u16_e64 0x80, v135
; %bb.3738:                             ;   in Loop: Header=BB2_3273 Depth=3
	s_mov_b32 s31, 0x7f800001
	s_xor_b32 s14, exec_lo, -1
; %bb.3739:                             ;   in Loop: Header=BB2_3273 Depth=3
	s_or_b32 exec_lo, exec_lo, s35
	s_delay_alu instid0(SALU_CYCLE_1)
	s_and_b32 s14, s14, exec_lo
	s_or_saveexec_b32 s34, s34
	v_mov_b32_e32 v144, s31
	s_xor_b32 exec_lo, exec_lo, s34
	s_cbranch_execz .LBB2_3296
.LBB2_3740:                             ;   in Loop: Header=BB2_3273 Depth=3
	v_cmp_ne_u16_e64 vcc_lo, 0, v135
	v_mov_b32_e32 v144, 0
	s_and_not1_b32 s14, s14, exec_lo
	s_delay_alu instid0(VALU_DEP_2) | instskip(NEXT) | instid1(SALU_CYCLE_1)
	s_and_b32 vcc_lo, vcc_lo, exec_lo
	s_or_b32 s14, s14, vcc_lo
	s_or_b32 exec_lo, exec_lo, s34
	s_and_saveexec_b32 s31, s14
	s_cbranch_execnz .LBB2_3297
	s_branch .LBB2_3298
.LBB2_3741:                             ;   in Loop: Header=BB2_3273 Depth=3
	s_mov_b32 s14, -1
	s_mov_b32 s35, exec_lo
                                        ; implicit-def: $sgpr31
	v_cmpx_eq_u16_e64 0x80, v145
; %bb.3742:                             ;   in Loop: Header=BB2_3273 Depth=3
	s_mov_b32 s31, 0x7f800001
	s_xor_b32 s14, exec_lo, -1
; %bb.3743:                             ;   in Loop: Header=BB2_3273 Depth=3
	s_or_b32 exec_lo, exec_lo, s35
	s_delay_alu instid0(SALU_CYCLE_1)
	s_and_b32 s14, s14, exec_lo
                                        ; implicit-def: $vgpr145
	s_or_saveexec_b32 s34, s34
	v_mov_b32_e32 v144, s31
	s_xor_b32 exec_lo, exec_lo, s34
	s_cbranch_execz .LBB2_3308
.LBB2_3744:                             ;   in Loop: Header=BB2_3273 Depth=3
	v_cmp_ne_u16_e64 vcc_lo, 0, v145
	v_mov_b32_e32 v144, 0
	s_and_not1_b32 s14, s14, exec_lo
	s_delay_alu instid0(VALU_DEP_2) | instskip(NEXT) | instid1(SALU_CYCLE_1)
	s_and_b32 vcc_lo, vcc_lo, exec_lo
	s_or_b32 s14, s14, vcc_lo
	s_or_b32 exec_lo, exec_lo, s34
	s_and_saveexec_b32 s31, s14
	s_cbranch_execnz .LBB2_3309
	s_branch .LBB2_3310
.LBB2_3745:                             ;   in Loop: Header=BB2_3273 Depth=3
	s_mov_b32 s14, -1
	s_mov_b32 s35, exec_lo
                                        ; implicit-def: $sgpr31
	v_cmpx_eq_u16_e64 0x80, v135
; %bb.3746:                             ;   in Loop: Header=BB2_3273 Depth=3
	s_mov_b32 s31, 0x7f800001
	s_xor_b32 s14, exec_lo, -1
; %bb.3747:                             ;   in Loop: Header=BB2_3273 Depth=3
	s_or_b32 exec_lo, exec_lo, s35
	s_delay_alu instid0(SALU_CYCLE_1)
	s_and_b32 s14, s14, exec_lo
	s_or_saveexec_b32 s34, s34
	v_mov_b32_e32 v144, s31
	s_xor_b32 exec_lo, exec_lo, s34
	s_cbranch_execz .LBB2_3320
.LBB2_3748:                             ;   in Loop: Header=BB2_3273 Depth=3
	v_cmp_ne_u16_e64 vcc_lo, 0, v135
	v_mov_b32_e32 v144, 0
	s_and_not1_b32 s14, s14, exec_lo
	s_delay_alu instid0(VALU_DEP_2) | instskip(NEXT) | instid1(SALU_CYCLE_1)
	s_and_b32 vcc_lo, vcc_lo, exec_lo
	s_or_b32 s14, s14, vcc_lo
	s_or_b32 exec_lo, exec_lo, s34
	s_and_saveexec_b32 s31, s14
	s_cbranch_execnz .LBB2_3321
	s_branch .LBB2_3322
.LBB2_3749:                             ;   in Loop: Header=BB2_3273 Depth=3
	s_mov_b32 s14, -1
	s_mov_b32 s35, exec_lo
                                        ; implicit-def: $sgpr31
	v_cmpx_eq_u16_e64 0x80, v135
; %bb.3750:                             ;   in Loop: Header=BB2_3273 Depth=3
	s_mov_b32 s31, 0x7f800001
	s_xor_b32 s14, exec_lo, -1
; %bb.3751:                             ;   in Loop: Header=BB2_3273 Depth=3
	s_or_b32 exec_lo, exec_lo, s35
	s_delay_alu instid0(SALU_CYCLE_1)
	s_and_b32 s14, s14, exec_lo
                                        ; implicit-def: $vgpr135
	s_or_saveexec_b32 s34, s34
	v_mov_b32_e32 v8, s31
	s_xor_b32 exec_lo, exec_lo, s34
	s_cbranch_execz .LBB2_3332
.LBB2_3752:                             ;   in Loop: Header=BB2_3273 Depth=3
	v_cmp_ne_u16_e64 vcc_lo, 0, v135
	v_mov_b32_e32 v8, 0
	s_and_not1_b32 s14, s14, exec_lo
	s_delay_alu instid0(VALU_DEP_2) | instskip(NEXT) | instid1(SALU_CYCLE_1)
	s_and_b32 vcc_lo, vcc_lo, exec_lo
	s_or_b32 s14, s14, vcc_lo
	s_or_b32 exec_lo, exec_lo, s34
	s_and_saveexec_b32 s31, s14
	s_cbranch_execnz .LBB2_3333
	s_branch .LBB2_3334
.LBB2_3753:                             ;   in Loop: Header=BB2_3273 Depth=3
	s_mov_b32 s14, -1
	s_mov_b32 s35, exec_lo
                                        ; implicit-def: $sgpr31
	v_cmpx_eq_u16_e32 0x80, v8
; %bb.3754:                             ;   in Loop: Header=BB2_3273 Depth=3
	s_mov_b32 s31, 0x7f800001
	s_xor_b32 s14, exec_lo, -1
; %bb.3755:                             ;   in Loop: Header=BB2_3273 Depth=3
	s_or_b32 exec_lo, exec_lo, s35
	s_delay_alu instid0(SALU_CYCLE_1)
	s_and_b32 s14, s14, exec_lo
	s_or_saveexec_b32 s34, s34
	v_mov_b32_e32 v135, s31
	s_xor_b32 exec_lo, exec_lo, s34
	s_cbranch_execz .LBB2_3344
.LBB2_3756:                             ;   in Loop: Header=BB2_3273 Depth=3
	v_cmp_ne_u16_e32 vcc_lo, 0, v8
	v_mov_b32_e32 v135, 0
	s_and_not1_b32 s14, s14, exec_lo
	s_and_b32 vcc_lo, vcc_lo, exec_lo
	s_delay_alu instid0(SALU_CYCLE_1)
	s_or_b32 s14, s14, vcc_lo
	s_or_b32 exec_lo, exec_lo, s34
	s_and_saveexec_b32 s31, s14
	s_cbranch_execnz .LBB2_3345
	s_branch .LBB2_3346
.LBB2_3757:                             ;   in Loop: Header=BB2_3273 Depth=3
	s_mov_b32 s14, -1
	s_mov_b32 s35, exec_lo
                                        ; implicit-def: $sgpr31
	v_cmpx_eq_u16_e64 0x80, v144
; %bb.3758:                             ;   in Loop: Header=BB2_3273 Depth=3
	s_mov_b32 s31, 0x7f800001
	s_xor_b32 s14, exec_lo, -1
; %bb.3759:                             ;   in Loop: Header=BB2_3273 Depth=3
	s_or_b32 exec_lo, exec_lo, s35
	s_delay_alu instid0(SALU_CYCLE_1)
	s_and_b32 s14, s14, exec_lo
                                        ; implicit-def: $vgpr144
	s_or_saveexec_b32 s34, s34
	v_mov_b32_e32 v135, s31
	s_xor_b32 exec_lo, exec_lo, s34
	s_cbranch_execz .LBB2_3356
.LBB2_3760:                             ;   in Loop: Header=BB2_3273 Depth=3
	v_cmp_ne_u16_e64 vcc_lo, 0, v144
	v_mov_b32_e32 v135, 0
	s_and_not1_b32 s14, s14, exec_lo
	s_delay_alu instid0(VALU_DEP_2) | instskip(NEXT) | instid1(SALU_CYCLE_1)
	s_and_b32 vcc_lo, vcc_lo, exec_lo
	s_or_b32 s14, s14, vcc_lo
	s_or_b32 exec_lo, exec_lo, s34
	s_and_saveexec_b32 s31, s14
	s_cbranch_execnz .LBB2_3357
	s_branch .LBB2_3358
.LBB2_3761:                             ;   in Loop: Header=BB2_3273 Depth=3
	s_mov_b32 s14, -1
	s_mov_b32 s35, exec_lo
                                        ; implicit-def: $sgpr31
	v_cmpx_eq_u16_e32 0x80, v8
; %bb.3762:                             ;   in Loop: Header=BB2_3273 Depth=3
	s_mov_b32 s31, 0x7f800001
	s_xor_b32 s14, exec_lo, -1
; %bb.3763:                             ;   in Loop: Header=BB2_3273 Depth=3
	s_or_b32 exec_lo, exec_lo, s35
	s_delay_alu instid0(SALU_CYCLE_1)
	s_and_b32 s14, s14, exec_lo
	s_or_saveexec_b32 s34, s34
	v_mov_b32_e32 v135, s31
	s_xor_b32 exec_lo, exec_lo, s34
	s_cbranch_execz .LBB2_3368
.LBB2_3764:                             ;   in Loop: Header=BB2_3273 Depth=3
	v_cmp_ne_u16_e32 vcc_lo, 0, v8
	v_mov_b32_e32 v135, 0
	s_and_not1_b32 s14, s14, exec_lo
	s_and_b32 vcc_lo, vcc_lo, exec_lo
	s_delay_alu instid0(SALU_CYCLE_1)
	s_or_b32 s14, s14, vcc_lo
	s_or_b32 exec_lo, exec_lo, s34
	s_and_saveexec_b32 s31, s14
	s_cbranch_execnz .LBB2_3369
	s_branch .LBB2_3370
.LBB2_3765:                             ;   in Loop: Header=BB2_3273 Depth=3
	s_mov_b32 s14, -1
	s_mov_b32 s35, exec_lo
                                        ; implicit-def: $sgpr31
	v_cmpx_eq_u16_e32 0x80, v9
; %bb.3766:                             ;   in Loop: Header=BB2_3273 Depth=3
	s_mov_b32 s31, 0x7f800001
	s_xor_b32 s14, exec_lo, -1
; %bb.3767:                             ;   in Loop: Header=BB2_3273 Depth=3
	s_or_b32 exec_lo, exec_lo, s35
	s_delay_alu instid0(SALU_CYCLE_1)
	s_and_b32 s14, s14, exec_lo
                                        ; implicit-def: $vgpr9
	s_or_saveexec_b32 s34, s34
	v_mov_b32_e32 v8, s31
	s_xor_b32 exec_lo, exec_lo, s34
	s_cbranch_execz .LBB2_3380
.LBB2_3768:                             ;   in Loop: Header=BB2_3273 Depth=3
	v_cmp_ne_u16_e32 vcc_lo, 0, v9
	v_mov_b32_e32 v8, 0
	s_and_not1_b32 s14, s14, exec_lo
	s_and_b32 vcc_lo, vcc_lo, exec_lo
	s_delay_alu instid0(SALU_CYCLE_1)
	s_or_b32 s14, s14, vcc_lo
	s_or_b32 exec_lo, exec_lo, s34
	s_and_saveexec_b32 s31, s14
	s_cbranch_execnz .LBB2_3381
	s_branch .LBB2_3382
.LBB2_3769:                             ;   in Loop: Header=BB2_3273 Depth=3
	s_mov_b32 s14, -1
	s_mov_b32 s35, exec_lo
                                        ; implicit-def: $sgpr31
	v_cmpx_eq_u16_e32 0x80, v8
; %bb.3770:                             ;   in Loop: Header=BB2_3273 Depth=3
	s_mov_b32 s31, 0x7f800001
	s_xor_b32 s14, exec_lo, -1
; %bb.3771:                             ;   in Loop: Header=BB2_3273 Depth=3
	s_or_b32 exec_lo, exec_lo, s35
	s_delay_alu instid0(SALU_CYCLE_1)
	s_and_b32 s14, s14, exec_lo
	s_or_saveexec_b32 s34, s34
	v_mov_b32_e32 v9, s31
	s_xor_b32 exec_lo, exec_lo, s34
	s_cbranch_execz .LBB2_3392
.LBB2_3772:                             ;   in Loop: Header=BB2_3273 Depth=3
	v_cmp_ne_u16_e32 vcc_lo, 0, v8
	v_mov_b32_e32 v9, 0
	s_and_not1_b32 s14, s14, exec_lo
	s_and_b32 vcc_lo, vcc_lo, exec_lo
	s_delay_alu instid0(SALU_CYCLE_1)
	s_or_b32 s14, s14, vcc_lo
	s_or_b32 exec_lo, exec_lo, s34
	s_and_saveexec_b32 s31, s14
	s_cbranch_execnz .LBB2_3393
	s_branch .LBB2_3394
.LBB2_3773:                             ;   in Loop: Header=BB2_3273 Depth=3
	s_mov_b32 s14, -1
	s_mov_b32 s35, exec_lo
                                        ; implicit-def: $sgpr31
	v_cmpx_eq_u16_e64 0x80, v135
; %bb.3774:                             ;   in Loop: Header=BB2_3273 Depth=3
	s_mov_b32 s31, 0x7f800001
	s_xor_b32 s14, exec_lo, -1
; %bb.3775:                             ;   in Loop: Header=BB2_3273 Depth=3
	s_or_b32 exec_lo, exec_lo, s35
	s_delay_alu instid0(SALU_CYCLE_1)
	s_and_b32 s14, s14, exec_lo
                                        ; implicit-def: $vgpr135
	s_or_saveexec_b32 s34, s34
	v_mov_b32_e32 v9, s31
	s_xor_b32 exec_lo, exec_lo, s34
	s_cbranch_execz .LBB2_3404
.LBB2_3776:                             ;   in Loop: Header=BB2_3273 Depth=3
	v_cmp_ne_u16_e64 vcc_lo, 0, v135
	v_mov_b32_e32 v9, 0
	s_and_not1_b32 s14, s14, exec_lo
	s_delay_alu instid0(VALU_DEP_2) | instskip(NEXT) | instid1(SALU_CYCLE_1)
	s_and_b32 vcc_lo, vcc_lo, exec_lo
	s_or_b32 s14, s14, vcc_lo
	s_or_b32 exec_lo, exec_lo, s34
	s_and_saveexec_b32 s31, s14
	s_cbranch_execnz .LBB2_3405
	s_branch .LBB2_3406
.LBB2_3777:                             ;   in Loop: Header=BB2_3273 Depth=3
	s_mov_b32 s14, -1
	s_mov_b32 s35, exec_lo
                                        ; implicit-def: $sgpr31
	v_cmpx_eq_u16_e32 0x80, v8
; %bb.3778:                             ;   in Loop: Header=BB2_3273 Depth=3
	s_mov_b32 s31, 0x7f800001
	s_xor_b32 s14, exec_lo, -1
; %bb.3779:                             ;   in Loop: Header=BB2_3273 Depth=3
	s_or_b32 exec_lo, exec_lo, s35
	s_delay_alu instid0(SALU_CYCLE_1)
	s_and_b32 s14, s14, exec_lo
	s_or_saveexec_b32 s34, s34
	v_mov_b32_e32 v9, s31
	s_xor_b32 exec_lo, exec_lo, s34
	s_cbranch_execz .LBB2_3416
.LBB2_3780:                             ;   in Loop: Header=BB2_3273 Depth=3
	v_cmp_ne_u16_e32 vcc_lo, 0, v8
	v_mov_b32_e32 v9, 0
	s_and_not1_b32 s14, s14, exec_lo
	s_and_b32 vcc_lo, vcc_lo, exec_lo
	s_delay_alu instid0(SALU_CYCLE_1)
	s_or_b32 s14, s14, vcc_lo
	s_or_b32 exec_lo, exec_lo, s34
	s_and_saveexec_b32 s31, s14
	s_cbranch_execnz .LBB2_3417
	s_branch .LBB2_3418
.LBB2_3781:                             ;   in Loop: Header=BB2_3273 Depth=3
	s_mov_b32 s14, -1
	s_mov_b32 s35, exec_lo
                                        ; implicit-def: $sgpr31
	v_cmpx_eq_u16_e32 0x80, v9
; %bb.3782:                             ;   in Loop: Header=BB2_3273 Depth=3
	s_mov_b32 s31, 0x7f800001
	s_xor_b32 s14, exec_lo, -1
; %bb.3783:                             ;   in Loop: Header=BB2_3273 Depth=3
	s_or_b32 exec_lo, exec_lo, s35
	s_delay_alu instid0(SALU_CYCLE_1)
	s_and_b32 s14, s14, exec_lo
                                        ; implicit-def: $vgpr9
	s_or_saveexec_b32 s34, s34
	v_mov_b32_e32 v8, s31
	s_xor_b32 exec_lo, exec_lo, s34
	s_cbranch_execz .LBB2_3428
.LBB2_3784:                             ;   in Loop: Header=BB2_3273 Depth=3
	v_cmp_ne_u16_e32 vcc_lo, 0, v9
	v_mov_b32_e32 v8, 0
	s_and_not1_b32 s14, s14, exec_lo
	s_and_b32 vcc_lo, vcc_lo, exec_lo
	s_delay_alu instid0(SALU_CYCLE_1)
	s_or_b32 s14, s14, vcc_lo
	s_or_b32 exec_lo, exec_lo, s34
	s_and_saveexec_b32 s31, s14
	s_cbranch_execnz .LBB2_3429
	s_branch .LBB2_3430
.LBB2_3785:                             ;   in Loop: Header=BB2_3273 Depth=3
	s_mov_b32 s14, -1
	s_mov_b32 s35, exec_lo
                                        ; implicit-def: $sgpr31
	v_cmpx_eq_u16_e32 0x80, v8
; %bb.3786:                             ;   in Loop: Header=BB2_3273 Depth=3
	s_mov_b32 s31, 0x7f800001
	s_xor_b32 s14, exec_lo, -1
; %bb.3787:                             ;   in Loop: Header=BB2_3273 Depth=3
	s_or_b32 exec_lo, exec_lo, s35
	s_delay_alu instid0(SALU_CYCLE_1)
	s_and_b32 s14, s14, exec_lo
	s_or_saveexec_b32 s34, s34
	v_mov_b32_e32 v9, s31
	s_xor_b32 exec_lo, exec_lo, s34
	s_cbranch_execz .LBB2_3440
.LBB2_3788:                             ;   in Loop: Header=BB2_3273 Depth=3
	v_cmp_ne_u16_e32 vcc_lo, 0, v8
	v_mov_b32_e32 v9, 0
	s_and_not1_b32 s14, s14, exec_lo
	s_and_b32 vcc_lo, vcc_lo, exec_lo
	s_delay_alu instid0(SALU_CYCLE_1)
	s_or_b32 s14, s14, vcc_lo
	s_or_b32 exec_lo, exec_lo, s34
	s_and_saveexec_b32 s31, s14
	s_cbranch_execnz .LBB2_3441
	s_branch .LBB2_3442
.LBB2_3789:                             ;   in Loop: Header=BB2_3273 Depth=3
	s_mov_b32 s14, -1
	s_mov_b32 s35, exec_lo
                                        ; implicit-def: $sgpr31
	v_cmpx_eq_u16_e32 0x80, v10
; %bb.3790:                             ;   in Loop: Header=BB2_3273 Depth=3
	s_mov_b32 s31, 0x7f800001
	s_xor_b32 s14, exec_lo, -1
; %bb.3791:                             ;   in Loop: Header=BB2_3273 Depth=3
	s_or_b32 exec_lo, exec_lo, s35
	s_delay_alu instid0(SALU_CYCLE_1)
	s_and_b32 s14, s14, exec_lo
                                        ; implicit-def: $vgpr10
	s_or_saveexec_b32 s34, s34
	v_mov_b32_e32 v9, s31
	s_xor_b32 exec_lo, exec_lo, s34
	s_cbranch_execz .LBB2_3452
.LBB2_3792:                             ;   in Loop: Header=BB2_3273 Depth=3
	v_cmp_ne_u16_e32 vcc_lo, 0, v10
	v_mov_b32_e32 v9, 0
	s_and_not1_b32 s14, s14, exec_lo
	s_and_b32 vcc_lo, vcc_lo, exec_lo
	s_delay_alu instid0(SALU_CYCLE_1)
	s_or_b32 s14, s14, vcc_lo
	s_or_b32 exec_lo, exec_lo, s34
	s_and_saveexec_b32 s31, s14
	s_cbranch_execnz .LBB2_3453
	s_branch .LBB2_3454
.LBB2_3793:                             ;   in Loop: Header=BB2_3273 Depth=3
	s_mov_b32 s14, -1
	s_mov_b32 s35, exec_lo
                                        ; implicit-def: $sgpr31
	v_cmpx_eq_u16_e32 0x80, v8
; %bb.3794:                             ;   in Loop: Header=BB2_3273 Depth=3
	s_mov_b32 s31, 0x7f800001
	s_xor_b32 s14, exec_lo, -1
; %bb.3795:                             ;   in Loop: Header=BB2_3273 Depth=3
	s_or_b32 exec_lo, exec_lo, s35
	s_delay_alu instid0(SALU_CYCLE_1)
	s_and_b32 s14, s14, exec_lo
	s_or_saveexec_b32 s34, s34
	v_mov_b32_e32 v9, s31
	s_xor_b32 exec_lo, exec_lo, s34
	s_cbranch_execz .LBB2_3464
.LBB2_3796:                             ;   in Loop: Header=BB2_3273 Depth=3
	v_cmp_ne_u16_e32 vcc_lo, 0, v8
	v_mov_b32_e32 v9, 0
	s_and_not1_b32 s14, s14, exec_lo
	s_and_b32 vcc_lo, vcc_lo, exec_lo
	s_delay_alu instid0(SALU_CYCLE_1)
	s_or_b32 s14, s14, vcc_lo
	s_or_b32 exec_lo, exec_lo, s34
	s_and_saveexec_b32 s31, s14
	s_cbranch_execnz .LBB2_3465
	s_branch .LBB2_3466
.LBB2_3797:                             ;   in Loop: Header=BB2_3273 Depth=3
	s_mov_b32 s14, -1
	s_mov_b32 s34, exec_lo
                                        ; implicit-def: $sgpr15
	v_cmpx_eq_u16_e64 0x80, v167
; %bb.3798:                             ;   in Loop: Header=BB2_3273 Depth=3
	s_mov_b32 s15, 0x7f800001
	s_xor_b32 s14, exec_lo, -1
; %bb.3799:                             ;   in Loop: Header=BB2_3273 Depth=3
	s_or_b32 exec_lo, exec_lo, s34
	s_delay_alu instid0(SALU_CYCLE_1)
	s_and_b32 s14, s14, exec_lo
                                        ; implicit-def: $vgpr167
	s_or_saveexec_b32 s31, s31
	v_mov_b32_e32 v166, s15
	s_xor_b32 exec_lo, exec_lo, s31
	s_cbranch_execz .LBB2_3476
.LBB2_3800:                             ;   in Loop: Header=BB2_3273 Depth=3
	v_cmp_ne_u16_e64 vcc_lo, 0, v167
	v_mov_b32_e32 v166, 0
	s_and_not1_b32 s14, s14, exec_lo
	s_delay_alu instid0(VALU_DEP_2) | instskip(NEXT) | instid1(SALU_CYCLE_1)
	s_and_b32 s15, vcc_lo, exec_lo
	s_or_b32 s14, s14, s15
	s_or_b32 exec_lo, exec_lo, s31
	s_and_saveexec_b32 s15, s14
	s_cbranch_execnz .LBB2_3477
	s_branch .LBB2_3478
.LBB2_3801:                             ;   in Loop: Header=BB2_3273 Depth=3
	s_mov_b32 s14, -1
	s_mov_b32 s34, exec_lo
                                        ; implicit-def: $sgpr15
	v_cmpx_eq_u16_e64 0x80, v167
; %bb.3802:                             ;   in Loop: Header=BB2_3273 Depth=3
	s_mov_b32 s15, 0x7f800001
	s_xor_b32 s14, exec_lo, -1
; %bb.3803:                             ;   in Loop: Header=BB2_3273 Depth=3
	s_or_b32 exec_lo, exec_lo, s34
	s_delay_alu instid0(SALU_CYCLE_1)
	s_and_b32 s14, s14, exec_lo
                                        ; implicit-def: $vgpr167
	s_or_saveexec_b32 s31, s31
	v_mov_b32_e32 v134, s15
	s_xor_b32 exec_lo, exec_lo, s31
	s_cbranch_execz .LBB2_3480
.LBB2_3804:                             ;   in Loop: Header=BB2_3273 Depth=3
	v_cmp_ne_u16_e64 vcc_lo, 0, v167
	v_mov_b32_e32 v134, 0
	s_and_not1_b32 s14, s14, exec_lo
	s_delay_alu instid0(VALU_DEP_2) | instskip(NEXT) | instid1(SALU_CYCLE_1)
	s_and_b32 s15, vcc_lo, exec_lo
	s_or_b32 s14, s14, s15
	s_or_b32 exec_lo, exec_lo, s31
	s_and_saveexec_b32 s15, s14
	s_cbranch_execnz .LBB2_3481
	s_branch .LBB2_3482
.LBB2_3805:                             ;   in Loop: Header=BB2_3273 Depth=3
	s_mov_b32 s14, -1
	s_mov_b32 s34, exec_lo
                                        ; implicit-def: $sgpr15
	v_cmpx_eq_u16_e64 0x80, v167
; %bb.3806:                             ;   in Loop: Header=BB2_3273 Depth=3
	s_mov_b32 s15, 0x7f800001
	s_xor_b32 s14, exec_lo, -1
; %bb.3807:                             ;   in Loop: Header=BB2_3273 Depth=3
	s_or_b32 exec_lo, exec_lo, s34
	s_delay_alu instid0(SALU_CYCLE_1)
	s_and_b32 s14, s14, exec_lo
                                        ; implicit-def: $vgpr167
	s_or_saveexec_b32 s31, s31
	v_mov_b32_e32 v166, s15
	s_xor_b32 exec_lo, exec_lo, s31
	s_cbranch_execz .LBB2_3492
.LBB2_3808:                             ;   in Loop: Header=BB2_3273 Depth=3
	v_cmp_ne_u16_e64 vcc_lo, 0, v167
	v_mov_b32_e32 v166, 0
	s_and_not1_b32 s14, s14, exec_lo
	s_delay_alu instid0(VALU_DEP_2) | instskip(NEXT) | instid1(SALU_CYCLE_1)
	s_and_b32 s15, vcc_lo, exec_lo
	s_or_b32 s14, s14, s15
	s_or_b32 exec_lo, exec_lo, s31
	s_and_saveexec_b32 s15, s14
	s_cbranch_execnz .LBB2_3493
	s_branch .LBB2_3494
.LBB2_3809:                             ;   in Loop: Header=BB2_3273 Depth=3
	s_mov_b32 s14, -1
	s_mov_b32 s34, exec_lo
                                        ; implicit-def: $sgpr15
	v_cmpx_eq_u16_e64 0x80, v146
; %bb.3810:                             ;   in Loop: Header=BB2_3273 Depth=3
	s_mov_b32 s15, 0x7f800001
	s_xor_b32 s14, exec_lo, -1
; %bb.3811:                             ;   in Loop: Header=BB2_3273 Depth=3
	s_or_b32 exec_lo, exec_lo, s34
	s_delay_alu instid0(SALU_CYCLE_1)
	s_and_b32 s14, s14, exec_lo
	s_or_saveexec_b32 s31, s31
	v_mov_b32_e32 v167, s15
	s_xor_b32 exec_lo, exec_lo, s31
	s_cbranch_execz .LBB2_3496
.LBB2_3812:                             ;   in Loop: Header=BB2_3273 Depth=3
	v_cmp_ne_u16_e64 vcc_lo, 0, v146
	v_mov_b32_e32 v167, 0
	s_and_not1_b32 s14, s14, exec_lo
	s_delay_alu instid0(VALU_DEP_2) | instskip(NEXT) | instid1(SALU_CYCLE_1)
	s_and_b32 s15, vcc_lo, exec_lo
	s_or_b32 s14, s14, s15
	s_or_b32 exec_lo, exec_lo, s31
	s_and_saveexec_b32 s15, s14
	s_cbranch_execnz .LBB2_3497
	s_branch .LBB2_3498
.LBB2_3813:                             ;   in Loop: Header=BB2_3273 Depth=3
	s_mov_b32 s14, -1
	s_mov_b32 s34, exec_lo
                                        ; implicit-def: $sgpr15
	v_cmpx_eq_u16_e64 0x80, v167
; %bb.3814:                             ;   in Loop: Header=BB2_3273 Depth=3
	s_mov_b32 s15, 0x7f800001
	s_xor_b32 s14, exec_lo, -1
; %bb.3815:                             ;   in Loop: Header=BB2_3273 Depth=3
	s_or_b32 exec_lo, exec_lo, s34
	s_delay_alu instid0(SALU_CYCLE_1)
	s_and_b32 s14, s14, exec_lo
                                        ; implicit-def: $vgpr167
	s_or_saveexec_b32 s31, s31
	v_mov_b32_e32 v166, s15
	s_xor_b32 exec_lo, exec_lo, s31
	s_cbranch_execz .LBB2_3508
.LBB2_3816:                             ;   in Loop: Header=BB2_3273 Depth=3
	v_cmp_ne_u16_e64 vcc_lo, 0, v167
	v_mov_b32_e32 v166, 0
	s_and_not1_b32 s14, s14, exec_lo
	s_delay_alu instid0(VALU_DEP_2) | instskip(NEXT) | instid1(SALU_CYCLE_1)
	s_and_b32 s15, vcc_lo, exec_lo
	s_or_b32 s14, s14, s15
	s_or_b32 exec_lo, exec_lo, s31
	s_and_saveexec_b32 s15, s14
	s_cbranch_execnz .LBB2_3509
	s_branch .LBB2_3510
.LBB2_3817:                             ;   in Loop: Header=BB2_3273 Depth=3
	s_mov_b32 s14, -1
	s_mov_b32 s34, exec_lo
                                        ; implicit-def: $sgpr15
	v_cmpx_eq_u16_e64 0x80, v176
; %bb.3818:                             ;   in Loop: Header=BB2_3273 Depth=3
	s_mov_b32 s15, 0x7f800001
	s_xor_b32 s14, exec_lo, -1
; %bb.3819:                             ;   in Loop: Header=BB2_3273 Depth=3
	s_or_b32 exec_lo, exec_lo, s34
	s_delay_alu instid0(SALU_CYCLE_1)
	s_and_b32 s14, s14, exec_lo
                                        ; implicit-def: $vgpr176
	s_or_saveexec_b32 s31, s31
	v_mov_b32_e32 v167, s15
	s_xor_b32 exec_lo, exec_lo, s31
	s_cbranch_execz .LBB2_3512
.LBB2_3820:                             ;   in Loop: Header=BB2_3273 Depth=3
	v_cmp_ne_u16_e64 vcc_lo, 0, v176
	v_mov_b32_e32 v167, 0
	s_and_not1_b32 s14, s14, exec_lo
	s_delay_alu instid0(VALU_DEP_2) | instskip(NEXT) | instid1(SALU_CYCLE_1)
	s_and_b32 s15, vcc_lo, exec_lo
	s_or_b32 s14, s14, s15
	s_or_b32 exec_lo, exec_lo, s31
	s_and_saveexec_b32 s15, s14
	s_cbranch_execnz .LBB2_3513
	s_branch .LBB2_3514
.LBB2_3821:                             ;   in Loop: Header=BB2_3273 Depth=3
	s_mov_b32 s14, -1
	s_mov_b32 s34, exec_lo
                                        ; implicit-def: $sgpr15
	v_cmpx_eq_u16_e64 0x80, v167
; %bb.3822:                             ;   in Loop: Header=BB2_3273 Depth=3
	s_mov_b32 s15, 0x7f800001
	s_xor_b32 s14, exec_lo, -1
; %bb.3823:                             ;   in Loop: Header=BB2_3273 Depth=3
	s_or_b32 exec_lo, exec_lo, s34
	s_delay_alu instid0(SALU_CYCLE_1)
	s_and_b32 s14, s14, exec_lo
	s_or_saveexec_b32 s31, s31
	v_mov_b32_e32 v166, s15
	s_xor_b32 exec_lo, exec_lo, s31
	s_cbranch_execz .LBB2_3524
.LBB2_3824:                             ;   in Loop: Header=BB2_3273 Depth=3
	v_cmp_ne_u16_e64 vcc_lo, 0, v167
	v_mov_b32_e32 v166, 0
	s_and_not1_b32 s14, s14, exec_lo
	s_delay_alu instid0(VALU_DEP_2) | instskip(NEXT) | instid1(SALU_CYCLE_1)
	s_and_b32 s15, vcc_lo, exec_lo
	s_or_b32 s14, s14, s15
	s_or_b32 exec_lo, exec_lo, s31
	s_and_saveexec_b32 s15, s14
	s_cbranch_execnz .LBB2_3525
	s_branch .LBB2_3526
.LBB2_3825:                             ;   in Loop: Header=BB2_3273 Depth=3
	s_mov_b32 s14, -1
	s_mov_b32 s34, exec_lo
                                        ; implicit-def: $sgpr15
	v_cmpx_eq_u16_e64 0x80, v163
; %bb.3826:                             ;   in Loop: Header=BB2_3273 Depth=3
	s_mov_b32 s15, 0x7f800001
	s_xor_b32 s14, exec_lo, -1
; %bb.3827:                             ;   in Loop: Header=BB2_3273 Depth=3
	s_or_b32 exec_lo, exec_lo, s34
	s_delay_alu instid0(SALU_CYCLE_1)
	s_and_b32 s14, s14, exec_lo
	s_or_saveexec_b32 s31, s31
	v_mov_b32_e32 v167, s15
	s_xor_b32 exec_lo, exec_lo, s31
	s_cbranch_execz .LBB2_3528
.LBB2_3828:                             ;   in Loop: Header=BB2_3273 Depth=3
	v_cmp_ne_u16_e64 vcc_lo, 0, v163
	v_mov_b32_e32 v167, 0
	s_and_not1_b32 s14, s14, exec_lo
	s_delay_alu instid0(VALU_DEP_2) | instskip(NEXT) | instid1(SALU_CYCLE_1)
	s_and_b32 s15, vcc_lo, exec_lo
	s_or_b32 s14, s14, s15
	s_or_b32 exec_lo, exec_lo, s31
	s_and_saveexec_b32 s15, s14
	s_cbranch_execnz .LBB2_3529
	s_branch .LBB2_3530
.LBB2_3829:                             ;   in Loop: Header=BB2_3273 Depth=3
	s_mov_b32 s14, -1
	s_mov_b32 s34, exec_lo
                                        ; implicit-def: $sgpr15
	v_cmpx_eq_u16_e64 0x80, v163
; %bb.3830:                             ;   in Loop: Header=BB2_3273 Depth=3
	s_mov_b32 s15, 0x7f800001
	s_xor_b32 s14, exec_lo, -1
; %bb.3831:                             ;   in Loop: Header=BB2_3273 Depth=3
	s_or_b32 exec_lo, exec_lo, s34
	s_delay_alu instid0(SALU_CYCLE_1)
	s_and_b32 s14, s14, exec_lo
                                        ; implicit-def: $vgpr163
	s_or_saveexec_b32 s31, s31
	v_mov_b32_e32 v162, s15
	s_xor_b32 exec_lo, exec_lo, s31
	s_cbranch_execz .LBB2_3540
.LBB2_3832:                             ;   in Loop: Header=BB2_3273 Depth=3
	v_cmp_ne_u16_e64 vcc_lo, 0, v163
	v_mov_b32_e32 v162, 0
	s_and_not1_b32 s14, s14, exec_lo
	s_delay_alu instid0(VALU_DEP_2) | instskip(NEXT) | instid1(SALU_CYCLE_1)
	s_and_b32 s15, vcc_lo, exec_lo
	s_or_b32 s14, s14, s15
	s_or_b32 exec_lo, exec_lo, s31
	s_and_saveexec_b32 s15, s14
	s_cbranch_execnz .LBB2_3541
	s_branch .LBB2_3542
.LBB2_3833:                             ;   in Loop: Header=BB2_3273 Depth=3
	s_mov_b32 s14, -1
	s_mov_b32 s34, exec_lo
                                        ; implicit-def: $sgpr15
	v_cmpx_eq_u16_e64 0x80, v166
; %bb.3834:                             ;   in Loop: Header=BB2_3273 Depth=3
	s_mov_b32 s15, 0x7f800001
	s_xor_b32 s14, exec_lo, -1
; %bb.3835:                             ;   in Loop: Header=BB2_3273 Depth=3
	s_or_b32 exec_lo, exec_lo, s34
	s_delay_alu instid0(SALU_CYCLE_1)
	s_and_b32 s14, s14, exec_lo
                                        ; implicit-def: $vgpr166
	s_or_saveexec_b32 s31, s31
	v_mov_b32_e32 v163, s15
	s_xor_b32 exec_lo, exec_lo, s31
	s_cbranch_execz .LBB2_3544
.LBB2_3836:                             ;   in Loop: Header=BB2_3273 Depth=3
	v_cmp_ne_u16_e64 vcc_lo, 0, v166
	v_mov_b32_e32 v163, 0
	s_and_not1_b32 s14, s14, exec_lo
	s_delay_alu instid0(VALU_DEP_2) | instskip(NEXT) | instid1(SALU_CYCLE_1)
	s_and_b32 s15, vcc_lo, exec_lo
	s_or_b32 s14, s14, s15
	s_or_b32 exec_lo, exec_lo, s31
	s_and_saveexec_b32 s15, s14
	s_cbranch_execnz .LBB2_3545
	s_branch .LBB2_3546
.LBB2_3837:                             ;   in Loop: Header=BB2_3273 Depth=3
	s_mov_b32 s14, -1
	s_mov_b32 s34, exec_lo
                                        ; implicit-def: $sgpr15
	v_cmpx_eq_u16_e64 0x80, v166
; %bb.3838:                             ;   in Loop: Header=BB2_3273 Depth=3
	s_mov_b32 s15, 0x7f800001
	s_xor_b32 s14, exec_lo, -1
; %bb.3839:                             ;   in Loop: Header=BB2_3273 Depth=3
	s_or_b32 exec_lo, exec_lo, s34
	s_delay_alu instid0(SALU_CYCLE_1)
	s_and_b32 s14, s14, exec_lo
	s_or_saveexec_b32 s31, s31
	v_mov_b32_e32 v163, s15
	s_xor_b32 exec_lo, exec_lo, s31
	s_cbranch_execz .LBB2_3556
.LBB2_3840:                             ;   in Loop: Header=BB2_3273 Depth=3
	v_cmp_ne_u16_e64 vcc_lo, 0, v166
	v_mov_b32_e32 v163, 0
	s_and_not1_b32 s14, s14, exec_lo
	s_delay_alu instid0(VALU_DEP_2) | instskip(NEXT) | instid1(SALU_CYCLE_1)
	s_and_b32 s15, vcc_lo, exec_lo
	s_or_b32 s14, s14, s15
	s_or_b32 exec_lo, exec_lo, s31
	s_and_saveexec_b32 s15, s14
	s_cbranch_execnz .LBB2_3557
	s_branch .LBB2_3558
.LBB2_3841:                             ;   in Loop: Header=BB2_3273 Depth=3
	s_mov_b32 s14, -1
	s_mov_b32 s34, exec_lo
                                        ; implicit-def: $sgpr15
	v_cmpx_eq_u16_e64 0x80, v166
; %bb.3842:                             ;   in Loop: Header=BB2_3273 Depth=3
	s_mov_b32 s15, 0x7f800001
	s_xor_b32 s14, exec_lo, -1
; %bb.3843:                             ;   in Loop: Header=BB2_3273 Depth=3
	s_or_b32 exec_lo, exec_lo, s34
	s_delay_alu instid0(SALU_CYCLE_1)
	s_and_b32 s14, s14, exec_lo
	s_or_saveexec_b32 s31, s31
	v_mov_b32_e32 v167, s15
	s_xor_b32 exec_lo, exec_lo, s31
	s_cbranch_execz .LBB2_3560
.LBB2_3844:                             ;   in Loop: Header=BB2_3273 Depth=3
	v_cmp_ne_u16_e64 vcc_lo, 0, v166
	v_mov_b32_e32 v167, 0
	s_and_not1_b32 s14, s14, exec_lo
	s_delay_alu instid0(VALU_DEP_2) | instskip(NEXT) | instid1(SALU_CYCLE_1)
	s_and_b32 s15, vcc_lo, exec_lo
	s_or_b32 s14, s14, s15
	s_or_b32 exec_lo, exec_lo, s31
	s_and_saveexec_b32 s15, s14
	s_cbranch_execnz .LBB2_3561
	s_branch .LBB2_3562
.LBB2_3845:                             ;   in Loop: Header=BB2_3273 Depth=3
	s_mov_b32 s14, -1
	s_mov_b32 s34, exec_lo
                                        ; implicit-def: $sgpr15
	v_cmpx_eq_u16_e64 0x80, v166
; %bb.3846:                             ;   in Loop: Header=BB2_3273 Depth=3
	s_mov_b32 s15, 0x7f800001
	s_xor_b32 s14, exec_lo, -1
; %bb.3847:                             ;   in Loop: Header=BB2_3273 Depth=3
	s_or_b32 exec_lo, exec_lo, s34
	s_delay_alu instid0(SALU_CYCLE_1)
	s_and_b32 s14, s14, exec_lo
                                        ; implicit-def: $vgpr166
	s_or_saveexec_b32 s31, s31
	v_mov_b32_e32 v161, s15
	s_xor_b32 exec_lo, exec_lo, s31
	s_cbranch_execz .LBB2_3572
.LBB2_3848:                             ;   in Loop: Header=BB2_3273 Depth=3
	v_cmp_ne_u16_e64 vcc_lo, 0, v166
	v_mov_b32_e32 v161, 0
	s_and_not1_b32 s14, s14, exec_lo
	s_delay_alu instid0(VALU_DEP_2) | instskip(NEXT) | instid1(SALU_CYCLE_1)
	s_and_b32 s15, vcc_lo, exec_lo
	s_or_b32 s14, s14, s15
	s_or_b32 exec_lo, exec_lo, s31
	v_lshl_or_b32 v164, v164, 16, v165
	s_and_saveexec_b32 s15, s14
	s_cbranch_execnz .LBB2_3573
	s_branch .LBB2_3574
.LBB2_3849:                             ;   in Loop: Header=BB2_3273 Depth=3
	s_mov_b32 s14, -1
	s_mov_b32 s34, exec_lo
                                        ; implicit-def: $sgpr15
	v_cmpx_eq_u16_e64 0x80, v167
; %bb.3850:                             ;   in Loop: Header=BB2_3273 Depth=3
	s_mov_b32 s15, 0x7f800001
	s_xor_b32 s14, exec_lo, -1
; %bb.3851:                             ;   in Loop: Header=BB2_3273 Depth=3
	s_or_b32 exec_lo, exec_lo, s34
	s_delay_alu instid0(SALU_CYCLE_1)
	s_and_b32 s14, s14, exec_lo
                                        ; implicit-def: $vgpr167
	s_or_saveexec_b32 s31, s31
	v_mov_b32_e32 v166, s15
	s_xor_b32 exec_lo, exec_lo, s31
	s_cbranch_execz .LBB2_3576
.LBB2_3852:                             ;   in Loop: Header=BB2_3273 Depth=3
	v_cmp_ne_u16_e64 vcc_lo, 0, v167
	v_mov_b32_e32 v166, 0
	s_and_not1_b32 s14, s14, exec_lo
	s_delay_alu instid0(VALU_DEP_2) | instskip(NEXT) | instid1(SALU_CYCLE_1)
	s_and_b32 s15, vcc_lo, exec_lo
	s_or_b32 s14, s14, s15
	s_or_b32 exec_lo, exec_lo, s31
	s_and_saveexec_b32 s15, s14
	s_cbranch_execnz .LBB2_3577
	s_branch .LBB2_3578
.LBB2_3853:                             ;   in Loop: Header=BB2_3273 Depth=3
	s_mov_b32 s14, -1
	s_mov_b32 s34, exec_lo
                                        ; implicit-def: $sgpr15
	v_cmpx_eq_u16_e64 0x80, v166
; %bb.3854:                             ;   in Loop: Header=BB2_3273 Depth=3
	s_mov_b32 s15, 0x7f800001
	s_xor_b32 s14, exec_lo, -1
; %bb.3855:                             ;   in Loop: Header=BB2_3273 Depth=3
	s_or_b32 exec_lo, exec_lo, s34
	s_delay_alu instid0(SALU_CYCLE_1)
	s_and_b32 s14, s14, exec_lo
	s_or_saveexec_b32 s31, s31
	v_mov_b32_e32 v165, s15
	s_xor_b32 exec_lo, exec_lo, s31
	s_cbranch_execz .LBB2_3588
.LBB2_3856:                             ;   in Loop: Header=BB2_3273 Depth=3
	v_cmp_ne_u16_e64 vcc_lo, 0, v166
	v_mov_b32_e32 v165, 0
	s_and_not1_b32 s14, s14, exec_lo
	s_delay_alu instid0(VALU_DEP_2) | instskip(NEXT) | instid1(SALU_CYCLE_1)
	s_and_b32 s15, vcc_lo, exec_lo
	s_or_b32 s14, s14, s15
	s_or_b32 exec_lo, exec_lo, s31
	s_and_saveexec_b32 s15, s14
	s_cbranch_execnz .LBB2_3589
	s_branch .LBB2_3590
.LBB2_3857:                             ;   in Loop: Header=BB2_3273 Depth=3
	s_mov_b32 s14, -1
	s_mov_b32 s34, exec_lo
                                        ; implicit-def: $sgpr15
	v_cmpx_eq_u16_e64 0x80, v164
; %bb.3858:                             ;   in Loop: Header=BB2_3273 Depth=3
	s_mov_b32 s15, 0x7f800001
	s_xor_b32 s14, exec_lo, -1
; %bb.3859:                             ;   in Loop: Header=BB2_3273 Depth=3
	s_or_b32 exec_lo, exec_lo, s34
	s_delay_alu instid0(SALU_CYCLE_1)
	s_and_b32 s14, s14, exec_lo
	s_or_saveexec_b32 s31, s31
	v_mov_b32_e32 v166, s15
	s_xor_b32 exec_lo, exec_lo, s31
	s_cbranch_execz .LBB2_3592
.LBB2_3860:                             ;   in Loop: Header=BB2_3273 Depth=3
	v_cmp_ne_u16_e64 vcc_lo, 0, v164
	v_mov_b32_e32 v166, 0
	s_and_not1_b32 s14, s14, exec_lo
	s_delay_alu instid0(VALU_DEP_2) | instskip(NEXT) | instid1(SALU_CYCLE_1)
	s_and_b32 s15, vcc_lo, exec_lo
	s_or_b32 s14, s14, s15
	s_or_b32 exec_lo, exec_lo, s31
	s_and_saveexec_b32 s15, s14
	s_cbranch_execnz .LBB2_3593
	s_branch .LBB2_3594
.LBB2_3861:                             ;   in Loop: Header=BB2_3273 Depth=3
	s_mov_b32 s14, -1
	s_mov_b32 s34, exec_lo
                                        ; implicit-def: $sgpr15
	v_cmpx_eq_u16_e64 0x80, v165
; %bb.3862:                             ;   in Loop: Header=BB2_3273 Depth=3
	s_mov_b32 s15, 0x7f800001
	s_xor_b32 s14, exec_lo, -1
; %bb.3863:                             ;   in Loop: Header=BB2_3273 Depth=3
	s_or_b32 exec_lo, exec_lo, s34
	s_delay_alu instid0(SALU_CYCLE_1)
	s_and_b32 s14, s14, exec_lo
                                        ; implicit-def: $vgpr165
	s_or_saveexec_b32 s31, s31
	v_mov_b32_e32 v164, s15
	s_xor_b32 exec_lo, exec_lo, s31
	s_cbranch_execz .LBB2_3604
.LBB2_3864:                             ;   in Loop: Header=BB2_3273 Depth=3
	v_cmp_ne_u16_e64 vcc_lo, 0, v165
	v_mov_b32_e32 v164, 0
	s_and_not1_b32 s14, s14, exec_lo
	s_delay_alu instid0(VALU_DEP_2) | instskip(NEXT) | instid1(SALU_CYCLE_1)
	s_and_b32 s15, vcc_lo, exec_lo
	s_or_b32 s14, s14, s15
	s_or_b32 exec_lo, exec_lo, s31
	s_and_saveexec_b32 s15, s14
	s_cbranch_execnz .LBB2_3605
	s_branch .LBB2_3606
.LBB2_3865:                             ;   in Loop: Header=BB2_3273 Depth=3
	s_mov_b32 s14, -1
	s_mov_b32 s34, exec_lo
                                        ; implicit-def: $sgpr15
	v_cmpx_eq_u16_e64 0x80, v165
; %bb.3866:                             ;   in Loop: Header=BB2_3273 Depth=3
	s_mov_b32 s15, 0x7f800001
	s_xor_b32 s14, exec_lo, -1
; %bb.3867:                             ;   in Loop: Header=BB2_3273 Depth=3
	s_or_b32 exec_lo, exec_lo, s34
	s_delay_alu instid0(SALU_CYCLE_1)
	s_and_b32 s14, s14, exec_lo
                                        ; implicit-def: $vgpr165
	s_or_saveexec_b32 s31, s31
	v_mov_b32_e32 v151, s15
	s_xor_b32 exec_lo, exec_lo, s31
	s_cbranch_execz .LBB2_3608
.LBB2_3868:                             ;   in Loop: Header=BB2_3273 Depth=3
	v_cmp_ne_u16_e64 vcc_lo, 0, v165
	v_mov_b32_e32 v151, 0
	s_and_not1_b32 s14, s14, exec_lo
	s_delay_alu instid0(VALU_DEP_2) | instskip(NEXT) | instid1(SALU_CYCLE_1)
	s_and_b32 s15, vcc_lo, exec_lo
	s_or_b32 s14, s14, s15
	s_or_b32 exec_lo, exec_lo, s31
	s_and_saveexec_b32 s15, s14
	s_cbranch_execnz .LBB2_3609
	s_branch .LBB2_3610
.LBB2_3869:                             ;   in Loop: Header=BB2_3273 Depth=3
	s_mov_b32 s14, -1
	s_mov_b32 s34, exec_lo
                                        ; implicit-def: $sgpr15
	v_cmpx_eq_u16_e64 0x80, v165
; %bb.3870:                             ;   in Loop: Header=BB2_3273 Depth=3
	s_mov_b32 s15, 0x7f800001
	s_xor_b32 s14, exec_lo, -1
; %bb.3871:                             ;   in Loop: Header=BB2_3273 Depth=3
	s_or_b32 exec_lo, exec_lo, s34
	s_delay_alu instid0(SALU_CYCLE_1)
	s_and_b32 s14, s14, exec_lo
                                        ; implicit-def: $vgpr165
	s_or_saveexec_b32 s31, s31
	v_mov_b32_e32 v164, s15
	s_xor_b32 exec_lo, exec_lo, s31
	s_cbranch_execz .LBB2_3620
.LBB2_3872:                             ;   in Loop: Header=BB2_3273 Depth=3
	v_cmp_ne_u16_e64 vcc_lo, 0, v165
	v_mov_b32_e32 v164, 0
	s_and_not1_b32 s14, s14, exec_lo
	s_delay_alu instid0(VALU_DEP_2) | instskip(NEXT) | instid1(SALU_CYCLE_1)
	s_and_b32 s15, vcc_lo, exec_lo
	s_or_b32 s14, s14, s15
	s_or_b32 exec_lo, exec_lo, s31
	s_and_saveexec_b32 s15, s14
	s_cbranch_execnz .LBB2_3621
	s_branch .LBB2_3622
.LBB2_3873:                             ;   in Loop: Header=BB2_3273 Depth=3
	s_mov_b32 s14, -1
	s_mov_b32 s34, exec_lo
                                        ; implicit-def: $sgpr15
	v_cmpx_eq_u16_e64 0x80, v149
; %bb.3874:                             ;   in Loop: Header=BB2_3273 Depth=3
	s_mov_b32 s15, 0x7f800001
	s_xor_b32 s14, exec_lo, -1
; %bb.3875:                             ;   in Loop: Header=BB2_3273 Depth=3
	s_or_b32 exec_lo, exec_lo, s34
	s_delay_alu instid0(SALU_CYCLE_1)
	s_and_b32 s14, s14, exec_lo
	s_or_saveexec_b32 s31, s31
	v_mov_b32_e32 v165, s15
	s_xor_b32 exec_lo, exec_lo, s31
	s_cbranch_execz .LBB2_3624
.LBB2_3876:                             ;   in Loop: Header=BB2_3273 Depth=3
	v_cmp_ne_u16_e64 vcc_lo, 0, v149
	v_mov_b32_e32 v165, 0
	s_and_not1_b32 s14, s14, exec_lo
	s_delay_alu instid0(VALU_DEP_2) | instskip(NEXT) | instid1(SALU_CYCLE_1)
	s_and_b32 s15, vcc_lo, exec_lo
	s_or_b32 s14, s14, s15
	s_or_b32 exec_lo, exec_lo, s31
	s_and_saveexec_b32 s15, s14
	s_cbranch_execnz .LBB2_3625
	s_branch .LBB2_3626
.LBB2_3877:                             ;   in Loop: Header=BB2_3273 Depth=3
	s_mov_b32 s14, -1
	s_mov_b32 s34, exec_lo
                                        ; implicit-def: $sgpr15
	v_cmpx_eq_u16_e64 0x80, v165
; %bb.3878:                             ;   in Loop: Header=BB2_3273 Depth=3
	s_mov_b32 s15, 0x7f800001
	s_xor_b32 s14, exec_lo, -1
; %bb.3879:                             ;   in Loop: Header=BB2_3273 Depth=3
	s_or_b32 exec_lo, exec_lo, s34
	s_delay_alu instid0(SALU_CYCLE_1)
	s_and_b32 s14, s14, exec_lo
                                        ; implicit-def: $vgpr165
	s_or_saveexec_b32 s31, s31
	v_mov_b32_e32 v164, s15
	s_xor_b32 exec_lo, exec_lo, s31
	s_cbranch_execz .LBB2_3636
.LBB2_3880:                             ;   in Loop: Header=BB2_3273 Depth=3
	v_cmp_ne_u16_e64 vcc_lo, 0, v165
	v_mov_b32_e32 v164, 0
	s_and_not1_b32 s14, s14, exec_lo
	s_delay_alu instid0(VALU_DEP_2) | instskip(NEXT) | instid1(SALU_CYCLE_1)
	s_and_b32 s15, vcc_lo, exec_lo
	s_or_b32 s14, s14, s15
	s_or_b32 exec_lo, exec_lo, s31
	s_and_saveexec_b32 s15, s14
	s_cbranch_execnz .LBB2_3637
	s_branch .LBB2_3638
.LBB2_3881:                             ;   in Loop: Header=BB2_3273 Depth=3
	s_mov_b32 s14, -1
	s_mov_b32 s34, exec_lo
                                        ; implicit-def: $sgpr15
	v_cmpx_eq_u16_e64 0x80, v166
; %bb.3882:                             ;   in Loop: Header=BB2_3273 Depth=3
	s_mov_b32 s15, 0x7f800001
	s_xor_b32 s14, exec_lo, -1
; %bb.3883:                             ;   in Loop: Header=BB2_3273 Depth=3
	s_or_b32 exec_lo, exec_lo, s34
	s_delay_alu instid0(SALU_CYCLE_1)
	s_and_b32 s14, s14, exec_lo
                                        ; implicit-def: $vgpr166
	s_or_saveexec_b32 s31, s31
	v_mov_b32_e32 v165, s15
	s_xor_b32 exec_lo, exec_lo, s31
	s_cbranch_execz .LBB2_3640
.LBB2_3884:                             ;   in Loop: Header=BB2_3273 Depth=3
	v_cmp_ne_u16_e64 vcc_lo, 0, v166
	v_mov_b32_e32 v165, 0
	s_and_not1_b32 s14, s14, exec_lo
	s_delay_alu instid0(VALU_DEP_2) | instskip(NEXT) | instid1(SALU_CYCLE_1)
	s_and_b32 s15, vcc_lo, exec_lo
	s_or_b32 s14, s14, s15
	s_or_b32 exec_lo, exec_lo, s31
	s_and_saveexec_b32 s15, s14
	s_cbranch_execnz .LBB2_3641
	s_branch .LBB2_3642
.LBB2_3885:                             ;   in Loop: Header=BB2_3273 Depth=3
	s_mov_b32 s14, -1
	s_mov_b32 s34, exec_lo
                                        ; implicit-def: $sgpr15
	v_cmpx_eq_u16_e64 0x80, v165
; %bb.3886:                             ;   in Loop: Header=BB2_3273 Depth=3
	s_mov_b32 s15, 0x7f800001
	s_xor_b32 s14, exec_lo, -1
; %bb.3887:                             ;   in Loop: Header=BB2_3273 Depth=3
	s_or_b32 exec_lo, exec_lo, s34
	s_delay_alu instid0(SALU_CYCLE_1)
	s_and_b32 s14, s14, exec_lo
	s_or_saveexec_b32 s31, s31
	v_mov_b32_e32 v164, s15
	s_xor_b32 exec_lo, exec_lo, s31
	s_cbranch_execz .LBB2_3652
.LBB2_3888:                             ;   in Loop: Header=BB2_3273 Depth=3
	v_cmp_ne_u16_e64 vcc_lo, 0, v165
	v_mov_b32_e32 v164, 0
	s_and_not1_b32 s14, s14, exec_lo
	s_delay_alu instid0(VALU_DEP_2) | instskip(NEXT) | instid1(SALU_CYCLE_1)
	s_and_b32 s15, vcc_lo, exec_lo
	s_or_b32 s14, s14, s15
	s_or_b32 exec_lo, exec_lo, s31
	s_and_saveexec_b32 s15, s14
	s_cbranch_execnz .LBB2_3653
	s_branch .LBB2_3654
.LBB2_3889:                             ;   in Loop: Header=BB2_3273 Depth=3
	s_mov_b32 s14, -1
	s_mov_b32 s34, exec_lo
                                        ; implicit-def: $sgpr15
	v_cmpx_eq_u16_e64 0x80, v145
; %bb.3890:                             ;   in Loop: Header=BB2_3273 Depth=3
	s_mov_b32 s15, 0x7f800001
	s_xor_b32 s14, exec_lo, -1
; %bb.3891:                             ;   in Loop: Header=BB2_3273 Depth=3
	s_or_b32 exec_lo, exec_lo, s34
	s_delay_alu instid0(SALU_CYCLE_1)
	s_and_b32 s14, s14, exec_lo
	s_or_saveexec_b32 s31, s31
	v_mov_b32_e32 v165, s15
	s_xor_b32 exec_lo, exec_lo, s31
	s_cbranch_execz .LBB2_3656
.LBB2_3892:                             ;   in Loop: Header=BB2_3273 Depth=3
	v_cmp_ne_u16_e64 vcc_lo, 0, v145
	v_mov_b32_e32 v165, 0
	s_and_not1_b32 s14, s14, exec_lo
	s_delay_alu instid0(VALU_DEP_2) | instskip(NEXT) | instid1(SALU_CYCLE_1)
	s_and_b32 s15, vcc_lo, exec_lo
	s_or_b32 s14, s14, s15
	s_or_b32 exec_lo, exec_lo, s31
	s_and_saveexec_b32 s15, s14
	s_cbranch_execnz .LBB2_3657
	s_branch .LBB2_3658
.LBB2_3893:                             ;   in Loop: Header=BB2_3273 Depth=3
	s_mov_b32 s14, -1
	s_mov_b32 s34, exec_lo
                                        ; implicit-def: $sgpr15
	v_cmpx_eq_u16_e64 0x80, v150
; %bb.3894:                             ;   in Loop: Header=BB2_3273 Depth=3
	s_mov_b32 s15, 0x7f800001
	s_xor_b32 s14, exec_lo, -1
; %bb.3895:                             ;   in Loop: Header=BB2_3273 Depth=3
	s_or_b32 exec_lo, exec_lo, s34
	s_delay_alu instid0(SALU_CYCLE_1)
	s_and_b32 s14, s14, exec_lo
                                        ; implicit-def: $vgpr150
	s_or_saveexec_b32 s31, s31
	v_mov_b32_e32 v144, s15
	s_xor_b32 exec_lo, exec_lo, s31
	s_cbranch_execz .LBB2_3668
.LBB2_3896:                             ;   in Loop: Header=BB2_3273 Depth=3
	v_cmp_ne_u16_e64 vcc_lo, 0, v150
	v_mov_b32_e32 v144, 0
	s_and_not1_b32 s14, s14, exec_lo
	s_delay_alu instid0(VALU_DEP_2) | instskip(NEXT) | instid1(SALU_CYCLE_1)
	s_and_b32 s15, vcc_lo, exec_lo
	s_or_b32 s14, s14, s15
	s_or_b32 exec_lo, exec_lo, s31
	s_and_saveexec_b32 s15, s14
	s_cbranch_execnz .LBB2_3669
	s_branch .LBB2_3670
.LBB2_3897:                             ;   in Loop: Header=BB2_3273 Depth=3
	s_mov_b32 s14, -1
	s_mov_b32 s34, exec_lo
                                        ; implicit-def: $sgpr15
	v_cmpx_eq_u16_e64 0x80, v164
; %bb.3898:                             ;   in Loop: Header=BB2_3273 Depth=3
	s_mov_b32 s15, 0x7f800001
	s_xor_b32 s14, exec_lo, -1
; %bb.3899:                             ;   in Loop: Header=BB2_3273 Depth=3
	s_or_b32 exec_lo, exec_lo, s34
	s_delay_alu instid0(SALU_CYCLE_1)
	s_and_b32 s14, s14, exec_lo
                                        ; implicit-def: $vgpr164
	s_or_saveexec_b32 s31, s31
	v_mov_b32_e32 v150, s15
	s_xor_b32 exec_lo, exec_lo, s31
	s_cbranch_execz .LBB2_3672
.LBB2_3900:                             ;   in Loop: Header=BB2_3273 Depth=3
	v_cmp_ne_u16_e64 vcc_lo, 0, v164
	v_mov_b32_e32 v150, 0
	s_and_not1_b32 s14, s14, exec_lo
	s_delay_alu instid0(VALU_DEP_2) | instskip(NEXT) | instid1(SALU_CYCLE_1)
	s_and_b32 s15, vcc_lo, exec_lo
	s_or_b32 s14, s14, s15
	s_or_b32 exec_lo, exec_lo, s31
	s_and_saveexec_b32 s15, s14
	s_cbranch_execnz .LBB2_3673
	s_branch .LBB2_3674
.LBB2_3901:                             ;   in Loop: Header=BB2_3273 Depth=3
	s_mov_b32 s14, -1
	s_mov_b32 s34, exec_lo
                                        ; implicit-def: $sgpr15
	v_cmpx_eq_u16_e64 0x80, v164
; %bb.3902:                             ;   in Loop: Header=BB2_3273 Depth=3
	s_mov_b32 s15, 0x7f800001
	s_xor_b32 s14, exec_lo, -1
; %bb.3903:                             ;   in Loop: Header=BB2_3273 Depth=3
	s_or_b32 exec_lo, exec_lo, s34
	s_delay_alu instid0(SALU_CYCLE_1)
	s_and_b32 s14, s14, exec_lo
	s_or_saveexec_b32 s31, s31
	v_mov_b32_e32 v150, s15
	s_xor_b32 exec_lo, exec_lo, s31
	s_cbranch_execz .LBB2_3684
.LBB2_3904:                             ;   in Loop: Header=BB2_3273 Depth=3
	v_cmp_ne_u16_e64 vcc_lo, 0, v164
	v_mov_b32_e32 v150, 0
	s_and_not1_b32 s14, s14, exec_lo
	s_delay_alu instid0(VALU_DEP_2) | instskip(NEXT) | instid1(SALU_CYCLE_1)
	s_and_b32 s15, vcc_lo, exec_lo
	s_or_b32 s14, s14, s15
	s_or_b32 exec_lo, exec_lo, s31
	s_and_saveexec_b32 s15, s14
	s_cbranch_execnz .LBB2_3685
	s_branch .LBB2_3686
.LBB2_3905:                             ;   in Loop: Header=BB2_3273 Depth=3
	s_mov_b32 s14, -1
	s_mov_b32 s34, exec_lo
                                        ; implicit-def: $sgpr15
	v_cmpx_eq_u16_e64 0x80, v164
; %bb.3906:                             ;   in Loop: Header=BB2_3273 Depth=3
	s_mov_b32 s15, 0x7f800001
	s_xor_b32 s14, exec_lo, -1
; %bb.3907:                             ;   in Loop: Header=BB2_3273 Depth=3
	s_or_b32 exec_lo, exec_lo, s34
	s_delay_alu instid0(SALU_CYCLE_1)
	s_and_b32 s14, s14, exec_lo
	s_or_saveexec_b32 s31, s31
	v_mov_b32_e32 v165, s15
	s_xor_b32 exec_lo, exec_lo, s31
	s_cbranch_execz .LBB2_3688
.LBB2_3908:                             ;   in Loop: Header=BB2_3273 Depth=3
	v_cmp_ne_u16_e64 vcc_lo, 0, v164
	v_mov_b32_e32 v165, 0
	s_and_not1_b32 s14, s14, exec_lo
	s_delay_alu instid0(VALU_DEP_2) | instskip(NEXT) | instid1(SALU_CYCLE_1)
	s_and_b32 s15, vcc_lo, exec_lo
	s_or_b32 s14, s14, s15
	s_or_b32 exec_lo, exec_lo, s31
	s_and_saveexec_b32 s15, s14
	s_cbranch_execnz .LBB2_3689
	s_branch .LBB2_3690
.LBB2_3909:                             ;   in Loop: Header=BB2_3273 Depth=3
	s_mov_b32 s14, -1
	s_mov_b32 s34, exec_lo
                                        ; implicit-def: $sgpr15
	v_cmpx_eq_u16_e64 0x80, v164
; %bb.3910:                             ;   in Loop: Header=BB2_3273 Depth=3
	s_mov_b32 s15, 0x7f800001
	s_xor_b32 s14, exec_lo, -1
; %bb.3911:                             ;   in Loop: Header=BB2_3273 Depth=3
	s_or_b32 exec_lo, exec_lo, s34
	s_delay_alu instid0(SALU_CYCLE_1)
	s_and_b32 s14, s14, exec_lo
                                        ; implicit-def: $vgpr164
	s_or_saveexec_b32 s31, s31
	v_mov_b32_e32 v135, s15
	s_xor_b32 exec_lo, exec_lo, s31
	s_cbranch_execz .LBB2_3700
.LBB2_3912:                             ;   in Loop: Header=BB2_3273 Depth=3
	v_cmp_ne_u16_e64 vcc_lo, 0, v164
	v_mov_b32_e32 v135, 0
	s_and_not1_b32 s14, s14, exec_lo
	s_delay_alu instid0(VALU_DEP_2) | instskip(NEXT) | instid1(SALU_CYCLE_1)
	s_and_b32 s15, vcc_lo, exec_lo
	s_or_b32 s14, s14, s15
	s_or_b32 exec_lo, exec_lo, s31
	v_lshl_or_b32 v145, v147, 16, v145
	s_and_saveexec_b32 s15, s14
	s_cbranch_execnz .LBB2_3701
	s_branch .LBB2_3702
.LBB2_3913:                             ;   in Loop: Header=BB2_3273 Depth=3
	s_mov_b32 s14, -1
	s_mov_b32 s34, exec_lo
                                        ; implicit-def: $sgpr15
	v_cmpx_eq_u16_e64 0x80, v165
; %bb.3914:                             ;   in Loop: Header=BB2_3273 Depth=3
	s_mov_b32 s15, 0x7f800001
	s_xor_b32 s14, exec_lo, -1
; %bb.3915:                             ;   in Loop: Header=BB2_3273 Depth=3
	s_or_b32 exec_lo, exec_lo, s34
	s_delay_alu instid0(SALU_CYCLE_1)
	s_and_b32 s14, s14, exec_lo
                                        ; implicit-def: $vgpr165
	s_or_saveexec_b32 s31, s31
	v_mov_b32_e32 v164, s15
	s_xor_b32 exec_lo, exec_lo, s31
	s_cbranch_execz .LBB2_3704
.LBB2_3916:                             ;   in Loop: Header=BB2_3273 Depth=3
	v_cmp_ne_u16_e64 vcc_lo, 0, v165
	v_mov_b32_e32 v164, 0
	s_and_not1_b32 s14, s14, exec_lo
	s_delay_alu instid0(VALU_DEP_2) | instskip(NEXT) | instid1(SALU_CYCLE_1)
	s_and_b32 s15, vcc_lo, exec_lo
	s_or_b32 s14, s14, s15
	s_or_b32 exec_lo, exec_lo, s31
	s_and_saveexec_b32 s15, s14
	s_cbranch_execnz .LBB2_3705
	s_branch .LBB2_3706
.LBB2_3917:                             ;   in Loop: Header=BB2_3273 Depth=3
	s_mov_b32 s14, -1
	s_mov_b32 s34, exec_lo
                                        ; implicit-def: $sgpr15
	v_cmpx_eq_u16_e64 0x80, v164
; %bb.3918:                             ;   in Loop: Header=BB2_3273 Depth=3
	s_mov_b32 s15, 0x7f800001
	s_xor_b32 s14, exec_lo, -1
; %bb.3919:                             ;   in Loop: Header=BB2_3273 Depth=3
	s_or_b32 exec_lo, exec_lo, s34
	s_delay_alu instid0(SALU_CYCLE_1)
	s_and_b32 s14, s14, exec_lo
	s_or_saveexec_b32 s31, s31
	v_mov_b32_e32 v147, s15
	s_xor_b32 exec_lo, exec_lo, s31
	s_cbranch_execz .LBB2_3716
.LBB2_3920:                             ;   in Loop: Header=BB2_3273 Depth=3
	v_cmp_ne_u16_e64 vcc_lo, 0, v164
	v_mov_b32_e32 v147, 0
	s_and_not1_b32 s14, s14, exec_lo
	s_delay_alu instid0(VALU_DEP_2) | instskip(NEXT) | instid1(SALU_CYCLE_1)
	s_and_b32 s15, vcc_lo, exec_lo
	s_or_b32 s14, s14, s15
	s_or_b32 exec_lo, exec_lo, s31
	s_and_saveexec_b32 s15, s14
	s_cbranch_execnz .LBB2_3717
	s_branch .LBB2_3718
.LBB2_3921:                             ;   in Loop: Header=BB2_3273 Depth=3
	s_mov_b32 s14, -1
	s_mov_b32 s34, exec_lo
                                        ; implicit-def: $sgpr15
	v_cmpx_eq_u16_e64 0x80, v145
; %bb.3922:                             ;   in Loop: Header=BB2_3273 Depth=3
	s_mov_b32 s15, 0x7f800001
	s_xor_b32 s14, exec_lo, -1
; %bb.3923:                             ;   in Loop: Header=BB2_3273 Depth=3
	s_or_b32 exec_lo, exec_lo, s34
	s_delay_alu instid0(SALU_CYCLE_1)
	s_and_b32 s14, s14, exec_lo
	s_or_saveexec_b32 s31, s31
	v_mov_b32_e32 v164, s15
	s_xor_b32 exec_lo, exec_lo, s31
	s_cbranch_execz .LBB2_3720
.LBB2_3924:                             ;   in Loop: Header=BB2_3273 Depth=3
	v_cmp_ne_u16_e64 vcc_lo, 0, v145
	v_mov_b32_e32 v164, 0
	s_and_not1_b32 s14, s14, exec_lo
	s_delay_alu instid0(VALU_DEP_2) | instskip(NEXT) | instid1(SALU_CYCLE_1)
	s_and_b32 s15, vcc_lo, exec_lo
	s_or_b32 s14, s14, s15
	s_or_b32 exec_lo, exec_lo, s31
	s_and_saveexec_b32 s15, s14
	s_cbranch_execnz .LBB2_3721
	s_branch .LBB2_3722
.LBB2_3925:                             ;   in Loop: Header=BB2_3186 Depth=2
	s_mov_b32 s13, -1
	s_branch .LBB2_4983
.LBB2_3926:                             ;   in Loop: Header=BB2_3186 Depth=2
	s_or_b32 exec_lo, exec_lo, s17
.LBB2_3927:                             ;   in Loop: Header=BB2_3186 Depth=2
	s_delay_alu instid0(SALU_CYCLE_1) | instskip(SKIP_3) | instid1(VALU_DEP_1)
	s_or_b32 exec_lo, exec_lo, s16
	v_dual_mov_b32 v66, 0 :: v_dual_and_b32 v9, 15, v129
	s_mov_b32 s14, 0
	s_mov_b32 s16, exec_lo
                                        ; implicit-def: $vgpr67
                                        ; implicit-def: $vgpr135
                                        ; implicit-def: $vgpr8
	v_cndmask_b32_e64 v130, v131, v9, s13
	s_delay_alu instid0(VALU_DEP_1)
	v_cmpx_ne_u32_e32 0, v130
	s_cbranch_execz .LBB2_4587
; %bb.3928:                             ;   in Loop: Header=BB2_3186 Depth=2
	v_cmp_lt_i32_e32 vcc_lo, 0, v132
	v_ashrrev_i32_e32 v11, 31, v130
	v_sub_nc_u32_e32 v9, v131, v9
	s_mov_b32 s17, exec_lo
	v_cndmask_b32_e32 v8, 0, v71, vcc_lo
	s_delay_alu instid0(VALU_DEP_3) | instskip(NEXT) | instid1(VALU_DEP_3)
	v_lshrrev_b32_e32 v11, 23, v11
	v_cndmask_b32_e64 v9, 0, v9, s13
	s_delay_alu instid0(VALU_DEP_3) | instskip(NEXT) | instid1(VALU_DEP_3)
	v_sub_nc_u32_e32 v8, v8, v132
	v_add_nc_u32_e32 v11, v130, v11
	s_delay_alu instid0(VALU_DEP_3) | instskip(NEXT) | instid1(VALU_DEP_3)
	v_add_nc_u32_e32 v2, v9, v2
	v_lshl_add_u32 v8, v8, 5, v81
	s_delay_alu instid0(VALU_DEP_3) | instskip(SKIP_1) | instid1(VALU_DEP_3)
	v_and_b32_e32 v132, 0xfffffe00, v11
	v_ashrrev_i32_e32 v11, 9, v11
	v_ashrrev_i32_e32 v10, 31, v8
	s_delay_alu instid0(VALU_DEP_3) | instskip(NEXT) | instid1(VALU_DEP_2)
	v_sub_nc_u32_e32 v131, v130, v132
	v_lshrrev_b32_e32 v10, 27, v10
	s_delay_alu instid0(VALU_DEP_2) | instskip(NEXT) | instid1(VALU_DEP_2)
	v_cmp_lt_i32_e64 s13, 15, v131
	v_add_nc_u32_e32 v10, v8, v10
	s_delay_alu instid0(VALU_DEP_2) | instskip(NEXT) | instid1(VALU_DEP_2)
	v_add_co_ci_u32_e64 v11, vcc_lo, 0, v11, s13
	v_and_b32_e32 v51, 0xffffffe0, v10
	v_ashrrev_i32_e32 v10, 5, v10
	s_delay_alu instid0(VALU_DEP_2) | instskip(NEXT) | instid1(VALU_DEP_2)
	v_sub_nc_u32_e32 v133, v8, v51
	v_sub_nc_u32_e32 v134, v11, v10
	s_delay_alu instid0(VALU_DEP_2) | instskip(NEXT) | instid1(VALU_DEP_1)
	v_lshlrev_b32_e32 v8, 4, v133
	v_lshl_add_u32 v8, v10, 9, v8
	s_delay_alu instid0(VALU_DEP_1) | instskip(NEXT) | instid1(VALU_DEP_1)
	v_sub_nc_u32_e32 v135, v130, v8
	v_cmpx_lt_i32_e32 15, v135
	s_cbranch_execz .LBB2_4584
; %bb.3929:                             ;   in Loop: Header=BB2_3186 Depth=2
	s_cbranch_execz .LBB2_3930
; %bb.8193:
	s_getpc_b64 s[48:49]
.Lpost_getpc129:
	s_add_u32 s48, s48, (.LBB2_7813-.Lpost_getpc129)&4294967295
	s_addc_u32 s49, s49, (.LBB2_7813-.Lpost_getpc129)>>32
	s_setpc_b64 s[48:49]
.LBB2_3930:                             ;   in Loop: Header=BB2_3186 Depth=2
	ds_load_b64 v[9:10], v0
	ds_load_b128 v[51:54], v0
	v_add_nc_u32_e32 v8, v8, v2
	s_waitcnt lgkmcnt(1)
	s_delay_alu instid0(VALU_DEP_1) | instskip(SKIP_3) | instid1(VALU_DEP_3)
	v_ashrrev_i32_e32 v10, 31, v8
	v_readfirstlane_b32 s14, v9
	s_waitcnt lgkmcnt(0)
	v_add_co_u32 v51, vcc_lo, v51, v8
	v_add_co_ci_u32_e32 v52, vcc_lo, v52, v10, vcc_lo
	s_delay_alu instid0(VALU_DEP_3)
	s_and_b32 s15, s14, 3
	v_add_co_u32 v53, vcc_lo, v53, v8
	s_clz_i32_u32 s30, s15
	v_add_co_ci_u32_e32 v54, vcc_lo, v54, v10, vcc_lo
	s_min_u32 s30, s30, 32
	s_bfe_u32 s31, s14, 0x50002
	s_sub_i32 vcc_lo, s30, 29
	s_delay_alu instid0(VALU_DEP_1)
	v_mov_b32_e32 v67, v54
	s_lshl_b32 vcc_lo, s14, vcc_lo
	s_sub_i32 s30, 30, s30
	s_and_b32 vcc_lo, vcc_lo, 3
	s_cmp_eq_u32 s31, 0
	v_dual_mov_b32 v65, v52 :: v_dual_and_b32 v144, 0xff, v9
	s_cselect_b32 s30, s30, s31
	s_cselect_b32 s15, vcc_lo, s15
	s_lshl_b32 s14, s14, 24
	s_lshl_b32 vcc_lo, s30, 23
	s_and_b32 s14, s14, 0x80000000
	s_add_i32 vcc_lo, vcc_lo, 0x37800000
	v_mov_b32_e32 v64, v51
	v_mov_b32_e32 v66, v53
	s_lshl_b32 s15, s15, 21
	s_or_b32 s14, s14, vcc_lo
	s_mov_b32 s30, 0
	s_or_b32 s31, s14, s15
.LBB2_3931:                             ;   Parent Loop BB2_51 Depth=1
                                        ;     Parent Loop BB2_3186 Depth=2
                                        ; =>    This Loop Header: Depth=3
                                        ;         Child Loop BB2_4389 Depth 4
	v_cmp_gt_i16_e64 vcc_lo, 0x80, v144
	s_delay_alu instid0(VALU_DEP_1)
	s_and_b32 vcc_lo, exec_lo, vcc_lo
	s_cbranch_vccnz .LBB2_3935
; %bb.3932:                             ;   in Loop: Header=BB2_3931 Depth=3
	v_cmp_eq_u16_e64 vcc_lo, 0x80, v144
	s_mov_b32 s14, -1
                                        ; implicit-def: $sgpr15
	s_delay_alu instid0(VALU_DEP_1)
	s_and_b32 vcc_lo, exec_lo, vcc_lo
	s_cbranch_vccz .LBB2_3934
; %bb.3933:                             ;   in Loop: Header=BB2_3931 Depth=3
	s_mov_b32 s14, 0
	s_mov_b32 s15, 0x7f800001
.LBB2_3934:                             ;   in Loop: Header=BB2_3931 Depth=3
	s_mov_b32 vcc_lo, 0
	s_branch .LBB2_3936
.LBB2_3935:                             ;   in Loop: Header=BB2_3931 Depth=3
	s_mov_b32 vcc_lo, -1
	s_mov_b32 s14, 0
                                        ; implicit-def: $sgpr15
.LBB2_3936:                             ;   in Loop: Header=BB2_3931 Depth=3
	s_and_b32 vcc_lo, exec_lo, vcc_lo
	s_cbranch_vccz .LBB2_3938
; %bb.3937:                             ;   in Loop: Header=BB2_3931 Depth=3
	v_cmp_ne_u16_e64 s14, 0, v144
	s_mov_b32 s15, 0
.LBB2_3938:                             ;   in Loop: Header=BB2_3931 Depth=3
	s_delay_alu instid0(VALU_DEP_1)
	s_and_not1_b32 vcc_lo, exec_lo, s14
	s_cbranch_vccnz .LBB2_3940
; %bb.3939:                             ;   in Loop: Header=BB2_3931 Depth=3
	s_mov_b32 s15, s31
.LBB2_3940:                             ;   in Loop: Header=BB2_3931 Depth=3
	global_load_b128 v[8:11], v[64:65], off slc dlc
	s_mov_b32 s14, 0
	s_mov_b32 s35, exec_lo
                                        ; implicit-def: $sgpr34
	s_waitcnt vmcnt(0)
	v_and_b32_e32 v146, 0xff, v8
	s_delay_alu instid0(VALU_DEP_1)
	v_cmpx_lt_i16_e64 0x7f, v146
	s_xor_b32 s35, exec_lo, s35
	s_cbranch_execnz .LBB2_4391
; %bb.3941:                             ;   in Loop: Header=BB2_3931 Depth=3
	s_or_saveexec_b32 s35, s35
	v_mov_b32_e32 v145, s34
	s_xor_b32 exec_lo, exec_lo, s35
	s_cbranch_execnz .LBB2_4394
.LBB2_3942:                             ;   in Loop: Header=BB2_3931 Depth=3
	s_or_b32 exec_lo, exec_lo, s35
	s_and_saveexec_b32 s34, s14
	s_cbranch_execz .LBB2_3944
.LBB2_3943:                             ;   in Loop: Header=BB2_3931 Depth=3
	v_bfe_u32 v148, v8, 2, 5
	v_lshlrev_b32_e32 v149, 24, v8
	s_delay_alu instid0(VALU_DEP_2) | instskip(SKIP_1) | instid1(VALU_DEP_1)
	v_cmp_eq_u32_e32 vcc_lo, 0, v148
	v_and_b32_e32 v145, 3, v8
	v_clz_i32_u32_e32 v146, v145
	s_delay_alu instid0(VALU_DEP_1) | instskip(NEXT) | instid1(VALU_DEP_1)
	v_min_u32_e32 v146, 32, v146
	v_subrev_nc_u32_e32 v147, 29, v146
	v_sub_nc_u32_e32 v146, 30, v146
	s_delay_alu instid0(VALU_DEP_1) | instskip(NEXT) | instid1(VALU_DEP_1)
	v_dual_cndmask_b32 v146, v148, v146 :: v_dual_lshlrev_b32 v147, v147, v8
	v_and_b32_e32 v147, 3, v147
	s_delay_alu instid0(VALU_DEP_2) | instskip(NEXT) | instid1(VALU_DEP_2)
	v_lshl_add_u32 v146, v146, 23, 0x37800000
	v_cndmask_b32_e32 v145, v145, v147, vcc_lo
	v_and_b32_e32 v147, 0x80000000, v149
	s_delay_alu instid0(VALU_DEP_2) | instskip(NEXT) | instid1(VALU_DEP_1)
	v_lshlrev_b32_e32 v145, 21, v145
	v_or3_b32 v145, v147, v146, v145
.LBB2_3944:                             ;   in Loop: Header=BB2_3931 Depth=3
	s_or_b32 exec_lo, exec_lo, s34
	s_delay_alu instid0(VALU_DEP_1) | instskip(NEXT) | instid1(VALU_DEP_1)
	v_mul_f32_e32 v146, s15, v145
	v_and_b32_e32 v145, 0x7f800000, v146
	s_delay_alu instid0(VALU_DEP_1)
	v_cmp_ne_u32_e32 vcc_lo, 0x7f800000, v145
	v_mov_b32_e32 v145, 0x80
	s_and_saveexec_b32 s34, vcc_lo
	s_cbranch_execz .LBB2_3952
; %bb.3945:                             ;   in Loop: Header=BB2_3931 Depth=3
	v_mov_b32_e32 v145, 0
	s_mov_b32 s35, exec_lo
	v_cmpx_ne_u32_e32 0, v146
	s_cbranch_execz .LBB2_3951
; %bb.3946:                             ;   in Loop: Header=BB2_3931 Depth=3
	v_bfe_u32 v145, v146, 23, 8
	s_delay_alu instid0(VALU_DEP_1) | instskip(SKIP_1) | instid1(VALU_DEP_2)
	v_sub_nc_u32_e32 v148, 0x70, v145
	v_cmp_gt_u32_e32 vcc_lo, 0x71, v145
	v_dual_cndmask_b32 v148, 0, v148 :: v_dual_and_b32 v147, 0x7fffff, v146
	s_delay_alu instid0(VALU_DEP_1) | instskip(SKIP_2) | instid1(VALU_DEP_4)
	v_or_b32_e32 v149, 0x800000, v147
	v_cmp_eq_u32_e32 vcc_lo, 0, v145
	v_add_nc_u32_e32 v145, 0xffffff91, v145
	v_cndmask_b32_e64 v148, v148, 0x6f, vcc_lo
	s_delay_alu instid0(VALU_DEP_2) | instskip(SKIP_1) | instid1(VALU_DEP_3)
	v_cndmask_b32_e64 v145, v145, 0xffffff92, vcc_lo
	v_cndmask_b32_e32 v147, v149, v147, vcc_lo
	v_lshl_add_u32 v149, 0x200000, v148, -1
	v_lshlrev_b32_e64 v160, v148, 0x100000
	s_delay_alu instid0(VALU_DEP_3) | instskip(SKIP_1) | instid1(VALU_DEP_4)
	v_lshrrev_b32_e32 v150, v148, v147
	v_add_nc_u32_e32 v148, v148, v145
	v_and_b32_e32 v147, v149, v147
	s_delay_alu instid0(VALU_DEP_3) | instskip(NEXT) | instid1(VALU_DEP_2)
	v_bfe_u32 v151, v150, 21, 1
	v_cmp_eq_u32_e64 s14, v147, v160
	s_delay_alu instid0(VALU_DEP_2) | instskip(NEXT) | instid1(VALU_DEP_1)
	v_add_nc_u32_e32 v149, -1, v151
	v_cndmask_b32_e64 v147, 0, v149, s14
	v_lshrrev_b32_e32 v149, 23, v150
	s_mov_b32 s14, exec_lo
	s_delay_alu instid0(VALU_DEP_2) | instskip(NEXT) | instid1(VALU_DEP_2)
	v_add_nc_u32_e32 v147, v147, v150
	v_xor_b32_e32 v149, 1, v149
	s_delay_alu instid0(VALU_DEP_2) | instskip(NEXT) | instid1(VALU_DEP_1)
	v_and_b32_e32 v145, 0x1fffff, v147
	v_add_nc_u32_e32 v147, v145, v150
                                        ; implicit-def: $vgpr145
	s_delay_alu instid0(VALU_DEP_3)
	v_cmpx_ne_u32_e64 v148, v149
	s_xor_b32 s14, exec_lo, s14
; %bb.3947:                             ;   in Loop: Header=BB2_3931 Depth=3
	s_delay_alu instid0(VALU_DEP_2) | instskip(SKIP_2) | instid1(VALU_DEP_2)
	v_cmp_lt_u32_e32 vcc_lo, 0xffffff, v147
	v_sub_nc_u32_e32 v145, v148, v149
	v_cndmask_b32_e64 v148, 0, 1, vcc_lo
	v_add_co_ci_u32_e32 v145, vcc_lo, 0, v145, vcc_lo
	s_delay_alu instid0(VALU_DEP_2)
	v_lshrrev_b32_e32 v147, v148, v147
; %bb.3948:                             ;   in Loop: Header=BB2_3931 Depth=3
	s_and_not1_saveexec_b32 s14, s14
; %bb.3949:                             ;   in Loop: Header=BB2_3931 Depth=3
	s_delay_alu instid0(VALU_DEP_1)
	v_bfe_u32 v145, v147, 23, 1
; %bb.3950:                             ;   in Loop: Header=BB2_3931 Depth=3
	s_or_b32 exec_lo, exec_lo, s14
	v_lshrrev_b32_e32 v147, 21, v147
	s_delay_alu instid0(VALU_DEP_2) | instskip(SKIP_2) | instid1(VALU_DEP_2)
	v_cmp_gt_i32_e32 vcc_lo, 32, v145
	v_lshrrev_b32_e32 v146, 24, v146
	v_min_i32_e32 v148, 31, v145
	v_dual_cndmask_b32 v147, 3, v147 :: v_dual_and_b32 v146, 0x80, v146
	s_delay_alu instid0(VALU_DEP_1) | instskip(SKIP_1) | instid1(VALU_DEP_2)
	v_or_b32_e32 v145, v145, v147
	v_and_b32_e32 v149, 3, v147
	v_cmp_ne_u32_e32 vcc_lo, 0, v145
	v_lshlrev_b32_e32 v148, 2, v148
	s_delay_alu instid0(VALU_DEP_1) | instskip(NEXT) | instid1(VALU_DEP_1)
	v_or3_b32 v146, v148, v146, v149
	v_cndmask_b32_e32 v145, 0, v146, vcc_lo
.LBB2_3951:                             ;   in Loop: Header=BB2_3931 Depth=3
	s_or_b32 exec_lo, exec_lo, s35
.LBB2_3952:                             ;   in Loop: Header=BB2_3931 Depth=3
	s_delay_alu instid0(SALU_CYCLE_1) | instskip(SKIP_3) | instid1(VALU_DEP_1)
	s_or_b32 exec_lo, exec_lo, s34
	v_lshrrev_b16 v146, 8, v8
	s_mov_b32 s14, 0
	s_mov_b32 s35, exec_lo
                                        ; implicit-def: $sgpr34
	v_cmpx_lt_i16_e64 0x7f, v146
	s_xor_b32 s35, exec_lo, s35
	s_cbranch_execnz .LBB2_4395
; %bb.3953:                             ;   in Loop: Header=BB2_3931 Depth=3
	s_or_saveexec_b32 s35, s35
	v_mov_b32_e32 v147, s34
	s_xor_b32 exec_lo, exec_lo, s35
	s_cbranch_execnz .LBB2_4398
.LBB2_3954:                             ;   in Loop: Header=BB2_3931 Depth=3
	s_or_b32 exec_lo, exec_lo, s35
	s_and_saveexec_b32 s34, s14
	s_cbranch_execz .LBB2_3956
.LBB2_3955:                             ;   in Loop: Header=BB2_3931 Depth=3
	v_and_b32_e32 v147, 0xffff, v146
	v_lshlrev_b32_e32 v146, 24, v146
	s_delay_alu instid0(VALU_DEP_2) | instskip(NEXT) | instid1(VALU_DEP_2)
	v_and_b32_e32 v148, 3, v147
	v_and_b32_e32 v146, 0x80000000, v146
	s_delay_alu instid0(VALU_DEP_2) | instskip(NEXT) | instid1(VALU_DEP_1)
	v_clz_i32_u32_e32 v149, v148
	v_min_u32_e32 v149, 32, v149
	s_delay_alu instid0(VALU_DEP_1) | instskip(SKIP_1) | instid1(VALU_DEP_2)
	v_subrev_nc_u32_e32 v150, 29, v149
	v_sub_nc_u32_e32 v149, 30, v149
	v_lshlrev_b32_e32 v150, v150, v147
	v_bfe_u32 v147, v147, 2, 5
	s_delay_alu instid0(VALU_DEP_2) | instskip(NEXT) | instid1(VALU_DEP_2)
	v_and_b32_e32 v150, 3, v150
	v_cmp_eq_u32_e32 vcc_lo, 0, v147
	s_delay_alu instid0(VALU_DEP_2) | instskip(NEXT) | instid1(VALU_DEP_1)
	v_dual_cndmask_b32 v147, v147, v149 :: v_dual_cndmask_b32 v148, v148, v150
	v_lshl_add_u32 v147, v147, 23, 0x37800000
	s_delay_alu instid0(VALU_DEP_2) | instskip(NEXT) | instid1(VALU_DEP_1)
	v_lshlrev_b32_e32 v148, 21, v148
	v_or3_b32 v147, v146, v147, v148
.LBB2_3956:                             ;   in Loop: Header=BB2_3931 Depth=3
	s_or_b32 exec_lo, exec_lo, s34
	s_delay_alu instid0(VALU_DEP_1) | instskip(SKIP_1) | instid1(VALU_DEP_1)
	v_dual_mul_f32 v146, s15, v147 :: v_dual_mov_b32 v149, 0x80
	s_mov_b32 s34, exec_lo
	v_and_b32_e32 v147, 0x7f800000, v146
	s_delay_alu instid0(VALU_DEP_1)
	v_cmpx_ne_u32_e32 0x7f800000, v147
	s_cbranch_execz .LBB2_3964
; %bb.3957:                             ;   in Loop: Header=BB2_3931 Depth=3
	v_mov_b32_e32 v149, 0
	s_mov_b32 s35, exec_lo
	v_cmpx_ne_u32_e32 0, v146
	s_cbranch_execz .LBB2_3963
; %bb.3958:                             ;   in Loop: Header=BB2_3931 Depth=3
	v_bfe_u32 v147, v146, 23, 8
	s_delay_alu instid0(VALU_DEP_1) | instskip(SKIP_1) | instid1(VALU_DEP_2)
	v_sub_nc_u32_e32 v149, 0x70, v147
	v_cmp_gt_u32_e32 vcc_lo, 0x71, v147
	v_dual_cndmask_b32 v149, 0, v149 :: v_dual_and_b32 v148, 0x7fffff, v146
	s_delay_alu instid0(VALU_DEP_1) | instskip(SKIP_2) | instid1(VALU_DEP_4)
	v_or_b32_e32 v150, 0x800000, v148
	v_cmp_eq_u32_e32 vcc_lo, 0, v147
	v_add_nc_u32_e32 v147, 0xffffff91, v147
	v_cndmask_b32_e64 v149, v149, 0x6f, vcc_lo
	s_delay_alu instid0(VALU_DEP_4) | instskip(NEXT) | instid1(VALU_DEP_3)
	v_cndmask_b32_e32 v148, v150, v148, vcc_lo
	v_cndmask_b32_e64 v147, v147, 0xffffff92, vcc_lo
	s_delay_alu instid0(VALU_DEP_3) | instskip(NEXT) | instid1(VALU_DEP_3)
	v_lshl_add_u32 v150, 0x200000, v149, -1
	v_lshrrev_b32_e32 v151, v149, v148
	v_lshlrev_b32_e64 v161, v149, 0x100000
	s_delay_alu instid0(VALU_DEP_4) | instskip(NEXT) | instid1(VALU_DEP_4)
	v_add_nc_u32_e32 v149, v149, v147
	v_and_b32_e32 v148, v150, v148
	s_delay_alu instid0(VALU_DEP_4) | instskip(NEXT) | instid1(VALU_DEP_2)
	v_bfe_u32 v160, v151, 21, 1
	v_cmp_eq_u32_e64 s14, v148, v161
	s_delay_alu instid0(VALU_DEP_2) | instskip(NEXT) | instid1(VALU_DEP_1)
	v_add_nc_u32_e32 v150, -1, v160
	v_cndmask_b32_e64 v148, 0, v150, s14
	v_lshrrev_b32_e32 v150, 23, v151
	s_mov_b32 s14, exec_lo
	s_delay_alu instid0(VALU_DEP_2) | instskip(NEXT) | instid1(VALU_DEP_2)
	v_add_nc_u32_e32 v148, v148, v151
	v_xor_b32_e32 v150, 1, v150
	s_delay_alu instid0(VALU_DEP_2) | instskip(NEXT) | instid1(VALU_DEP_1)
	v_and_b32_e32 v147, 0x1fffff, v148
	v_add_nc_u32_e32 v148, v147, v151
                                        ; implicit-def: $vgpr147
	s_delay_alu instid0(VALU_DEP_3)
	v_cmpx_ne_u32_e64 v149, v150
	s_xor_b32 s14, exec_lo, s14
; %bb.3959:                             ;   in Loop: Header=BB2_3931 Depth=3
	s_delay_alu instid0(VALU_DEP_2) | instskip(SKIP_2) | instid1(VALU_DEP_2)
	v_cmp_lt_u32_e32 vcc_lo, 0xffffff, v148
	v_sub_nc_u32_e32 v147, v149, v150
	v_cndmask_b32_e64 v149, 0, 1, vcc_lo
	v_add_co_ci_u32_e32 v147, vcc_lo, 0, v147, vcc_lo
	s_delay_alu instid0(VALU_DEP_2)
	v_lshrrev_b32_e32 v148, v149, v148
; %bb.3960:                             ;   in Loop: Header=BB2_3931 Depth=3
	s_and_not1_saveexec_b32 s14, s14
; %bb.3961:                             ;   in Loop: Header=BB2_3931 Depth=3
	s_delay_alu instid0(VALU_DEP_1)
	v_bfe_u32 v147, v148, 23, 1
; %bb.3962:                             ;   in Loop: Header=BB2_3931 Depth=3
	s_or_b32 exec_lo, exec_lo, s14
	v_lshrrev_b32_e32 v148, 21, v148
	s_delay_alu instid0(VALU_DEP_2) | instskip(SKIP_2) | instid1(VALU_DEP_2)
	v_cmp_gt_i32_e32 vcc_lo, 32, v147
	v_min_i32_e32 v149, 31, v147
	v_lshrrev_b32_e32 v146, 24, v146
	v_dual_cndmask_b32 v148, 3, v148 :: v_dual_lshlrev_b32 v149, 2, v149
	s_delay_alu instid0(VALU_DEP_2) | instskip(NEXT) | instid1(VALU_DEP_2)
	v_and_b32_e32 v146, 0x80, v146
	v_or_b32_e32 v147, v147, v148
	s_delay_alu instid0(VALU_DEP_1) | instskip(SKIP_1) | instid1(VALU_DEP_1)
	v_cmp_ne_u32_e32 vcc_lo, 0, v147
	v_and_b32_e32 v150, 3, v148
	v_or3_b32 v146, v149, v146, v150
	s_delay_alu instid0(VALU_DEP_1)
	v_cndmask_b32_e32 v149, 0, v146, vcc_lo
.LBB2_3963:                             ;   in Loop: Header=BB2_3931 Depth=3
	s_or_b32 exec_lo, exec_lo, s35
.LBB2_3964:                             ;   in Loop: Header=BB2_3931 Depth=3
	s_delay_alu instid0(SALU_CYCLE_1) | instskip(SKIP_3) | instid1(VALU_DEP_1)
	s_or_b32 exec_lo, exec_lo, s34
	v_lshrrev_b32_e32 v146, 16, v8
	s_mov_b32 s14, 0
	s_mov_b32 s35, exec_lo
                                        ; implicit-def: $sgpr34
	v_and_b32_e32 v148, 0xff, v146
	s_delay_alu instid0(VALU_DEP_1)
	v_cmpx_lt_i16_e64 0x7f, v148
	s_xor_b32 s35, exec_lo, s35
	s_cbranch_execnz .LBB2_4399
; %bb.3965:                             ;   in Loop: Header=BB2_3931 Depth=3
	s_or_saveexec_b32 s35, s35
	v_mov_b32_e32 v147, s34
	s_xor_b32 exec_lo, exec_lo, s35
	s_cbranch_execnz .LBB2_4402
.LBB2_3966:                             ;   in Loop: Header=BB2_3931 Depth=3
	s_or_b32 exec_lo, exec_lo, s35
	s_and_saveexec_b32 s34, s14
	s_cbranch_execz .LBB2_3968
.LBB2_3967:                             ;   in Loop: Header=BB2_3931 Depth=3
	v_bfe_u32 v147, v8, 16, 2
	s_delay_alu instid0(VALU_DEP_1) | instskip(NEXT) | instid1(VALU_DEP_1)
	v_clz_i32_u32_e32 v148, v147
	v_min_u32_e32 v148, 32, v148
	s_delay_alu instid0(VALU_DEP_1) | instskip(SKIP_1) | instid1(VALU_DEP_2)
	v_subrev_nc_u32_e32 v150, 29, v148
	v_sub_nc_u32_e32 v148, 30, v148
	v_lshlrev_b32_e32 v146, v150, v146
	v_bfe_u32 v150, v8, 18, 5
	s_delay_alu instid0(VALU_DEP_2) | instskip(NEXT) | instid1(VALU_DEP_2)
	v_and_b32_e32 v146, 3, v146
	v_cmp_eq_u32_e32 vcc_lo, 0, v150
	s_delay_alu instid0(VALU_DEP_2) | instskip(NEXT) | instid1(VALU_DEP_1)
	v_dual_cndmask_b32 v146, v147, v146 :: v_dual_lshlrev_b32 v151, 8, v8
	v_dual_cndmask_b32 v148, v150, v148 :: v_dual_and_b32 v147, 0x80000000, v151
	s_delay_alu instid0(VALU_DEP_2) | instskip(NEXT) | instid1(VALU_DEP_2)
	v_lshlrev_b32_e32 v146, 21, v146
	v_lshl_add_u32 v148, v148, 23, 0x37800000
	s_delay_alu instid0(VALU_DEP_1)
	v_or3_b32 v147, v147, v148, v146
.LBB2_3968:                             ;   in Loop: Header=BB2_3931 Depth=3
	s_or_b32 exec_lo, exec_lo, s34
	s_delay_alu instid0(VALU_DEP_1) | instskip(SKIP_1) | instid1(VALU_DEP_1)
	v_dual_mul_f32 v146, s15, v147 :: v_dual_mov_b32 v163, 0x80
	s_mov_b32 s34, exec_lo
	v_and_b32_e32 v147, 0x7f800000, v146
	s_delay_alu instid0(VALU_DEP_1)
	v_cmpx_ne_u32_e32 0x7f800000, v147
	s_cbranch_execz .LBB2_3976
; %bb.3969:                             ;   in Loop: Header=BB2_3931 Depth=3
	v_mov_b32_e32 v163, 0
	s_mov_b32 s35, exec_lo
	v_cmpx_ne_u32_e32 0, v146
	s_cbranch_execz .LBB2_3975
; %bb.3970:                             ;   in Loop: Header=BB2_3931 Depth=3
	v_bfe_u32 v147, v146, 23, 8
	v_and_b32_e32 v148, 0x7fffff, v146
	s_delay_alu instid0(VALU_DEP_2) | instskip(SKIP_1) | instid1(VALU_DEP_3)
	v_sub_nc_u32_e32 v150, 0x70, v147
	v_cmp_gt_u32_e32 vcc_lo, 0x71, v147
	v_or_b32_e32 v151, 0x800000, v148
	s_delay_alu instid0(VALU_DEP_3) | instskip(SKIP_2) | instid1(VALU_DEP_3)
	v_cndmask_b32_e32 v150, 0, v150, vcc_lo
	v_cmp_eq_u32_e32 vcc_lo, 0, v147
	v_add_nc_u32_e32 v147, 0xffffff91, v147
	v_cndmask_b32_e64 v150, v150, 0x6f, vcc_lo
	v_cndmask_b32_e32 v148, v151, v148, vcc_lo
	s_delay_alu instid0(VALU_DEP_3) | instskip(NEXT) | instid1(VALU_DEP_3)
	v_cndmask_b32_e64 v147, v147, 0xffffff92, vcc_lo
	v_lshl_add_u32 v151, 0x200000, v150, -1
	s_delay_alu instid0(VALU_DEP_3) | instskip(SKIP_1) | instid1(VALU_DEP_4)
	v_lshrrev_b32_e32 v160, v150, v148
	v_lshlrev_b32_e64 v162, v150, 0x100000
	v_add_nc_u32_e32 v150, v150, v147
	s_delay_alu instid0(VALU_DEP_4) | instskip(NEXT) | instid1(VALU_DEP_4)
	v_and_b32_e32 v148, v151, v148
	v_bfe_u32 v161, v160, 21, 1
	s_delay_alu instid0(VALU_DEP_2) | instskip(NEXT) | instid1(VALU_DEP_2)
	v_cmp_eq_u32_e64 s14, v148, v162
	v_add_nc_u32_e32 v151, -1, v161
	s_delay_alu instid0(VALU_DEP_1) | instskip(SKIP_2) | instid1(VALU_DEP_2)
	v_cndmask_b32_e64 v148, 0, v151, s14
	v_lshrrev_b32_e32 v151, 23, v160
	s_mov_b32 s14, exec_lo
	v_add_nc_u32_e32 v148, v148, v160
	s_delay_alu instid0(VALU_DEP_2) | instskip(NEXT) | instid1(VALU_DEP_2)
	v_xor_b32_e32 v151, 1, v151
	v_and_b32_e32 v147, 0x1fffff, v148
	s_delay_alu instid0(VALU_DEP_1) | instskip(NEXT) | instid1(VALU_DEP_3)
	v_add_nc_u32_e32 v148, v147, v160
                                        ; implicit-def: $vgpr147
	v_cmpx_ne_u32_e64 v150, v151
	s_xor_b32 s14, exec_lo, s14
; %bb.3971:                             ;   in Loop: Header=BB2_3931 Depth=3
	s_delay_alu instid0(VALU_DEP_2) | instskip(SKIP_2) | instid1(VALU_DEP_2)
	v_cmp_lt_u32_e32 vcc_lo, 0xffffff, v148
	v_sub_nc_u32_e32 v147, v150, v151
	v_cndmask_b32_e64 v150, 0, 1, vcc_lo
	v_add_co_ci_u32_e32 v147, vcc_lo, 0, v147, vcc_lo
	s_delay_alu instid0(VALU_DEP_2)
	v_lshrrev_b32_e32 v148, v150, v148
; %bb.3972:                             ;   in Loop: Header=BB2_3931 Depth=3
	s_and_not1_saveexec_b32 s14, s14
; %bb.3973:                             ;   in Loop: Header=BB2_3931 Depth=3
	s_delay_alu instid0(VALU_DEP_1)
	v_bfe_u32 v147, v148, 23, 1
; %bb.3974:                             ;   in Loop: Header=BB2_3931 Depth=3
	s_or_b32 exec_lo, exec_lo, s14
	v_lshrrev_b32_e32 v148, 21, v148
	s_delay_alu instid0(VALU_DEP_2) | instskip(SKIP_2) | instid1(VALU_DEP_4)
	v_cmp_gt_i32_e32 vcc_lo, 32, v147
	v_lshrrev_b32_e32 v146, 24, v146
	v_min_i32_e32 v150, 31, v147
	v_cndmask_b32_e32 v148, 3, v148, vcc_lo
	s_delay_alu instid0(VALU_DEP_3) | instskip(NEXT) | instid1(VALU_DEP_3)
	v_and_b32_e32 v146, 0x80, v146
	v_lshlrev_b32_e32 v150, 2, v150
	s_delay_alu instid0(VALU_DEP_3) | instskip(SKIP_1) | instid1(VALU_DEP_2)
	v_and_b32_e32 v151, 3, v148
	v_or_b32_e32 v147, v147, v148
	v_or3_b32 v146, v150, v146, v151
	s_delay_alu instid0(VALU_DEP_2) | instskip(NEXT) | instid1(VALU_DEP_2)
	v_cmp_ne_u32_e32 vcc_lo, 0, v147
	v_cndmask_b32_e32 v163, 0, v146, vcc_lo
.LBB2_3975:                             ;   in Loop: Header=BB2_3931 Depth=3
	s_or_b32 exec_lo, exec_lo, s35
.LBB2_3976:                             ;   in Loop: Header=BB2_3931 Depth=3
	s_delay_alu instid0(SALU_CYCLE_1) | instskip(SKIP_3) | instid1(VALU_DEP_1)
	s_or_b32 exec_lo, exec_lo, s34
	v_lshrrev_b32_e32 v146, 24, v8
	s_mov_b32 s14, 0
	s_mov_b32 s35, exec_lo
                                        ; implicit-def: $sgpr34
	v_cmpx_lt_i16_e64 0x7f, v146
	s_xor_b32 s35, exec_lo, s35
	s_cbranch_execnz .LBB2_4403
; %bb.3977:                             ;   in Loop: Header=BB2_3931 Depth=3
	s_or_saveexec_b32 s35, s35
	v_mov_b32_e32 v147, s34
	s_xor_b32 exec_lo, exec_lo, s35
	s_cbranch_execnz .LBB2_4406
.LBB2_3978:                             ;   in Loop: Header=BB2_3931 Depth=3
	s_or_b32 exec_lo, exec_lo, s35
	s_and_saveexec_b32 s34, s14
	s_cbranch_execz .LBB2_3980
.LBB2_3979:                             ;   in Loop: Header=BB2_3931 Depth=3
	v_bfe_u32 v147, v8, 24, 2
	s_delay_alu instid0(VALU_DEP_1) | instskip(NEXT) | instid1(VALU_DEP_1)
	v_clz_i32_u32_e32 v148, v147
	v_min_u32_e32 v148, 32, v148
	s_delay_alu instid0(VALU_DEP_1) | instskip(SKIP_1) | instid1(VALU_DEP_2)
	v_subrev_nc_u32_e32 v150, 29, v148
	v_sub_nc_u32_e32 v148, 30, v148
	v_lshlrev_b32_e32 v146, v150, v146
	v_bfe_u32 v150, v8, 26, 5
	v_and_b32_e32 v8, 0x80000000, v8
	s_delay_alu instid0(VALU_DEP_3) | instskip(NEXT) | instid1(VALU_DEP_3)
	v_and_b32_e32 v146, 3, v146
	v_cmp_eq_u32_e32 vcc_lo, 0, v150
	v_cndmask_b32_e32 v148, v150, v148, vcc_lo
	s_delay_alu instid0(VALU_DEP_3) | instskip(NEXT) | instid1(VALU_DEP_2)
	v_cndmask_b32_e32 v146, v147, v146, vcc_lo
	v_lshl_add_u32 v147, v148, 23, 0x37800000
	s_delay_alu instid0(VALU_DEP_2) | instskip(NEXT) | instid1(VALU_DEP_1)
	v_lshlrev_b32_e32 v146, 21, v146
	v_or3_b32 v147, v8, v147, v146
.LBB2_3980:                             ;   in Loop: Header=BB2_3931 Depth=3
	s_or_b32 exec_lo, exec_lo, s34
	s_delay_alu instid0(VALU_DEP_1) | instskip(SKIP_2) | instid1(VALU_DEP_2)
	v_mul_f32_e32 v8, s15, v147
	v_mov_b32_e32 v166, 0x80
	s_mov_b32 s34, exec_lo
	v_and_b32_e32 v146, 0x7f800000, v8
	s_delay_alu instid0(VALU_DEP_1)
	v_cmpx_ne_u32_e32 0x7f800000, v146
	s_cbranch_execz .LBB2_3988
; %bb.3981:                             ;   in Loop: Header=BB2_3931 Depth=3
	v_mov_b32_e32 v166, 0
	s_mov_b32 s35, exec_lo
	v_cmpx_ne_u32_e32 0, v8
	s_cbranch_execz .LBB2_3987
; %bb.3982:                             ;   in Loop: Header=BB2_3931 Depth=3
	v_bfe_u32 v146, v8, 23, 8
	v_and_b32_e32 v147, 0x7fffff, v8
	s_delay_alu instid0(VALU_DEP_2) | instskip(SKIP_1) | instid1(VALU_DEP_3)
	v_sub_nc_u32_e32 v148, 0x70, v146
	v_cmp_gt_u32_e32 vcc_lo, 0x71, v146
	v_or_b32_e32 v150, 0x800000, v147
	s_delay_alu instid0(VALU_DEP_3) | instskip(SKIP_1) | instid1(VALU_DEP_3)
	v_cndmask_b32_e32 v148, 0, v148, vcc_lo
	v_cmp_eq_u32_e32 vcc_lo, 0, v146
	v_dual_cndmask_b32 v147, v150, v147 :: v_dual_add_nc_u32 v146, 0xffffff91, v146
	s_delay_alu instid0(VALU_DEP_3) | instskip(NEXT) | instid1(VALU_DEP_2)
	v_cndmask_b32_e64 v148, v148, 0x6f, vcc_lo
	v_cndmask_b32_e64 v146, v146, 0xffffff92, vcc_lo
	s_delay_alu instid0(VALU_DEP_2) | instskip(SKIP_2) | instid1(VALU_DEP_4)
	v_lshrrev_b32_e32 v151, v148, v147
	v_lshl_add_u32 v150, 0x200000, v148, -1
	v_lshlrev_b32_e64 v161, v148, 0x100000
	v_add_nc_u32_e32 v148, v148, v146
	s_delay_alu instid0(VALU_DEP_4) | instskip(NEXT) | instid1(VALU_DEP_4)
	v_bfe_u32 v160, v151, 21, 1
	v_and_b32_e32 v147, v150, v147
	s_delay_alu instid0(VALU_DEP_2) | instskip(NEXT) | instid1(VALU_DEP_2)
	v_add_nc_u32_e32 v150, -1, v160
	v_cmp_eq_u32_e64 s14, v147, v161
	s_delay_alu instid0(VALU_DEP_1) | instskip(SKIP_2) | instid1(VALU_DEP_2)
	v_cndmask_b32_e64 v147, 0, v150, s14
	v_lshrrev_b32_e32 v150, 23, v151
	s_mov_b32 s14, exec_lo
	v_add_nc_u32_e32 v147, v147, v151
	s_delay_alu instid0(VALU_DEP_2) | instskip(NEXT) | instid1(VALU_DEP_2)
	v_xor_b32_e32 v150, 1, v150
	v_and_b32_e32 v146, 0x1fffff, v147
	s_delay_alu instid0(VALU_DEP_1) | instskip(NEXT) | instid1(VALU_DEP_3)
	v_add_nc_u32_e32 v147, v146, v151
                                        ; implicit-def: $vgpr146
	v_cmpx_ne_u32_e64 v148, v150
	s_xor_b32 s14, exec_lo, s14
; %bb.3983:                             ;   in Loop: Header=BB2_3931 Depth=3
	s_delay_alu instid0(VALU_DEP_2) | instskip(SKIP_2) | instid1(VALU_DEP_2)
	v_cmp_lt_u32_e32 vcc_lo, 0xffffff, v147
	v_sub_nc_u32_e32 v146, v148, v150
	v_cndmask_b32_e64 v148, 0, 1, vcc_lo
	v_add_co_ci_u32_e32 v146, vcc_lo, 0, v146, vcc_lo
	s_delay_alu instid0(VALU_DEP_2)
	v_lshrrev_b32_e32 v147, v148, v147
; %bb.3984:                             ;   in Loop: Header=BB2_3931 Depth=3
	s_and_not1_saveexec_b32 s14, s14
; %bb.3985:                             ;   in Loop: Header=BB2_3931 Depth=3
	s_delay_alu instid0(VALU_DEP_1)
	v_bfe_u32 v146, v147, 23, 1
; %bb.3986:                             ;   in Loop: Header=BB2_3931 Depth=3
	s_or_b32 exec_lo, exec_lo, s14
	v_lshrrev_b32_e32 v147, 21, v147
	s_delay_alu instid0(VALU_DEP_2) | instskip(SKIP_2) | instid1(VALU_DEP_2)
	v_cmp_gt_i32_e32 vcc_lo, 32, v146
	v_lshrrev_b32_e32 v8, 24, v8
	v_min_i32_e32 v148, 31, v146
	v_dual_cndmask_b32 v147, 3, v147 :: v_dual_and_b32 v8, 0x80, v8
	s_delay_alu instid0(VALU_DEP_2) | instskip(NEXT) | instid1(VALU_DEP_2)
	v_lshlrev_b32_e32 v148, 2, v148
	v_and_b32_e32 v150, 3, v147
	v_or_b32_e32 v146, v146, v147
	s_delay_alu instid0(VALU_DEP_2) | instskip(NEXT) | instid1(VALU_DEP_2)
	v_or3_b32 v8, v148, v8, v150
	v_cmp_ne_u32_e32 vcc_lo, 0, v146
	s_delay_alu instid0(VALU_DEP_2)
	v_cndmask_b32_e32 v166, 0, v8, vcc_lo
.LBB2_3987:                             ;   in Loop: Header=BB2_3931 Depth=3
	s_or_b32 exec_lo, exec_lo, s35
.LBB2_3988:                             ;   in Loop: Header=BB2_3931 Depth=3
	s_delay_alu instid0(SALU_CYCLE_1) | instskip(SKIP_3) | instid1(VALU_DEP_1)
	s_or_b32 exec_lo, exec_lo, s34
	v_and_b32_e32 v146, 0xff, v9
	s_mov_b32 s14, 0
	s_mov_b32 s35, exec_lo
                                        ; implicit-def: $sgpr34
	v_cmpx_lt_i16_e64 0x7f, v146
	s_xor_b32 s35, exec_lo, s35
	s_cbranch_execnz .LBB2_4407
; %bb.3989:                             ;   in Loop: Header=BB2_3931 Depth=3
	s_or_saveexec_b32 s35, s35
	v_mov_b32_e32 v8, s34
	s_xor_b32 exec_lo, exec_lo, s35
	s_cbranch_execnz .LBB2_4410
.LBB2_3990:                             ;   in Loop: Header=BB2_3931 Depth=3
	s_or_b32 exec_lo, exec_lo, s35
	s_and_saveexec_b32 s34, s14
	s_cbranch_execz .LBB2_3992
.LBB2_3991:                             ;   in Loop: Header=BB2_3931 Depth=3
	v_and_b32_e32 v8, 3, v9
	v_bfe_u32 v148, v9, 2, 5
	v_lshlrev_b32_e32 v150, 24, v9
	s_delay_alu instid0(VALU_DEP_3) | instskip(NEXT) | instid1(VALU_DEP_3)
	v_clz_i32_u32_e32 v146, v8
	v_cmp_eq_u32_e32 vcc_lo, 0, v148
	s_delay_alu instid0(VALU_DEP_2) | instskip(NEXT) | instid1(VALU_DEP_1)
	v_min_u32_e32 v146, 32, v146
	v_subrev_nc_u32_e32 v147, 29, v146
	v_sub_nc_u32_e32 v146, 30, v146
	s_delay_alu instid0(VALU_DEP_1) | instskip(NEXT) | instid1(VALU_DEP_1)
	v_dual_cndmask_b32 v146, v148, v146 :: v_dual_lshlrev_b32 v147, v147, v9
	v_and_b32_e32 v147, 3, v147
	s_delay_alu instid0(VALU_DEP_2) | instskip(NEXT) | instid1(VALU_DEP_2)
	v_lshl_add_u32 v146, v146, 23, 0x37800000
	v_dual_cndmask_b32 v8, v8, v147 :: v_dual_and_b32 v147, 0x80000000, v150
	s_delay_alu instid0(VALU_DEP_1) | instskip(NEXT) | instid1(VALU_DEP_1)
	v_lshlrev_b32_e32 v8, 21, v8
	v_or3_b32 v8, v147, v146, v8
.LBB2_3992:                             ;   in Loop: Header=BB2_3931 Depth=3
	s_or_b32 exec_lo, exec_lo, s34
	s_delay_alu instid0(VALU_DEP_1) | instskip(SKIP_1) | instid1(VALU_DEP_1)
	v_dual_mul_f32 v8, s15, v8 :: v_dual_mov_b32 v165, 0x80
	s_mov_b32 s34, exec_lo
	v_and_b32_e32 v146, 0x7f800000, v8
	s_delay_alu instid0(VALU_DEP_1)
	v_cmpx_ne_u32_e32 0x7f800000, v146
	s_cbranch_execz .LBB2_4000
; %bb.3993:                             ;   in Loop: Header=BB2_3931 Depth=3
	v_mov_b32_e32 v165, 0
	s_mov_b32 s35, exec_lo
	v_cmpx_ne_u32_e32 0, v8
	s_cbranch_execz .LBB2_3999
; %bb.3994:                             ;   in Loop: Header=BB2_3931 Depth=3
	v_bfe_u32 v146, v8, 23, 8
	v_and_b32_e32 v147, 0x7fffff, v8
	s_delay_alu instid0(VALU_DEP_2) | instskip(SKIP_1) | instid1(VALU_DEP_3)
	v_sub_nc_u32_e32 v148, 0x70, v146
	v_cmp_gt_u32_e32 vcc_lo, 0x71, v146
	v_or_b32_e32 v150, 0x800000, v147
	s_delay_alu instid0(VALU_DEP_3) | instskip(SKIP_1) | instid1(VALU_DEP_3)
	v_cndmask_b32_e32 v148, 0, v148, vcc_lo
	v_cmp_eq_u32_e32 vcc_lo, 0, v146
	v_dual_cndmask_b32 v147, v150, v147 :: v_dual_add_nc_u32 v146, 0xffffff91, v146
	s_delay_alu instid0(VALU_DEP_3) | instskip(NEXT) | instid1(VALU_DEP_2)
	v_cndmask_b32_e64 v148, v148, 0x6f, vcc_lo
	v_cndmask_b32_e64 v146, v146, 0xffffff92, vcc_lo
	s_delay_alu instid0(VALU_DEP_2) | instskip(SKIP_2) | instid1(VALU_DEP_4)
	v_lshrrev_b32_e32 v151, v148, v147
	v_lshl_add_u32 v150, 0x200000, v148, -1
	v_lshlrev_b32_e64 v161, v148, 0x100000
	v_add_nc_u32_e32 v148, v148, v146
	s_delay_alu instid0(VALU_DEP_4) | instskip(NEXT) | instid1(VALU_DEP_4)
	v_bfe_u32 v160, v151, 21, 1
	v_and_b32_e32 v147, v150, v147
	s_delay_alu instid0(VALU_DEP_2) | instskip(NEXT) | instid1(VALU_DEP_2)
	v_add_nc_u32_e32 v150, -1, v160
	v_cmp_eq_u32_e64 s14, v147, v161
	s_delay_alu instid0(VALU_DEP_1) | instskip(SKIP_2) | instid1(VALU_DEP_2)
	v_cndmask_b32_e64 v147, 0, v150, s14
	v_lshrrev_b32_e32 v150, 23, v151
	s_mov_b32 s14, exec_lo
	v_add_nc_u32_e32 v147, v147, v151
	s_delay_alu instid0(VALU_DEP_2) | instskip(NEXT) | instid1(VALU_DEP_2)
	v_xor_b32_e32 v150, 1, v150
	v_and_b32_e32 v146, 0x1fffff, v147
	s_delay_alu instid0(VALU_DEP_1) | instskip(NEXT) | instid1(VALU_DEP_3)
	v_add_nc_u32_e32 v147, v146, v151
                                        ; implicit-def: $vgpr146
	v_cmpx_ne_u32_e64 v148, v150
	s_xor_b32 s14, exec_lo, s14
; %bb.3995:                             ;   in Loop: Header=BB2_3931 Depth=3
	s_delay_alu instid0(VALU_DEP_2) | instskip(SKIP_2) | instid1(VALU_DEP_2)
	v_cmp_lt_u32_e32 vcc_lo, 0xffffff, v147
	v_sub_nc_u32_e32 v146, v148, v150
	v_cndmask_b32_e64 v148, 0, 1, vcc_lo
	v_add_co_ci_u32_e32 v146, vcc_lo, 0, v146, vcc_lo
	s_delay_alu instid0(VALU_DEP_2)
	v_lshrrev_b32_e32 v147, v148, v147
; %bb.3996:                             ;   in Loop: Header=BB2_3931 Depth=3
	s_and_not1_saveexec_b32 s14, s14
; %bb.3997:                             ;   in Loop: Header=BB2_3931 Depth=3
	s_delay_alu instid0(VALU_DEP_1)
	v_bfe_u32 v146, v147, 23, 1
; %bb.3998:                             ;   in Loop: Header=BB2_3931 Depth=3
	s_or_b32 exec_lo, exec_lo, s14
	v_lshrrev_b32_e32 v147, 21, v147
	s_delay_alu instid0(VALU_DEP_2) | instskip(SKIP_2) | instid1(VALU_DEP_2)
	v_cmp_gt_i32_e32 vcc_lo, 32, v146
	v_min_i32_e32 v148, 31, v146
	v_lshrrev_b32_e32 v8, 24, v8
	v_dual_cndmask_b32 v147, 3, v147 :: v_dual_lshlrev_b32 v148, 2, v148
	s_delay_alu instid0(VALU_DEP_2) | instskip(NEXT) | instid1(VALU_DEP_2)
	v_and_b32_e32 v8, 0x80, v8
	v_or_b32_e32 v146, v146, v147
	s_delay_alu instid0(VALU_DEP_3) | instskip(NEXT) | instid1(VALU_DEP_2)
	v_and_b32_e32 v148, 0xfc, v148
	v_cmp_ne_u32_e32 vcc_lo, 0, v146
	v_and_b32_e32 v150, 3, v147
	s_delay_alu instid0(VALU_DEP_1) | instskip(NEXT) | instid1(VALU_DEP_1)
	v_or3_b32 v8, v148, v8, v150
	v_cndmask_b32_e32 v165, 0, v8, vcc_lo
.LBB2_3999:                             ;   in Loop: Header=BB2_3931 Depth=3
	s_or_b32 exec_lo, exec_lo, s35
.LBB2_4000:                             ;   in Loop: Header=BB2_3931 Depth=3
	s_delay_alu instid0(SALU_CYCLE_1) | instskip(SKIP_3) | instid1(VALU_DEP_1)
	s_or_b32 exec_lo, exec_lo, s34
	v_lshrrev_b16 v8, 8, v9
	s_mov_b32 s14, 0
	s_mov_b32 s35, exec_lo
                                        ; implicit-def: $sgpr34
	v_cmpx_lt_i16_e32 0x7f, v8
	s_xor_b32 s35, exec_lo, s35
	s_cbranch_execnz .LBB2_4411
; %bb.4001:                             ;   in Loop: Header=BB2_3931 Depth=3
	s_or_saveexec_b32 s35, s35
	v_mov_b32_e32 v146, s34
	s_xor_b32 exec_lo, exec_lo, s35
	s_cbranch_execnz .LBB2_4414
.LBB2_4002:                             ;   in Loop: Header=BB2_3931 Depth=3
	s_or_b32 exec_lo, exec_lo, s35
	s_and_saveexec_b32 s34, s14
	s_cbranch_execz .LBB2_4004
.LBB2_4003:                             ;   in Loop: Header=BB2_3931 Depth=3
	v_and_b32_e32 v146, 0xffff, v8
	v_lshlrev_b32_e32 v8, 24, v8
	s_delay_alu instid0(VALU_DEP_2) | instskip(NEXT) | instid1(VALU_DEP_2)
	v_and_b32_e32 v147, 3, v146
	v_and_b32_e32 v8, 0x80000000, v8
	s_delay_alu instid0(VALU_DEP_2) | instskip(NEXT) | instid1(VALU_DEP_1)
	v_clz_i32_u32_e32 v148, v147
	v_min_u32_e32 v148, 32, v148
	s_delay_alu instid0(VALU_DEP_1) | instskip(SKIP_1) | instid1(VALU_DEP_2)
	v_subrev_nc_u32_e32 v150, 29, v148
	v_sub_nc_u32_e32 v148, 30, v148
	v_lshlrev_b32_e32 v150, v150, v146
	v_bfe_u32 v146, v146, 2, 5
	s_delay_alu instid0(VALU_DEP_2) | instskip(NEXT) | instid1(VALU_DEP_2)
	v_and_b32_e32 v150, 3, v150
	v_cmp_eq_u32_e32 vcc_lo, 0, v146
	s_delay_alu instid0(VALU_DEP_2) | instskip(NEXT) | instid1(VALU_DEP_1)
	v_dual_cndmask_b32 v146, v146, v148 :: v_dual_cndmask_b32 v147, v147, v150
	v_lshl_add_u32 v146, v146, 23, 0x37800000
	s_delay_alu instid0(VALU_DEP_2) | instskip(NEXT) | instid1(VALU_DEP_1)
	v_lshlrev_b32_e32 v147, 21, v147
	v_or3_b32 v146, v8, v146, v147
.LBB2_4004:                             ;   in Loop: Header=BB2_3931 Depth=3
	s_or_b32 exec_lo, exec_lo, s34
	s_delay_alu instid0(VALU_DEP_1) | instskip(SKIP_2) | instid1(VALU_DEP_2)
	v_mul_f32_e32 v8, s15, v146
	v_mov_b32_e32 v176, 0x8000
	s_mov_b32 s34, exec_lo
	v_and_b32_e32 v146, 0x7f800000, v8
	s_delay_alu instid0(VALU_DEP_1)
	v_cmpx_ne_u32_e32 0x7f800000, v146
	s_cbranch_execz .LBB2_4012
; %bb.4005:                             ;   in Loop: Header=BB2_3931 Depth=3
	v_mov_b32_e32 v176, 0
	s_mov_b32 s35, exec_lo
	v_cmpx_ne_u32_e32 0, v8
	s_cbranch_execz .LBB2_4011
; %bb.4006:                             ;   in Loop: Header=BB2_3931 Depth=3
	v_bfe_u32 v146, v8, 23, 8
	v_and_b32_e32 v147, 0x7fffff, v8
	s_delay_alu instid0(VALU_DEP_2) | instskip(SKIP_1) | instid1(VALU_DEP_3)
	v_sub_nc_u32_e32 v148, 0x70, v146
	v_cmp_gt_u32_e32 vcc_lo, 0x71, v146
	v_or_b32_e32 v150, 0x800000, v147
	s_delay_alu instid0(VALU_DEP_3) | instskip(SKIP_1) | instid1(VALU_DEP_3)
	v_cndmask_b32_e32 v148, 0, v148, vcc_lo
	v_cmp_eq_u32_e32 vcc_lo, 0, v146
	v_dual_cndmask_b32 v147, v150, v147 :: v_dual_add_nc_u32 v146, 0xffffff91, v146
	s_delay_alu instid0(VALU_DEP_3) | instskip(NEXT) | instid1(VALU_DEP_2)
	v_cndmask_b32_e64 v148, v148, 0x6f, vcc_lo
	v_cndmask_b32_e64 v146, v146, 0xffffff92, vcc_lo
	s_delay_alu instid0(VALU_DEP_2) | instskip(SKIP_2) | instid1(VALU_DEP_4)
	v_lshrrev_b32_e32 v151, v148, v147
	v_lshl_add_u32 v150, 0x200000, v148, -1
	v_lshlrev_b32_e64 v161, v148, 0x100000
	v_add_nc_u32_e32 v148, v148, v146
	s_delay_alu instid0(VALU_DEP_4) | instskip(NEXT) | instid1(VALU_DEP_4)
	v_bfe_u32 v160, v151, 21, 1
	v_and_b32_e32 v147, v150, v147
	s_delay_alu instid0(VALU_DEP_2) | instskip(NEXT) | instid1(VALU_DEP_2)
	v_add_nc_u32_e32 v150, -1, v160
	v_cmp_eq_u32_e64 s14, v147, v161
	s_delay_alu instid0(VALU_DEP_1) | instskip(SKIP_2) | instid1(VALU_DEP_2)
	v_cndmask_b32_e64 v147, 0, v150, s14
	v_lshrrev_b32_e32 v150, 23, v151
	s_mov_b32 s14, exec_lo
	v_add_nc_u32_e32 v147, v147, v151
	s_delay_alu instid0(VALU_DEP_2) | instskip(NEXT) | instid1(VALU_DEP_2)
	v_xor_b32_e32 v150, 1, v150
	v_and_b32_e32 v146, 0x1fffff, v147
	s_delay_alu instid0(VALU_DEP_1) | instskip(NEXT) | instid1(VALU_DEP_3)
	v_add_nc_u32_e32 v147, v146, v151
                                        ; implicit-def: $vgpr146
	v_cmpx_ne_u32_e64 v148, v150
	s_xor_b32 s14, exec_lo, s14
; %bb.4007:                             ;   in Loop: Header=BB2_3931 Depth=3
	s_delay_alu instid0(VALU_DEP_2) | instskip(SKIP_2) | instid1(VALU_DEP_2)
	v_cmp_lt_u32_e32 vcc_lo, 0xffffff, v147
	v_sub_nc_u32_e32 v146, v148, v150
	v_cndmask_b32_e64 v148, 0, 1, vcc_lo
	v_add_co_ci_u32_e32 v146, vcc_lo, 0, v146, vcc_lo
	s_delay_alu instid0(VALU_DEP_2)
	v_lshrrev_b32_e32 v147, v148, v147
; %bb.4008:                             ;   in Loop: Header=BB2_3931 Depth=3
	s_and_not1_saveexec_b32 s14, s14
; %bb.4009:                             ;   in Loop: Header=BB2_3931 Depth=3
	s_delay_alu instid0(VALU_DEP_1)
	v_bfe_u32 v146, v147, 23, 1
; %bb.4010:                             ;   in Loop: Header=BB2_3931 Depth=3
	s_or_b32 exec_lo, exec_lo, s14
	v_lshrrev_b32_e32 v147, 21, v147
	s_delay_alu instid0(VALU_DEP_2) | instskip(SKIP_2) | instid1(VALU_DEP_3)
	v_min_i32_e32 v148, 31, v146
	v_cmp_gt_i32_e32 vcc_lo, 32, v146
	v_lshrrev_b32_e32 v8, 24, v8
	v_dual_cndmask_b32 v147, 3, v147 :: v_dual_lshlrev_b32 v148, 2, v148
	s_delay_alu instid0(VALU_DEP_2) | instskip(NEXT) | instid1(VALU_DEP_2)
	v_and_b32_e32 v8, 0x80, v8
	v_and_b32_e32 v148, 0xfc, v148
	s_delay_alu instid0(VALU_DEP_3) | instskip(SKIP_1) | instid1(VALU_DEP_2)
	v_and_b32_e32 v150, 3, v147
	v_or_b32_e32 v146, v146, v147
	v_or3_b32 v8, v8, v148, v150
	s_delay_alu instid0(VALU_DEP_2) | instskip(NEXT) | instid1(VALU_DEP_2)
	v_cmp_ne_u32_e32 vcc_lo, 0, v146
	v_lshlrev_b32_e32 v8, 8, v8
	s_delay_alu instid0(VALU_DEP_1)
	v_cndmask_b32_e32 v176, 0, v8, vcc_lo
.LBB2_4011:                             ;   in Loop: Header=BB2_3931 Depth=3
	s_or_b32 exec_lo, exec_lo, s35
.LBB2_4012:                             ;   in Loop: Header=BB2_3931 Depth=3
	s_delay_alu instid0(SALU_CYCLE_1) | instskip(SKIP_3) | instid1(VALU_DEP_1)
	s_or_b32 exec_lo, exec_lo, s34
	v_lshrrev_b32_e32 v8, 16, v9
	s_mov_b32 s14, 0
	s_mov_b32 s35, exec_lo
                                        ; implicit-def: $sgpr34
	v_and_b32_e32 v147, 0xff, v8
	s_delay_alu instid0(VALU_DEP_1)
	v_cmpx_lt_i16_e64 0x7f, v147
	s_xor_b32 s35, exec_lo, s35
	s_cbranch_execnz .LBB2_4415
; %bb.4013:                             ;   in Loop: Header=BB2_3931 Depth=3
	s_or_saveexec_b32 s35, s35
	v_mov_b32_e32 v146, s34
	s_xor_b32 exec_lo, exec_lo, s35
	s_cbranch_execnz .LBB2_4418
.LBB2_4014:                             ;   in Loop: Header=BB2_3931 Depth=3
	s_or_b32 exec_lo, exec_lo, s35
	s_and_saveexec_b32 s34, s14
	s_cbranch_execz .LBB2_4016
.LBB2_4015:                             ;   in Loop: Header=BB2_3931 Depth=3
	v_bfe_u32 v146, v9, 16, 2
	v_lshlrev_b32_e32 v150, 8, v9
	s_delay_alu instid0(VALU_DEP_2) | instskip(NEXT) | instid1(VALU_DEP_1)
	v_clz_i32_u32_e32 v147, v146
	v_min_u32_e32 v147, 32, v147
	s_delay_alu instid0(VALU_DEP_1) | instskip(SKIP_1) | instid1(VALU_DEP_2)
	v_subrev_nc_u32_e32 v148, 29, v147
	v_sub_nc_u32_e32 v147, 30, v147
	v_lshlrev_b32_e32 v8, v148, v8
	v_bfe_u32 v148, v9, 18, 5
	s_delay_alu instid0(VALU_DEP_1) | instskip(NEXT) | instid1(VALU_DEP_3)
	v_cmp_eq_u32_e32 vcc_lo, 0, v148
	v_dual_cndmask_b32 v147, v148, v147 :: v_dual_and_b32 v8, 3, v8
	s_delay_alu instid0(VALU_DEP_1) | instskip(SKIP_1) | instid1(VALU_DEP_3)
	v_cndmask_b32_e32 v8, v146, v8, vcc_lo
	v_and_b32_e32 v146, 0x80000000, v150
	v_lshl_add_u32 v147, v147, 23, 0x37800000
	s_delay_alu instid0(VALU_DEP_3) | instskip(NEXT) | instid1(VALU_DEP_1)
	v_lshlrev_b32_e32 v8, 21, v8
	v_or3_b32 v146, v146, v147, v8
.LBB2_4016:                             ;   in Loop: Header=BB2_3931 Depth=3
	s_or_b32 exec_lo, exec_lo, s34
	s_delay_alu instid0(VALU_DEP_1) | instskip(SKIP_2) | instid1(VALU_DEP_2)
	v_mul_f32_e32 v8, s15, v146
	v_mov_b32_e32 v164, 0x80
	s_mov_b32 s34, exec_lo
	v_and_b32_e32 v146, 0x7f800000, v8
	s_delay_alu instid0(VALU_DEP_1)
	v_cmpx_ne_u32_e32 0x7f800000, v146
	s_cbranch_execz .LBB2_4024
; %bb.4017:                             ;   in Loop: Header=BB2_3931 Depth=3
	v_mov_b32_e32 v164, 0
	s_mov_b32 s35, exec_lo
	v_cmpx_ne_u32_e32 0, v8
	s_cbranch_execz .LBB2_4023
; %bb.4018:                             ;   in Loop: Header=BB2_3931 Depth=3
	v_bfe_u32 v146, v8, 23, 8
	v_and_b32_e32 v147, 0x7fffff, v8
	s_delay_alu instid0(VALU_DEP_2) | instskip(SKIP_1) | instid1(VALU_DEP_3)
	v_sub_nc_u32_e32 v148, 0x70, v146
	v_cmp_gt_u32_e32 vcc_lo, 0x71, v146
	v_or_b32_e32 v150, 0x800000, v147
	s_delay_alu instid0(VALU_DEP_3) | instskip(SKIP_1) | instid1(VALU_DEP_3)
	v_cndmask_b32_e32 v148, 0, v148, vcc_lo
	v_cmp_eq_u32_e32 vcc_lo, 0, v146
	v_dual_cndmask_b32 v147, v150, v147 :: v_dual_add_nc_u32 v146, 0xffffff91, v146
	s_delay_alu instid0(VALU_DEP_3) | instskip(NEXT) | instid1(VALU_DEP_2)
	v_cndmask_b32_e64 v148, v148, 0x6f, vcc_lo
	v_cndmask_b32_e64 v146, v146, 0xffffff92, vcc_lo
	s_delay_alu instid0(VALU_DEP_2) | instskip(SKIP_2) | instid1(VALU_DEP_4)
	v_lshrrev_b32_e32 v151, v148, v147
	v_lshl_add_u32 v150, 0x200000, v148, -1
	v_lshlrev_b32_e64 v161, v148, 0x100000
	v_add_nc_u32_e32 v148, v148, v146
	s_delay_alu instid0(VALU_DEP_4) | instskip(NEXT) | instid1(VALU_DEP_4)
	v_bfe_u32 v160, v151, 21, 1
	v_and_b32_e32 v147, v150, v147
	s_delay_alu instid0(VALU_DEP_2) | instskip(NEXT) | instid1(VALU_DEP_2)
	v_add_nc_u32_e32 v150, -1, v160
	v_cmp_eq_u32_e64 s14, v147, v161
	s_delay_alu instid0(VALU_DEP_1) | instskip(SKIP_2) | instid1(VALU_DEP_2)
	v_cndmask_b32_e64 v147, 0, v150, s14
	v_lshrrev_b32_e32 v150, 23, v151
	s_mov_b32 s14, exec_lo
	v_add_nc_u32_e32 v147, v147, v151
	s_delay_alu instid0(VALU_DEP_2) | instskip(NEXT) | instid1(VALU_DEP_2)
	v_xor_b32_e32 v150, 1, v150
	v_and_b32_e32 v146, 0x1fffff, v147
	s_delay_alu instid0(VALU_DEP_1) | instskip(NEXT) | instid1(VALU_DEP_3)
	v_add_nc_u32_e32 v147, v146, v151
                                        ; implicit-def: $vgpr146
	v_cmpx_ne_u32_e64 v148, v150
	s_xor_b32 s14, exec_lo, s14
; %bb.4019:                             ;   in Loop: Header=BB2_3931 Depth=3
	s_delay_alu instid0(VALU_DEP_2) | instskip(SKIP_2) | instid1(VALU_DEP_2)
	v_cmp_lt_u32_e32 vcc_lo, 0xffffff, v147
	v_sub_nc_u32_e32 v146, v148, v150
	v_cndmask_b32_e64 v148, 0, 1, vcc_lo
	v_add_co_ci_u32_e32 v146, vcc_lo, 0, v146, vcc_lo
	s_delay_alu instid0(VALU_DEP_2)
	v_lshrrev_b32_e32 v147, v148, v147
; %bb.4020:                             ;   in Loop: Header=BB2_3931 Depth=3
	s_and_not1_saveexec_b32 s14, s14
; %bb.4021:                             ;   in Loop: Header=BB2_3931 Depth=3
	s_delay_alu instid0(VALU_DEP_1)
	v_bfe_u32 v146, v147, 23, 1
; %bb.4022:                             ;   in Loop: Header=BB2_3931 Depth=3
	s_or_b32 exec_lo, exec_lo, s14
	v_lshrrev_b32_e32 v147, 21, v147
	s_delay_alu instid0(VALU_DEP_2) | instskip(SKIP_2) | instid1(VALU_DEP_3)
	v_min_i32_e32 v148, 31, v146
	v_cmp_gt_i32_e32 vcc_lo, 32, v146
	v_lshrrev_b32_e32 v8, 24, v8
	v_dual_cndmask_b32 v147, 3, v147 :: v_dual_lshlrev_b32 v148, 2, v148
	s_delay_alu instid0(VALU_DEP_2) | instskip(NEXT) | instid1(VALU_DEP_2)
	v_and_b32_e32 v8, 0x80, v8
	v_and_b32_e32 v148, 0xfc, v148
	s_delay_alu instid0(VALU_DEP_3) | instskip(SKIP_1) | instid1(VALU_DEP_2)
	v_and_b32_e32 v150, 3, v147
	v_or_b32_e32 v146, v146, v147
	v_or3_b32 v8, v148, v8, v150
	s_delay_alu instid0(VALU_DEP_2) | instskip(NEXT) | instid1(VALU_DEP_2)
	v_cmp_ne_u32_e32 vcc_lo, 0, v146
	v_cndmask_b32_e32 v164, 0, v8, vcc_lo
.LBB2_4023:                             ;   in Loop: Header=BB2_3931 Depth=3
	s_or_b32 exec_lo, exec_lo, s35
.LBB2_4024:                             ;   in Loop: Header=BB2_3931 Depth=3
	s_delay_alu instid0(SALU_CYCLE_1) | instskip(SKIP_3) | instid1(VALU_DEP_1)
	s_or_b32 exec_lo, exec_lo, s34
	v_lshrrev_b32_e32 v8, 24, v9
	s_mov_b32 s14, 0
	s_mov_b32 s35, exec_lo
                                        ; implicit-def: $sgpr34
	v_cmpx_lt_i16_e32 0x7f, v8
	s_xor_b32 s35, exec_lo, s35
	s_cbranch_execnz .LBB2_4419
; %bb.4025:                             ;   in Loop: Header=BB2_3931 Depth=3
	s_or_saveexec_b32 s35, s35
	v_mov_b32_e32 v146, s34
	s_xor_b32 exec_lo, exec_lo, s35
	s_cbranch_execnz .LBB2_4422
.LBB2_4026:                             ;   in Loop: Header=BB2_3931 Depth=3
	s_or_b32 exec_lo, exec_lo, s35
	s_and_saveexec_b32 s34, s14
	s_cbranch_execz .LBB2_4028
.LBB2_4027:                             ;   in Loop: Header=BB2_3931 Depth=3
	v_bfe_u32 v146, v9, 24, 2
	s_delay_alu instid0(VALU_DEP_1) | instskip(NEXT) | instid1(VALU_DEP_1)
	v_clz_i32_u32_e32 v147, v146
	v_min_u32_e32 v147, 32, v147
	s_delay_alu instid0(VALU_DEP_1) | instskip(SKIP_1) | instid1(VALU_DEP_2)
	v_subrev_nc_u32_e32 v148, 29, v147
	v_sub_nc_u32_e32 v147, 30, v147
	v_lshlrev_b32_e32 v8, v148, v8
	v_bfe_u32 v148, v9, 26, 5
	v_and_b32_e32 v9, 0x80000000, v9
	s_delay_alu instid0(VALU_DEP_2) | instskip(NEXT) | instid1(VALU_DEP_4)
	v_cmp_eq_u32_e32 vcc_lo, 0, v148
	v_dual_cndmask_b32 v147, v148, v147 :: v_dual_and_b32 v8, 3, v8
	s_delay_alu instid0(VALU_DEP_1) | instskip(NEXT) | instid1(VALU_DEP_2)
	v_cndmask_b32_e32 v8, v146, v8, vcc_lo
	v_lshl_add_u32 v146, v147, 23, 0x37800000
	s_delay_alu instid0(VALU_DEP_2) | instskip(NEXT) | instid1(VALU_DEP_1)
	v_lshlrev_b32_e32 v8, 21, v8
	v_or3_b32 v146, v9, v146, v8
.LBB2_4028:                             ;   in Loop: Header=BB2_3931 Depth=3
	s_or_b32 exec_lo, exec_lo, s34
	s_delay_alu instid0(VALU_DEP_1) | instskip(SKIP_1) | instid1(VALU_DEP_1)
	v_dual_mul_f32 v8, s15, v146 :: v_dual_mov_b32 v167, 0x8000
	s_mov_b32 s34, exec_lo
	v_and_b32_e32 v9, 0x7f800000, v8
	s_delay_alu instid0(VALU_DEP_1)
	v_cmpx_ne_u32_e32 0x7f800000, v9
	s_cbranch_execz .LBB2_4036
; %bb.4029:                             ;   in Loop: Header=BB2_3931 Depth=3
	v_mov_b32_e32 v167, 0
	s_mov_b32 s35, exec_lo
	v_cmpx_ne_u32_e32 0, v8
	s_cbranch_execz .LBB2_4035
; %bb.4030:                             ;   in Loop: Header=BB2_3931 Depth=3
	v_bfe_u32 v9, v8, 23, 8
	s_delay_alu instid0(VALU_DEP_1) | instskip(SKIP_1) | instid1(VALU_DEP_2)
	v_sub_nc_u32_e32 v147, 0x70, v9
	v_cmp_gt_u32_e32 vcc_lo, 0x71, v9
	v_dual_cndmask_b32 v147, 0, v147 :: v_dual_and_b32 v146, 0x7fffff, v8
	s_delay_alu instid0(VALU_DEP_1) | instskip(SKIP_2) | instid1(VALU_DEP_4)
	v_or_b32_e32 v148, 0x800000, v146
	v_cmp_eq_u32_e32 vcc_lo, 0, v9
	v_add_nc_u32_e32 v9, 0xffffff91, v9
	v_cndmask_b32_e64 v147, v147, 0x6f, vcc_lo
	s_delay_alu instid0(VALU_DEP_4) | instskip(NEXT) | instid1(VALU_DEP_3)
	v_cndmask_b32_e32 v146, v148, v146, vcc_lo
	v_cndmask_b32_e64 v9, v9, 0xffffff92, vcc_lo
	s_delay_alu instid0(VALU_DEP_3) | instskip(NEXT) | instid1(VALU_DEP_3)
	v_lshl_add_u32 v148, 0x200000, v147, -1
	v_lshrrev_b32_e32 v150, v147, v146
	v_lshlrev_b32_e64 v160, v147, 0x100000
	s_delay_alu instid0(VALU_DEP_4) | instskip(NEXT) | instid1(VALU_DEP_4)
	v_add_nc_u32_e32 v147, v147, v9
	v_and_b32_e32 v146, v148, v146
	s_delay_alu instid0(VALU_DEP_4) | instskip(NEXT) | instid1(VALU_DEP_2)
	v_bfe_u32 v151, v150, 21, 1
	v_cmp_eq_u32_e64 s14, v146, v160
	s_delay_alu instid0(VALU_DEP_2) | instskip(NEXT) | instid1(VALU_DEP_1)
	v_add_nc_u32_e32 v148, -1, v151
	v_cndmask_b32_e64 v146, 0, v148, s14
	v_lshrrev_b32_e32 v148, 23, v150
	s_mov_b32 s14, exec_lo
	s_delay_alu instid0(VALU_DEP_2) | instskip(NEXT) | instid1(VALU_DEP_2)
	v_add_nc_u32_e32 v146, v146, v150
	v_xor_b32_e32 v148, 1, v148
	s_delay_alu instid0(VALU_DEP_2) | instskip(NEXT) | instid1(VALU_DEP_1)
	v_and_b32_e32 v9, 0x1fffff, v146
	v_add_nc_u32_e32 v146, v9, v150
                                        ; implicit-def: $vgpr9
	s_delay_alu instid0(VALU_DEP_3)
	v_cmpx_ne_u32_e64 v147, v148
	s_xor_b32 s14, exec_lo, s14
; %bb.4031:                             ;   in Loop: Header=BB2_3931 Depth=3
	s_delay_alu instid0(VALU_DEP_2) | instskip(SKIP_2) | instid1(VALU_DEP_2)
	v_cmp_lt_u32_e32 vcc_lo, 0xffffff, v146
	v_sub_nc_u32_e32 v9, v147, v148
	v_cndmask_b32_e64 v147, 0, 1, vcc_lo
	v_add_co_ci_u32_e32 v9, vcc_lo, 0, v9, vcc_lo
	s_delay_alu instid0(VALU_DEP_2)
	v_lshrrev_b32_e32 v146, v147, v146
; %bb.4032:                             ;   in Loop: Header=BB2_3931 Depth=3
	s_and_not1_saveexec_b32 s14, s14
; %bb.4033:                             ;   in Loop: Header=BB2_3931 Depth=3
	s_delay_alu instid0(VALU_DEP_1)
	v_bfe_u32 v9, v146, 23, 1
; %bb.4034:                             ;   in Loop: Header=BB2_3931 Depth=3
	s_or_b32 exec_lo, exec_lo, s14
	v_lshrrev_b32_e32 v146, 21, v146
	s_delay_alu instid0(VALU_DEP_2) | instskip(SKIP_2) | instid1(VALU_DEP_2)
	v_cmp_gt_i32_e32 vcc_lo, 32, v9
	v_min_i32_e32 v147, 31, v9
	v_lshrrev_b32_e32 v8, 24, v8
	v_dual_cndmask_b32 v146, 3, v146 :: v_dual_lshlrev_b32 v147, 2, v147
	s_delay_alu instid0(VALU_DEP_2) | instskip(NEXT) | instid1(VALU_DEP_2)
	v_and_b32_e32 v8, 0x80, v8
	v_or_b32_e32 v9, v9, v146
	s_delay_alu instid0(VALU_DEP_3) | instskip(NEXT) | instid1(VALU_DEP_2)
	v_and_b32_e32 v147, 0xfc, v147
	v_cmp_ne_u32_e32 vcc_lo, 0, v9
	v_and_b32_e32 v148, 3, v146
	s_delay_alu instid0(VALU_DEP_1) | instskip(NEXT) | instid1(VALU_DEP_1)
	v_or3_b32 v8, v8, v147, v148
	v_lshlrev_b32_e32 v8, 8, v8
	s_delay_alu instid0(VALU_DEP_1)
	v_cndmask_b32_e32 v167, 0, v8, vcc_lo
.LBB2_4035:                             ;   in Loop: Header=BB2_3931 Depth=3
	s_or_b32 exec_lo, exec_lo, s35
.LBB2_4036:                             ;   in Loop: Header=BB2_3931 Depth=3
	s_delay_alu instid0(SALU_CYCLE_1) | instskip(SKIP_3) | instid1(VALU_DEP_1)
	s_or_b32 exec_lo, exec_lo, s34
	v_and_b32_e32 v9, 0xff, v10
	s_mov_b32 s14, 0
	s_mov_b32 s35, exec_lo
                                        ; implicit-def: $sgpr34
	v_cmpx_lt_i16_e32 0x7f, v9
	s_xor_b32 s35, exec_lo, s35
	s_cbranch_execnz .LBB2_4423
; %bb.4037:                             ;   in Loop: Header=BB2_3931 Depth=3
	s_or_saveexec_b32 s35, s35
	v_mov_b32_e32 v8, s34
	s_xor_b32 exec_lo, exec_lo, s35
	s_cbranch_execnz .LBB2_4426
.LBB2_4038:                             ;   in Loop: Header=BB2_3931 Depth=3
	s_or_b32 exec_lo, exec_lo, s35
	s_and_saveexec_b32 s34, s14
	s_cbranch_execz .LBB2_4040
.LBB2_4039:                             ;   in Loop: Header=BB2_3931 Depth=3
	v_bfe_u32 v147, v10, 2, 5
	v_lshlrev_b32_e32 v148, 24, v10
	s_delay_alu instid0(VALU_DEP_2) | instskip(SKIP_1) | instid1(VALU_DEP_1)
	v_cmp_eq_u32_e32 vcc_lo, 0, v147
	v_and_b32_e32 v8, 3, v10
	v_clz_i32_u32_e32 v9, v8
	s_delay_alu instid0(VALU_DEP_1) | instskip(NEXT) | instid1(VALU_DEP_1)
	v_min_u32_e32 v9, 32, v9
	v_subrev_nc_u32_e32 v146, 29, v9
	v_sub_nc_u32_e32 v9, 30, v9
	s_delay_alu instid0(VALU_DEP_1) | instskip(NEXT) | instid1(VALU_DEP_1)
	v_dual_cndmask_b32 v9, v147, v9 :: v_dual_lshlrev_b32 v146, v146, v10
	v_and_b32_e32 v146, 3, v146
	s_delay_alu instid0(VALU_DEP_2) | instskip(NEXT) | instid1(VALU_DEP_2)
	v_lshl_add_u32 v9, v9, 23, 0x37800000
	v_cndmask_b32_e32 v8, v8, v146, vcc_lo
	v_and_b32_e32 v146, 0x80000000, v148
	s_delay_alu instid0(VALU_DEP_2) | instskip(NEXT) | instid1(VALU_DEP_1)
	v_lshlrev_b32_e32 v8, 21, v8
	v_or3_b32 v8, v146, v9, v8
.LBB2_4040:                             ;   in Loop: Header=BB2_3931 Depth=3
	s_or_b32 exec_lo, exec_lo, s34
	s_delay_alu instid0(VALU_DEP_1) | instskip(SKIP_2) | instid1(VALU_DEP_2)
	v_mul_f32_e32 v8, s15, v8
	v_mov_b32_e32 v162, 0x80
	s_mov_b32 s34, exec_lo
	v_and_b32_e32 v9, 0x7f800000, v8
	s_delay_alu instid0(VALU_DEP_1)
	v_cmpx_ne_u32_e32 0x7f800000, v9
	s_cbranch_execz .LBB2_4048
; %bb.4041:                             ;   in Loop: Header=BB2_3931 Depth=3
	v_mov_b32_e32 v162, 0
	s_mov_b32 s35, exec_lo
	v_cmpx_ne_u32_e32 0, v8
	s_cbranch_execz .LBB2_4047
; %bb.4042:                             ;   in Loop: Header=BB2_3931 Depth=3
	v_bfe_u32 v9, v8, 23, 8
	s_delay_alu instid0(VALU_DEP_1) | instskip(SKIP_1) | instid1(VALU_DEP_2)
	v_sub_nc_u32_e32 v147, 0x70, v9
	v_cmp_gt_u32_e32 vcc_lo, 0x71, v9
	v_dual_cndmask_b32 v147, 0, v147 :: v_dual_and_b32 v146, 0x7fffff, v8
	s_delay_alu instid0(VALU_DEP_1) | instskip(SKIP_2) | instid1(VALU_DEP_4)
	v_or_b32_e32 v148, 0x800000, v146
	v_cmp_eq_u32_e32 vcc_lo, 0, v9
	v_add_nc_u32_e32 v9, 0xffffff91, v9
	v_cndmask_b32_e64 v147, v147, 0x6f, vcc_lo
	s_delay_alu instid0(VALU_DEP_4) | instskip(NEXT) | instid1(VALU_DEP_3)
	v_cndmask_b32_e32 v146, v148, v146, vcc_lo
	v_cndmask_b32_e64 v9, v9, 0xffffff92, vcc_lo
	s_delay_alu instid0(VALU_DEP_3) | instskip(NEXT) | instid1(VALU_DEP_3)
	v_lshl_add_u32 v148, 0x200000, v147, -1
	v_lshrrev_b32_e32 v150, v147, v146
	v_lshlrev_b32_e64 v160, v147, 0x100000
	s_delay_alu instid0(VALU_DEP_4) | instskip(NEXT) | instid1(VALU_DEP_4)
	v_add_nc_u32_e32 v147, v147, v9
	v_and_b32_e32 v146, v148, v146
	s_delay_alu instid0(VALU_DEP_4) | instskip(NEXT) | instid1(VALU_DEP_2)
	v_bfe_u32 v151, v150, 21, 1
	v_cmp_eq_u32_e64 s14, v146, v160
	s_delay_alu instid0(VALU_DEP_2) | instskip(NEXT) | instid1(VALU_DEP_1)
	v_add_nc_u32_e32 v148, -1, v151
	v_cndmask_b32_e64 v146, 0, v148, s14
	v_lshrrev_b32_e32 v148, 23, v150
	s_mov_b32 s14, exec_lo
	s_delay_alu instid0(VALU_DEP_2) | instskip(NEXT) | instid1(VALU_DEP_2)
	v_add_nc_u32_e32 v146, v146, v150
	v_xor_b32_e32 v148, 1, v148
	s_delay_alu instid0(VALU_DEP_2) | instskip(NEXT) | instid1(VALU_DEP_1)
	v_and_b32_e32 v9, 0x1fffff, v146
	v_add_nc_u32_e32 v146, v9, v150
                                        ; implicit-def: $vgpr9
	s_delay_alu instid0(VALU_DEP_3)
	v_cmpx_ne_u32_e64 v147, v148
	s_xor_b32 s14, exec_lo, s14
; %bb.4043:                             ;   in Loop: Header=BB2_3931 Depth=3
	s_delay_alu instid0(VALU_DEP_2) | instskip(SKIP_2) | instid1(VALU_DEP_2)
	v_cmp_lt_u32_e32 vcc_lo, 0xffffff, v146
	v_sub_nc_u32_e32 v9, v147, v148
	v_cndmask_b32_e64 v147, 0, 1, vcc_lo
	v_add_co_ci_u32_e32 v9, vcc_lo, 0, v9, vcc_lo
	s_delay_alu instid0(VALU_DEP_2)
	v_lshrrev_b32_e32 v146, v147, v146
; %bb.4044:                             ;   in Loop: Header=BB2_3931 Depth=3
	s_and_not1_saveexec_b32 s14, s14
; %bb.4045:                             ;   in Loop: Header=BB2_3931 Depth=3
	s_delay_alu instid0(VALU_DEP_1)
	v_bfe_u32 v9, v146, 23, 1
; %bb.4046:                             ;   in Loop: Header=BB2_3931 Depth=3
	s_or_b32 exec_lo, exec_lo, s14
	v_lshrrev_b32_e32 v146, 21, v146
	s_delay_alu instid0(VALU_DEP_2) | instskip(SKIP_2) | instid1(VALU_DEP_4)
	v_cmp_gt_i32_e32 vcc_lo, 32, v9
	v_lshrrev_b32_e32 v8, 24, v8
	v_min_i32_e32 v147, 31, v9
	v_cndmask_b32_e32 v146, 3, v146, vcc_lo
	s_delay_alu instid0(VALU_DEP_3) | instskip(NEXT) | instid1(VALU_DEP_3)
	v_and_b32_e32 v8, 0x80, v8
	v_lshlrev_b32_e32 v147, 2, v147
	s_delay_alu instid0(VALU_DEP_3) | instskip(SKIP_1) | instid1(VALU_DEP_2)
	v_and_b32_e32 v148, 3, v146
	v_or_b32_e32 v9, v9, v146
	v_or3_b32 v8, v147, v8, v148
	s_delay_alu instid0(VALU_DEP_2) | instskip(NEXT) | instid1(VALU_DEP_2)
	v_cmp_ne_u32_e32 vcc_lo, 0, v9
	v_cndmask_b32_e32 v162, 0, v8, vcc_lo
.LBB2_4047:                             ;   in Loop: Header=BB2_3931 Depth=3
	s_or_b32 exec_lo, exec_lo, s35
.LBB2_4048:                             ;   in Loop: Header=BB2_3931 Depth=3
	s_delay_alu instid0(SALU_CYCLE_1) | instskip(SKIP_3) | instid1(VALU_DEP_1)
	s_or_b32 exec_lo, exec_lo, s34
	v_lshrrev_b16 v8, 8, v10
	s_mov_b32 s14, 0
	s_mov_b32 s35, exec_lo
                                        ; implicit-def: $sgpr34
	v_cmpx_lt_i16_e32 0x7f, v8
	s_xor_b32 s35, exec_lo, s35
	s_cbranch_execnz .LBB2_4427
; %bb.4049:                             ;   in Loop: Header=BB2_3931 Depth=3
	s_or_saveexec_b32 s35, s35
	v_mov_b32_e32 v9, s34
	s_xor_b32 exec_lo, exec_lo, s35
	s_cbranch_execnz .LBB2_4430
.LBB2_4050:                             ;   in Loop: Header=BB2_3931 Depth=3
	s_or_b32 exec_lo, exec_lo, s35
	s_and_saveexec_b32 s34, s14
	s_cbranch_execz .LBB2_4052
.LBB2_4051:                             ;   in Loop: Header=BB2_3931 Depth=3
	v_and_b32_e32 v9, 0xffff, v8
	v_lshlrev_b32_e32 v8, 24, v8
	s_delay_alu instid0(VALU_DEP_2) | instskip(NEXT) | instid1(VALU_DEP_2)
	v_and_b32_e32 v146, 3, v9
	v_and_b32_e32 v8, 0x80000000, v8
	s_delay_alu instid0(VALU_DEP_2) | instskip(NEXT) | instid1(VALU_DEP_1)
	v_clz_i32_u32_e32 v147, v146
	v_min_u32_e32 v147, 32, v147
	s_delay_alu instid0(VALU_DEP_1) | instskip(SKIP_1) | instid1(VALU_DEP_2)
	v_subrev_nc_u32_e32 v148, 29, v147
	v_sub_nc_u32_e32 v147, 30, v147
	v_lshlrev_b32_e32 v148, v148, v9
	v_bfe_u32 v9, v9, 2, 5
	s_delay_alu instid0(VALU_DEP_2) | instskip(NEXT) | instid1(VALU_DEP_2)
	v_and_b32_e32 v148, 3, v148
	v_cmp_eq_u32_e32 vcc_lo, 0, v9
	s_delay_alu instid0(VALU_DEP_2) | instskip(NEXT) | instid1(VALU_DEP_1)
	v_dual_cndmask_b32 v9, v9, v147 :: v_dual_cndmask_b32 v146, v146, v148
	v_lshl_add_u32 v9, v9, 23, 0x37800000
	s_delay_alu instid0(VALU_DEP_2) | instskip(NEXT) | instid1(VALU_DEP_1)
	v_lshlrev_b32_e32 v146, 21, v146
	v_or3_b32 v9, v8, v9, v146
.LBB2_4052:                             ;   in Loop: Header=BB2_3931 Depth=3
	s_or_b32 exec_lo, exec_lo, s34
	s_delay_alu instid0(VALU_DEP_1) | instskip(SKIP_2) | instid1(VALU_DEP_2)
	v_mul_f32_e32 v8, s15, v9
	v_mov_b32_e32 v160, 0x80
	s_mov_b32 s34, exec_lo
	v_and_b32_e32 v9, 0x7f800000, v8
	s_delay_alu instid0(VALU_DEP_1)
	v_cmpx_ne_u32_e32 0x7f800000, v9
	s_cbranch_execz .LBB2_4060
; %bb.4053:                             ;   in Loop: Header=BB2_3931 Depth=3
	v_mov_b32_e32 v160, 0
	s_mov_b32 s35, exec_lo
	v_cmpx_ne_u32_e32 0, v8
	s_cbranch_execz .LBB2_4059
; %bb.4054:                             ;   in Loop: Header=BB2_3931 Depth=3
	v_bfe_u32 v9, v8, 23, 8
	s_delay_alu instid0(VALU_DEP_1) | instskip(SKIP_1) | instid1(VALU_DEP_2)
	v_sub_nc_u32_e32 v147, 0x70, v9
	v_cmp_gt_u32_e32 vcc_lo, 0x71, v9
	v_dual_cndmask_b32 v147, 0, v147 :: v_dual_and_b32 v146, 0x7fffff, v8
	s_delay_alu instid0(VALU_DEP_1) | instskip(SKIP_2) | instid1(VALU_DEP_4)
	v_or_b32_e32 v148, 0x800000, v146
	v_cmp_eq_u32_e32 vcc_lo, 0, v9
	v_add_nc_u32_e32 v9, 0xffffff91, v9
	v_cndmask_b32_e64 v147, v147, 0x6f, vcc_lo
	s_delay_alu instid0(VALU_DEP_4) | instskip(NEXT) | instid1(VALU_DEP_3)
	v_cndmask_b32_e32 v146, v148, v146, vcc_lo
	v_cndmask_b32_e64 v9, v9, 0xffffff92, vcc_lo
	s_delay_alu instid0(VALU_DEP_3) | instskip(NEXT) | instid1(VALU_DEP_3)
	v_lshl_add_u32 v148, 0x200000, v147, -1
	v_lshrrev_b32_e32 v150, v147, v146
	v_lshlrev_b32_e64 v160, v147, 0x100000
	s_delay_alu instid0(VALU_DEP_4) | instskip(NEXT) | instid1(VALU_DEP_4)
	v_add_nc_u32_e32 v147, v147, v9
	v_and_b32_e32 v146, v148, v146
	s_delay_alu instid0(VALU_DEP_4) | instskip(NEXT) | instid1(VALU_DEP_2)
	v_bfe_u32 v151, v150, 21, 1
	v_cmp_eq_u32_e64 s14, v146, v160
	s_delay_alu instid0(VALU_DEP_2) | instskip(NEXT) | instid1(VALU_DEP_1)
	v_add_nc_u32_e32 v148, -1, v151
	v_cndmask_b32_e64 v146, 0, v148, s14
	v_lshrrev_b32_e32 v148, 23, v150
	s_mov_b32 s14, exec_lo
	s_delay_alu instid0(VALU_DEP_2) | instskip(NEXT) | instid1(VALU_DEP_2)
	v_add_nc_u32_e32 v146, v146, v150
	v_xor_b32_e32 v148, 1, v148
	s_delay_alu instid0(VALU_DEP_2) | instskip(NEXT) | instid1(VALU_DEP_1)
	v_and_b32_e32 v9, 0x1fffff, v146
	v_add_nc_u32_e32 v146, v9, v150
                                        ; implicit-def: $vgpr9
	s_delay_alu instid0(VALU_DEP_3)
	v_cmpx_ne_u32_e64 v147, v148
	s_xor_b32 s14, exec_lo, s14
; %bb.4055:                             ;   in Loop: Header=BB2_3931 Depth=3
	s_delay_alu instid0(VALU_DEP_2) | instskip(SKIP_2) | instid1(VALU_DEP_2)
	v_cmp_lt_u32_e32 vcc_lo, 0xffffff, v146
	v_sub_nc_u32_e32 v9, v147, v148
	v_cndmask_b32_e64 v147, 0, 1, vcc_lo
	v_add_co_ci_u32_e32 v9, vcc_lo, 0, v9, vcc_lo
	s_delay_alu instid0(VALU_DEP_2)
	v_lshrrev_b32_e32 v146, v147, v146
; %bb.4056:                             ;   in Loop: Header=BB2_3931 Depth=3
	s_and_not1_saveexec_b32 s14, s14
; %bb.4057:                             ;   in Loop: Header=BB2_3931 Depth=3
	s_delay_alu instid0(VALU_DEP_1)
	v_bfe_u32 v9, v146, 23, 1
; %bb.4058:                             ;   in Loop: Header=BB2_3931 Depth=3
	s_or_b32 exec_lo, exec_lo, s14
	v_lshrrev_b32_e32 v146, 21, v146
	s_delay_alu instid0(VALU_DEP_2) | instskip(SKIP_2) | instid1(VALU_DEP_4)
	v_cmp_gt_i32_e32 vcc_lo, 32, v9
	v_lshrrev_b32_e32 v8, 24, v8
	v_min_i32_e32 v147, 31, v9
	v_cndmask_b32_e32 v146, 3, v146, vcc_lo
	s_delay_alu instid0(VALU_DEP_3) | instskip(NEXT) | instid1(VALU_DEP_3)
	v_and_b32_e32 v8, 0x80, v8
	v_lshlrev_b32_e32 v147, 2, v147
	s_delay_alu instid0(VALU_DEP_3) | instskip(SKIP_1) | instid1(VALU_DEP_2)
	v_and_b32_e32 v148, 3, v146
	v_or_b32_e32 v9, v9, v146
	v_or3_b32 v8, v147, v8, v148
	s_delay_alu instid0(VALU_DEP_2) | instskip(NEXT) | instid1(VALU_DEP_2)
	v_cmp_ne_u32_e32 vcc_lo, 0, v9
	v_cndmask_b32_e32 v160, 0, v8, vcc_lo
.LBB2_4059:                             ;   in Loop: Header=BB2_3931 Depth=3
	s_or_b32 exec_lo, exec_lo, s35
.LBB2_4060:                             ;   in Loop: Header=BB2_3931 Depth=3
	s_delay_alu instid0(SALU_CYCLE_1) | instskip(SKIP_3) | instid1(VALU_DEP_1)
	s_or_b32 exec_lo, exec_lo, s34
	v_lshrrev_b32_e32 v8, 16, v10
	s_mov_b32 s14, 0
	s_mov_b32 s35, exec_lo
                                        ; implicit-def: $sgpr34
	v_and_b32_e32 v146, 0xff, v8
	s_delay_alu instid0(VALU_DEP_1)
	v_cmpx_lt_i16_e64 0x7f, v146
	s_xor_b32 s35, exec_lo, s35
	s_cbranch_execnz .LBB2_4431
; %bb.4061:                             ;   in Loop: Header=BB2_3931 Depth=3
	s_or_saveexec_b32 s35, s35
	v_mov_b32_e32 v9, s34
	s_xor_b32 exec_lo, exec_lo, s35
	s_cbranch_execnz .LBB2_4434
.LBB2_4062:                             ;   in Loop: Header=BB2_3931 Depth=3
	s_or_b32 exec_lo, exec_lo, s35
	s_and_saveexec_b32 s34, s14
	s_cbranch_execz .LBB2_4064
.LBB2_4063:                             ;   in Loop: Header=BB2_3931 Depth=3
	v_bfe_u32 v9, v10, 16, 2
	v_lshlrev_b32_e32 v148, 8, v10
	s_delay_alu instid0(VALU_DEP_2) | instskip(NEXT) | instid1(VALU_DEP_1)
	v_clz_i32_u32_e32 v146, v9
	v_min_u32_e32 v146, 32, v146
	s_delay_alu instid0(VALU_DEP_1) | instskip(SKIP_1) | instid1(VALU_DEP_2)
	v_subrev_nc_u32_e32 v147, 29, v146
	v_sub_nc_u32_e32 v146, 30, v146
	v_lshlrev_b32_e32 v8, v147, v8
	v_bfe_u32 v147, v10, 18, 5
	s_delay_alu instid0(VALU_DEP_2) | instskip(NEXT) | instid1(VALU_DEP_2)
	v_and_b32_e32 v8, 3, v8
	v_cmp_eq_u32_e32 vcc_lo, 0, v147
	v_cndmask_b32_e32 v146, v147, v146, vcc_lo
	s_delay_alu instid0(VALU_DEP_3) | instskip(SKIP_1) | instid1(VALU_DEP_3)
	v_cndmask_b32_e32 v8, v9, v8, vcc_lo
	v_and_b32_e32 v9, 0x80000000, v148
	v_lshl_add_u32 v146, v146, 23, 0x37800000
	s_delay_alu instid0(VALU_DEP_3) | instskip(NEXT) | instid1(VALU_DEP_1)
	v_lshlrev_b32_e32 v8, 21, v8
	v_or3_b32 v9, v9, v146, v8
.LBB2_4064:                             ;   in Loop: Header=BB2_3931 Depth=3
	s_or_b32 exec_lo, exec_lo, s34
	s_delay_alu instid0(VALU_DEP_1) | instskip(SKIP_1) | instid1(VALU_DEP_1)
	v_dual_mul_f32 v8, s15, v9 :: v_dual_mov_b32 v151, 0x80
	s_mov_b32 s34, exec_lo
	v_and_b32_e32 v9, 0x7f800000, v8
	s_delay_alu instid0(VALU_DEP_1)
	v_cmpx_ne_u32_e32 0x7f800000, v9
	s_cbranch_execz .LBB2_4072
; %bb.4065:                             ;   in Loop: Header=BB2_3931 Depth=3
	v_mov_b32_e32 v151, 0
	s_mov_b32 s35, exec_lo
	v_cmpx_ne_u32_e32 0, v8
	s_cbranch_execz .LBB2_4071
; %bb.4066:                             ;   in Loop: Header=BB2_3931 Depth=3
	v_bfe_u32 v9, v8, 23, 8
	s_delay_alu instid0(VALU_DEP_1) | instskip(SKIP_1) | instid1(VALU_DEP_2)
	v_sub_nc_u32_e32 v147, 0x70, v9
	v_cmp_gt_u32_e32 vcc_lo, 0x71, v9
	v_dual_cndmask_b32 v147, 0, v147 :: v_dual_and_b32 v146, 0x7fffff, v8
	s_delay_alu instid0(VALU_DEP_1) | instskip(SKIP_2) | instid1(VALU_DEP_4)
	v_or_b32_e32 v148, 0x800000, v146
	v_cmp_eq_u32_e32 vcc_lo, 0, v9
	v_add_nc_u32_e32 v9, 0xffffff91, v9
	v_cndmask_b32_e64 v147, v147, 0x6f, vcc_lo
	s_delay_alu instid0(VALU_DEP_4) | instskip(NEXT) | instid1(VALU_DEP_3)
	v_cndmask_b32_e32 v146, v148, v146, vcc_lo
	v_cndmask_b32_e64 v9, v9, 0xffffff92, vcc_lo
	s_delay_alu instid0(VALU_DEP_3) | instskip(NEXT) | instid1(VALU_DEP_3)
	v_lshl_add_u32 v148, 0x200000, v147, -1
	v_lshrrev_b32_e32 v150, v147, v146
	v_lshlrev_b32_e64 v161, v147, 0x100000
	s_delay_alu instid0(VALU_DEP_4) | instskip(NEXT) | instid1(VALU_DEP_4)
	v_add_nc_u32_e32 v147, v147, v9
	v_and_b32_e32 v146, v148, v146
	s_delay_alu instid0(VALU_DEP_4) | instskip(NEXT) | instid1(VALU_DEP_2)
	v_bfe_u32 v151, v150, 21, 1
	v_cmp_eq_u32_e64 s14, v146, v161
	s_delay_alu instid0(VALU_DEP_2) | instskip(NEXT) | instid1(VALU_DEP_1)
	v_add_nc_u32_e32 v148, -1, v151
	v_cndmask_b32_e64 v146, 0, v148, s14
	v_lshrrev_b32_e32 v148, 23, v150
	s_mov_b32 s14, exec_lo
	s_delay_alu instid0(VALU_DEP_2) | instskip(NEXT) | instid1(VALU_DEP_2)
	v_add_nc_u32_e32 v146, v146, v150
	v_xor_b32_e32 v148, 1, v148
	s_delay_alu instid0(VALU_DEP_2) | instskip(NEXT) | instid1(VALU_DEP_1)
	v_and_b32_e32 v9, 0x1fffff, v146
	v_add_nc_u32_e32 v146, v9, v150
                                        ; implicit-def: $vgpr9
	s_delay_alu instid0(VALU_DEP_3)
	v_cmpx_ne_u32_e64 v147, v148
	s_xor_b32 s14, exec_lo, s14
; %bb.4067:                             ;   in Loop: Header=BB2_3931 Depth=3
	s_delay_alu instid0(VALU_DEP_2) | instskip(SKIP_2) | instid1(VALU_DEP_2)
	v_cmp_lt_u32_e32 vcc_lo, 0xffffff, v146
	v_sub_nc_u32_e32 v9, v147, v148
	v_cndmask_b32_e64 v147, 0, 1, vcc_lo
	v_add_co_ci_u32_e32 v9, vcc_lo, 0, v9, vcc_lo
	s_delay_alu instid0(VALU_DEP_2)
	v_lshrrev_b32_e32 v146, v147, v146
; %bb.4068:                             ;   in Loop: Header=BB2_3931 Depth=3
	s_and_not1_saveexec_b32 s14, s14
; %bb.4069:                             ;   in Loop: Header=BB2_3931 Depth=3
	s_delay_alu instid0(VALU_DEP_1)
	v_bfe_u32 v9, v146, 23, 1
; %bb.4070:                             ;   in Loop: Header=BB2_3931 Depth=3
	s_or_b32 exec_lo, exec_lo, s14
	v_lshrrev_b32_e32 v146, 21, v146
	s_delay_alu instid0(VALU_DEP_2) | instskip(SKIP_2) | instid1(VALU_DEP_2)
	v_cmp_gt_i32_e32 vcc_lo, 32, v9
	v_min_i32_e32 v147, 31, v9
	v_lshrrev_b32_e32 v8, 24, v8
	v_dual_cndmask_b32 v146, 3, v146 :: v_dual_lshlrev_b32 v147, 2, v147
	s_delay_alu instid0(VALU_DEP_2) | instskip(NEXT) | instid1(VALU_DEP_2)
	v_and_b32_e32 v8, 0x80, v8
	v_or_b32_e32 v9, v9, v146
	s_delay_alu instid0(VALU_DEP_1) | instskip(SKIP_1) | instid1(VALU_DEP_1)
	v_cmp_ne_u32_e32 vcc_lo, 0, v9
	v_and_b32_e32 v148, 3, v146
	v_or3_b32 v8, v147, v8, v148
	s_delay_alu instid0(VALU_DEP_1)
	v_cndmask_b32_e32 v151, 0, v8, vcc_lo
.LBB2_4071:                             ;   in Loop: Header=BB2_3931 Depth=3
	s_or_b32 exec_lo, exec_lo, s35
.LBB2_4072:                             ;   in Loop: Header=BB2_3931 Depth=3
	s_delay_alu instid0(SALU_CYCLE_1) | instskip(SKIP_3) | instid1(VALU_DEP_1)
	s_or_b32 exec_lo, exec_lo, s34
	v_lshrrev_b32_e32 v8, 24, v10
	s_mov_b32 s14, 0
	s_mov_b32 s35, exec_lo
                                        ; implicit-def: $sgpr34
	v_cmpx_lt_i16_e32 0x7f, v8
	s_xor_b32 s35, exec_lo, s35
	s_cbranch_execnz .LBB2_4435
; %bb.4073:                             ;   in Loop: Header=BB2_3931 Depth=3
	s_or_saveexec_b32 s35, s35
	v_mov_b32_e32 v9, s34
	s_xor_b32 exec_lo, exec_lo, s35
	s_cbranch_execnz .LBB2_4438
.LBB2_4074:                             ;   in Loop: Header=BB2_3931 Depth=3
	s_or_b32 exec_lo, exec_lo, s35
	s_and_saveexec_b32 s34, s14
	s_cbranch_execz .LBB2_4076
.LBB2_4075:                             ;   in Loop: Header=BB2_3931 Depth=3
	v_bfe_u32 v9, v10, 24, 2
	s_delay_alu instid0(VALU_DEP_1) | instskip(NEXT) | instid1(VALU_DEP_1)
	v_clz_i32_u32_e32 v146, v9
	v_min_u32_e32 v146, 32, v146
	s_delay_alu instid0(VALU_DEP_1) | instskip(SKIP_1) | instid1(VALU_DEP_2)
	v_subrev_nc_u32_e32 v147, 29, v146
	v_sub_nc_u32_e32 v146, 30, v146
	v_lshlrev_b32_e32 v8, v147, v8
	v_bfe_u32 v147, v10, 26, 5
	s_delay_alu instid0(VALU_DEP_2) | instskip(NEXT) | instid1(VALU_DEP_2)
	v_and_b32_e32 v8, 3, v8
	v_cmp_eq_u32_e32 vcc_lo, 0, v147
	v_cndmask_b32_e32 v146, v147, v146, vcc_lo
	s_delay_alu instid0(VALU_DEP_3) | instskip(NEXT) | instid1(VALU_DEP_2)
	v_dual_cndmask_b32 v8, v9, v8 :: v_dual_and_b32 v9, 0x80000000, v10
	v_lshl_add_u32 v10, v146, 23, 0x37800000
	s_delay_alu instid0(VALU_DEP_2) | instskip(NEXT) | instid1(VALU_DEP_1)
	v_lshlrev_b32_e32 v8, 21, v8
	v_or3_b32 v9, v9, v10, v8
.LBB2_4076:                             ;   in Loop: Header=BB2_3931 Depth=3
	s_or_b32 exec_lo, exec_lo, s34
	s_delay_alu instid0(VALU_DEP_1) | instskip(SKIP_2) | instid1(VALU_DEP_2)
	v_mul_f32_e32 v8, s15, v9
	v_mov_b32_e32 v148, 0x80
	s_mov_b32 s34, exec_lo
	v_and_b32_e32 v9, 0x7f800000, v8
	s_delay_alu instid0(VALU_DEP_1)
	v_cmpx_ne_u32_e32 0x7f800000, v9
	s_cbranch_execz .LBB2_4084
; %bb.4077:                             ;   in Loop: Header=BB2_3931 Depth=3
	v_mov_b32_e32 v148, 0
	s_mov_b32 s35, exec_lo
	v_cmpx_ne_u32_e32 0, v8
	s_cbranch_execz .LBB2_4083
; %bb.4078:                             ;   in Loop: Header=BB2_3931 Depth=3
	v_bfe_u32 v9, v8, 23, 8
	v_and_b32_e32 v10, 0x7fffff, v8
	s_delay_alu instid0(VALU_DEP_2) | instskip(SKIP_1) | instid1(VALU_DEP_3)
	v_sub_nc_u32_e32 v146, 0x70, v9
	v_cmp_gt_u32_e32 vcc_lo, 0x71, v9
	v_or_b32_e32 v147, 0x800000, v10
	s_delay_alu instid0(VALU_DEP_3) | instskip(SKIP_2) | instid1(VALU_DEP_3)
	v_cndmask_b32_e32 v146, 0, v146, vcc_lo
	v_cmp_eq_u32_e32 vcc_lo, 0, v9
	v_add_nc_u32_e32 v9, 0xffffff91, v9
	v_cndmask_b32_e64 v146, v146, 0x6f, vcc_lo
	v_cndmask_b32_e32 v10, v147, v10, vcc_lo
	s_delay_alu instid0(VALU_DEP_3) | instskip(NEXT) | instid1(VALU_DEP_3)
	v_cndmask_b32_e64 v9, v9, 0xffffff92, vcc_lo
	v_lshl_add_u32 v147, 0x200000, v146, -1
	s_delay_alu instid0(VALU_DEP_3) | instskip(SKIP_1) | instid1(VALU_DEP_4)
	v_lshrrev_b32_e32 v148, v146, v10
	v_lshlrev_b32_e64 v161, v146, 0x100000
	v_add_nc_u32_e32 v146, v146, v9
	s_delay_alu instid0(VALU_DEP_4) | instskip(NEXT) | instid1(VALU_DEP_4)
	v_and_b32_e32 v10, v147, v10
	v_bfe_u32 v150, v148, 21, 1
	s_delay_alu instid0(VALU_DEP_2) | instskip(NEXT) | instid1(VALU_DEP_2)
	v_cmp_eq_u32_e64 s14, v10, v161
	v_add_nc_u32_e32 v147, -1, v150
	s_delay_alu instid0(VALU_DEP_1) | instskip(SKIP_2) | instid1(VALU_DEP_2)
	v_cndmask_b32_e64 v10, 0, v147, s14
	v_lshrrev_b32_e32 v147, 23, v148
	s_mov_b32 s14, exec_lo
	v_add_nc_u32_e32 v10, v10, v148
	s_delay_alu instid0(VALU_DEP_2) | instskip(NEXT) | instid1(VALU_DEP_2)
	v_xor_b32_e32 v147, 1, v147
	v_and_b32_e32 v9, 0x1fffff, v10
	s_delay_alu instid0(VALU_DEP_1) | instskip(NEXT) | instid1(VALU_DEP_3)
	v_add_nc_u32_e32 v10, v9, v148
                                        ; implicit-def: $vgpr9
	v_cmpx_ne_u32_e64 v146, v147
	s_xor_b32 s14, exec_lo, s14
; %bb.4079:                             ;   in Loop: Header=BB2_3931 Depth=3
	s_delay_alu instid0(VALU_DEP_2) | instskip(SKIP_2) | instid1(VALU_DEP_2)
	v_cmp_lt_u32_e32 vcc_lo, 0xffffff, v10
	v_sub_nc_u32_e32 v9, v146, v147
	v_cndmask_b32_e64 v146, 0, 1, vcc_lo
	v_add_co_ci_u32_e32 v9, vcc_lo, 0, v9, vcc_lo
	s_delay_alu instid0(VALU_DEP_2)
	v_lshrrev_b32_e32 v10, v146, v10
; %bb.4080:                             ;   in Loop: Header=BB2_3931 Depth=3
	s_and_not1_saveexec_b32 s14, s14
; %bb.4081:                             ;   in Loop: Header=BB2_3931 Depth=3
	s_delay_alu instid0(VALU_DEP_1)
	v_bfe_u32 v9, v10, 23, 1
; %bb.4082:                             ;   in Loop: Header=BB2_3931 Depth=3
	s_or_b32 exec_lo, exec_lo, s14
	v_lshrrev_b32_e32 v10, 21, v10
	s_delay_alu instid0(VALU_DEP_2) | instskip(SKIP_2) | instid1(VALU_DEP_4)
	v_cmp_gt_i32_e32 vcc_lo, 32, v9
	v_lshrrev_b32_e32 v8, 24, v8
	v_min_i32_e32 v146, 31, v9
	v_cndmask_b32_e32 v10, 3, v10, vcc_lo
	s_delay_alu instid0(VALU_DEP_3) | instskip(NEXT) | instid1(VALU_DEP_3)
	v_and_b32_e32 v8, 0x80, v8
	v_lshlrev_b32_e32 v146, 2, v146
	s_delay_alu instid0(VALU_DEP_3) | instskip(NEXT) | instid1(VALU_DEP_1)
	v_or_b32_e32 v9, v9, v10
	v_cmp_ne_u32_e32 vcc_lo, 0, v9
	v_and_b32_e32 v147, 3, v10
	s_delay_alu instid0(VALU_DEP_1) | instskip(NEXT) | instid1(VALU_DEP_1)
	v_or3_b32 v8, v146, v8, v147
	v_cndmask_b32_e32 v148, 0, v8, vcc_lo
.LBB2_4083:                             ;   in Loop: Header=BB2_3931 Depth=3
	s_or_b32 exec_lo, exec_lo, s35
.LBB2_4084:                             ;   in Loop: Header=BB2_3931 Depth=3
	s_delay_alu instid0(SALU_CYCLE_1) | instskip(SKIP_3) | instid1(VALU_DEP_1)
	s_or_b32 exec_lo, exec_lo, s34
	v_and_b32_e32 v9, 0xff, v11
	s_mov_b32 s14, 0
	s_mov_b32 s35, exec_lo
                                        ; implicit-def: $sgpr34
	v_cmpx_lt_i16_e32 0x7f, v9
	s_xor_b32 s35, exec_lo, s35
	s_cbranch_execnz .LBB2_4439
; %bb.4085:                             ;   in Loop: Header=BB2_3931 Depth=3
	s_or_saveexec_b32 s35, s35
	v_mov_b32_e32 v8, s34
	s_xor_b32 exec_lo, exec_lo, s35
	s_cbranch_execnz .LBB2_4442
.LBB2_4086:                             ;   in Loop: Header=BB2_3931 Depth=3
	s_or_b32 exec_lo, exec_lo, s35
	s_and_saveexec_b32 s34, s14
	s_cbranch_execz .LBB2_4088
.LBB2_4087:                             ;   in Loop: Header=BB2_3931 Depth=3
	v_bfe_u32 v146, v11, 2, 5
	s_delay_alu instid0(VALU_DEP_1) | instskip(SKIP_1) | instid1(VALU_DEP_1)
	v_cmp_eq_u32_e32 vcc_lo, 0, v146
	v_and_b32_e32 v8, 3, v11
	v_clz_i32_u32_e32 v9, v8
	s_delay_alu instid0(VALU_DEP_1) | instskip(NEXT) | instid1(VALU_DEP_1)
	v_min_u32_e32 v9, 32, v9
	v_subrev_nc_u32_e32 v10, 29, v9
	v_sub_nc_u32_e32 v9, 30, v9
	s_delay_alu instid0(VALU_DEP_2) | instskip(NEXT) | instid1(VALU_DEP_1)
	v_lshlrev_b32_e32 v10, v10, v11
	v_dual_cndmask_b32 v9, v146, v9 :: v_dual_and_b32 v10, 3, v10
	v_lshlrev_b32_e32 v147, 24, v11
	s_delay_alu instid0(VALU_DEP_2) | instskip(NEXT) | instid1(VALU_DEP_3)
	v_lshl_add_u32 v9, v9, 23, 0x37800000
	v_cndmask_b32_e32 v8, v8, v10, vcc_lo
	s_delay_alu instid0(VALU_DEP_3) | instskip(NEXT) | instid1(VALU_DEP_2)
	v_and_b32_e32 v10, 0x80000000, v147
	v_lshlrev_b32_e32 v8, 21, v8
	s_delay_alu instid0(VALU_DEP_1)
	v_or3_b32 v8, v10, v9, v8
.LBB2_4088:                             ;   in Loop: Header=BB2_3931 Depth=3
	s_or_b32 exec_lo, exec_lo, s34
	s_delay_alu instid0(VALU_DEP_1) | instskip(SKIP_1) | instid1(VALU_DEP_1)
	v_dual_mul_f32 v8, s15, v8 :: v_dual_mov_b32 v147, 0x80
	s_mov_b32 s34, exec_lo
	v_and_b32_e32 v9, 0x7f800000, v8
	s_delay_alu instid0(VALU_DEP_1)
	v_cmpx_ne_u32_e32 0x7f800000, v9
	s_cbranch_execz .LBB2_4096
; %bb.4089:                             ;   in Loop: Header=BB2_3931 Depth=3
	v_mov_b32_e32 v147, 0
	s_mov_b32 s35, exec_lo
	v_cmpx_ne_u32_e32 0, v8
	s_cbranch_execz .LBB2_4095
; %bb.4090:                             ;   in Loop: Header=BB2_3931 Depth=3
	v_bfe_u32 v9, v8, 23, 8
	v_and_b32_e32 v10, 0x7fffff, v8
	s_delay_alu instid0(VALU_DEP_2) | instskip(SKIP_1) | instid1(VALU_DEP_3)
	v_sub_nc_u32_e32 v146, 0x70, v9
	v_cmp_gt_u32_e32 vcc_lo, 0x71, v9
	v_or_b32_e32 v147, 0x800000, v10
	s_delay_alu instid0(VALU_DEP_3) | instskip(SKIP_2) | instid1(VALU_DEP_3)
	v_cndmask_b32_e32 v146, 0, v146, vcc_lo
	v_cmp_eq_u32_e32 vcc_lo, 0, v9
	v_add_nc_u32_e32 v9, 0xffffff91, v9
	v_cndmask_b32_e64 v146, v146, 0x6f, vcc_lo
	v_cndmask_b32_e32 v10, v147, v10, vcc_lo
	s_delay_alu instid0(VALU_DEP_3) | instskip(NEXT) | instid1(VALU_DEP_3)
	v_cndmask_b32_e64 v9, v9, 0xffffff92, vcc_lo
	v_lshl_add_u32 v147, 0x200000, v146, -1
	s_delay_alu instid0(VALU_DEP_3) | instskip(SKIP_1) | instid1(VALU_DEP_4)
	v_lshrrev_b32_e32 v150, v146, v10
	v_lshlrev_b32_e64 v177, v146, 0x100000
	v_add_nc_u32_e32 v146, v146, v9
	s_delay_alu instid0(VALU_DEP_4) | instskip(NEXT) | instid1(VALU_DEP_4)
	v_and_b32_e32 v10, v147, v10
	v_bfe_u32 v161, v150, 21, 1
	s_delay_alu instid0(VALU_DEP_2) | instskip(NEXT) | instid1(VALU_DEP_2)
	v_cmp_eq_u32_e64 s14, v10, v177
	v_add_nc_u32_e32 v147, -1, v161
	s_delay_alu instid0(VALU_DEP_1) | instskip(SKIP_2) | instid1(VALU_DEP_2)
	v_cndmask_b32_e64 v10, 0, v147, s14
	v_lshrrev_b32_e32 v147, 23, v150
	s_mov_b32 s14, exec_lo
	v_add_nc_u32_e32 v10, v10, v150
	s_delay_alu instid0(VALU_DEP_2) | instskip(NEXT) | instid1(VALU_DEP_2)
	v_xor_b32_e32 v147, 1, v147
	v_and_b32_e32 v9, 0x1fffff, v10
	s_delay_alu instid0(VALU_DEP_1) | instskip(NEXT) | instid1(VALU_DEP_3)
	v_add_nc_u32_e32 v10, v9, v150
                                        ; implicit-def: $vgpr9
	v_cmpx_ne_u32_e64 v146, v147
	s_xor_b32 s14, exec_lo, s14
; %bb.4091:                             ;   in Loop: Header=BB2_3931 Depth=3
	s_delay_alu instid0(VALU_DEP_2) | instskip(SKIP_2) | instid1(VALU_DEP_2)
	v_cmp_lt_u32_e32 vcc_lo, 0xffffff, v10
	v_sub_nc_u32_e32 v9, v146, v147
	v_cndmask_b32_e64 v146, 0, 1, vcc_lo
	v_add_co_ci_u32_e32 v9, vcc_lo, 0, v9, vcc_lo
	s_delay_alu instid0(VALU_DEP_2)
	v_lshrrev_b32_e32 v10, v146, v10
; %bb.4092:                             ;   in Loop: Header=BB2_3931 Depth=3
	s_and_not1_saveexec_b32 s14, s14
; %bb.4093:                             ;   in Loop: Header=BB2_3931 Depth=3
	s_delay_alu instid0(VALU_DEP_1)
	v_bfe_u32 v9, v10, 23, 1
; %bb.4094:                             ;   in Loop: Header=BB2_3931 Depth=3
	s_or_b32 exec_lo, exec_lo, s14
	v_lshrrev_b32_e32 v10, 21, v10
	s_delay_alu instid0(VALU_DEP_2) | instskip(SKIP_2) | instid1(VALU_DEP_3)
	v_min_i32_e32 v146, 31, v9
	v_cmp_gt_i32_e32 vcc_lo, 32, v9
	v_lshrrev_b32_e32 v8, 24, v8
	v_lshlrev_b32_e32 v146, 2, v146
	v_cndmask_b32_e32 v10, 3, v10, vcc_lo
	s_delay_alu instid0(VALU_DEP_3) | instskip(NEXT) | instid1(VALU_DEP_3)
	v_and_b32_e32 v8, 0x80, v8
	v_and_b32_e32 v146, 0xfc, v146
	s_delay_alu instid0(VALU_DEP_3) | instskip(SKIP_1) | instid1(VALU_DEP_2)
	v_and_b32_e32 v147, 3, v10
	v_or_b32_e32 v9, v9, v10
	v_or3_b32 v8, v146, v8, v147
	s_delay_alu instid0(VALU_DEP_2) | instskip(NEXT) | instid1(VALU_DEP_2)
	v_cmp_ne_u32_e32 vcc_lo, 0, v9
	v_cndmask_b32_e32 v147, 0, v8, vcc_lo
.LBB2_4095:                             ;   in Loop: Header=BB2_3931 Depth=3
	s_or_b32 exec_lo, exec_lo, s35
.LBB2_4096:                             ;   in Loop: Header=BB2_3931 Depth=3
	s_delay_alu instid0(SALU_CYCLE_1) | instskip(SKIP_3) | instid1(VALU_DEP_1)
	s_or_b32 exec_lo, exec_lo, s34
	v_lshrrev_b16 v8, 8, v11
	s_mov_b32 s14, 0
	s_mov_b32 s35, exec_lo
                                        ; implicit-def: $sgpr34
	v_cmpx_lt_i16_e32 0x7f, v8
	s_xor_b32 s35, exec_lo, s35
	s_cbranch_execnz .LBB2_4443
; %bb.4097:                             ;   in Loop: Header=BB2_3931 Depth=3
	s_or_saveexec_b32 s35, s35
	v_mov_b32_e32 v9, s34
	s_xor_b32 exec_lo, exec_lo, s35
	s_cbranch_execnz .LBB2_4446
.LBB2_4098:                             ;   in Loop: Header=BB2_3931 Depth=3
	s_or_b32 exec_lo, exec_lo, s35
	s_and_saveexec_b32 s34, s14
	s_cbranch_execz .LBB2_4100
.LBB2_4099:                             ;   in Loop: Header=BB2_3931 Depth=3
	v_and_b32_e32 v9, 0xffff, v8
	v_lshlrev_b32_e32 v8, 24, v8
	s_delay_alu instid0(VALU_DEP_2) | instskip(NEXT) | instid1(VALU_DEP_2)
	v_and_b32_e32 v10, 3, v9
	v_and_b32_e32 v8, 0x80000000, v8
	s_delay_alu instid0(VALU_DEP_2) | instskip(NEXT) | instid1(VALU_DEP_1)
	v_clz_i32_u32_e32 v146, v10
	v_min_u32_e32 v146, 32, v146
	s_delay_alu instid0(VALU_DEP_1) | instskip(SKIP_1) | instid1(VALU_DEP_2)
	v_subrev_nc_u32_e32 v150, 29, v146
	v_sub_nc_u32_e32 v146, 30, v146
	v_lshlrev_b32_e32 v150, v150, v9
	v_bfe_u32 v9, v9, 2, 5
	s_delay_alu instid0(VALU_DEP_2) | instskip(NEXT) | instid1(VALU_DEP_2)
	v_and_b32_e32 v150, 3, v150
	v_cmp_eq_u32_e32 vcc_lo, 0, v9
	v_cndmask_b32_e32 v9, v9, v146, vcc_lo
	s_delay_alu instid0(VALU_DEP_3) | instskip(NEXT) | instid1(VALU_DEP_2)
	v_cndmask_b32_e32 v10, v10, v150, vcc_lo
	v_lshl_add_u32 v9, v9, 23, 0x37800000
	s_delay_alu instid0(VALU_DEP_2) | instskip(NEXT) | instid1(VALU_DEP_1)
	v_lshlrev_b32_e32 v10, 21, v10
	v_or3_b32 v9, v8, v9, v10
.LBB2_4100:                             ;   in Loop: Header=BB2_3931 Depth=3
	s_or_b32 exec_lo, exec_lo, s34
	s_delay_alu instid0(VALU_DEP_1) | instskip(SKIP_1) | instid1(VALU_DEP_1)
	v_dual_mul_f32 v8, s15, v9 :: v_dual_mov_b32 v161, 0x8000
	s_mov_b32 s34, exec_lo
	v_and_b32_e32 v9, 0x7f800000, v8
	s_delay_alu instid0(VALU_DEP_1)
	v_cmpx_ne_u32_e32 0x7f800000, v9
	s_cbranch_execz .LBB2_4108
; %bb.4101:                             ;   in Loop: Header=BB2_3931 Depth=3
	v_mov_b32_e32 v161, 0
	s_mov_b32 s35, exec_lo
	v_cmpx_ne_u32_e32 0, v8
	s_cbranch_execz .LBB2_4107
; %bb.4102:                             ;   in Loop: Header=BB2_3931 Depth=3
	v_bfe_u32 v9, v8, 23, 8
	v_and_b32_e32 v10, 0x7fffff, v8
	s_delay_alu instid0(VALU_DEP_2) | instskip(SKIP_1) | instid1(VALU_DEP_3)
	v_sub_nc_u32_e32 v146, 0x70, v9
	v_cmp_gt_u32_e32 vcc_lo, 0x71, v9
	v_or_b32_e32 v150, 0x800000, v10
	s_delay_alu instid0(VALU_DEP_3) | instskip(SKIP_2) | instid1(VALU_DEP_3)
	v_cndmask_b32_e32 v146, 0, v146, vcc_lo
	v_cmp_eq_u32_e32 vcc_lo, 0, v9
	v_add_nc_u32_e32 v9, 0xffffff91, v9
	v_cndmask_b32_e64 v146, v146, 0x6f, vcc_lo
	v_cndmask_b32_e32 v10, v150, v10, vcc_lo
	s_delay_alu instid0(VALU_DEP_3) | instskip(NEXT) | instid1(VALU_DEP_3)
	v_cndmask_b32_e64 v9, v9, 0xffffff92, vcc_lo
	v_lshl_add_u32 v150, 0x200000, v146, -1
	s_delay_alu instid0(VALU_DEP_3) | instskip(SKIP_1) | instid1(VALU_DEP_4)
	v_lshrrev_b32_e32 v161, v146, v10
	v_lshlrev_b32_e64 v178, v146, 0x100000
	v_add_nc_u32_e32 v146, v146, v9
	s_delay_alu instid0(VALU_DEP_4) | instskip(NEXT) | instid1(VALU_DEP_4)
	v_and_b32_e32 v10, v150, v10
	v_bfe_u32 v177, v161, 21, 1
	s_delay_alu instid0(VALU_DEP_2) | instskip(NEXT) | instid1(VALU_DEP_2)
	v_cmp_eq_u32_e64 s14, v10, v178
	v_add_nc_u32_e32 v150, -1, v177
	s_delay_alu instid0(VALU_DEP_1) | instskip(SKIP_2) | instid1(VALU_DEP_2)
	v_cndmask_b32_e64 v10, 0, v150, s14
	v_lshrrev_b32_e32 v150, 23, v161
	s_mov_b32 s14, exec_lo
	v_add_nc_u32_e32 v10, v10, v161
	s_delay_alu instid0(VALU_DEP_2) | instskip(NEXT) | instid1(VALU_DEP_2)
	v_xor_b32_e32 v150, 1, v150
	v_and_b32_e32 v9, 0x1fffff, v10
	s_delay_alu instid0(VALU_DEP_1) | instskip(NEXT) | instid1(VALU_DEP_3)
	v_add_nc_u32_e32 v10, v9, v161
                                        ; implicit-def: $vgpr9
	v_cmpx_ne_u32_e64 v146, v150
	s_xor_b32 s14, exec_lo, s14
; %bb.4103:                             ;   in Loop: Header=BB2_3931 Depth=3
	s_delay_alu instid0(VALU_DEP_2) | instskip(SKIP_2) | instid1(VALU_DEP_2)
	v_cmp_lt_u32_e32 vcc_lo, 0xffffff, v10
	v_sub_nc_u32_e32 v9, v146, v150
	v_cndmask_b32_e64 v146, 0, 1, vcc_lo
	v_add_co_ci_u32_e32 v9, vcc_lo, 0, v9, vcc_lo
	s_delay_alu instid0(VALU_DEP_2)
	v_lshrrev_b32_e32 v10, v146, v10
; %bb.4104:                             ;   in Loop: Header=BB2_3931 Depth=3
	s_and_not1_saveexec_b32 s14, s14
; %bb.4105:                             ;   in Loop: Header=BB2_3931 Depth=3
	s_delay_alu instid0(VALU_DEP_1)
	v_bfe_u32 v9, v10, 23, 1
; %bb.4106:                             ;   in Loop: Header=BB2_3931 Depth=3
	s_or_b32 exec_lo, exec_lo, s14
	v_lshrrev_b32_e32 v10, 21, v10
	s_delay_alu instid0(VALU_DEP_2) | instskip(SKIP_2) | instid1(VALU_DEP_3)
	v_min_i32_e32 v146, 31, v9
	v_cmp_gt_i32_e32 vcc_lo, 32, v9
	v_lshrrev_b32_e32 v8, 24, v8
	v_lshlrev_b32_e32 v146, 2, v146
	v_cndmask_b32_e32 v10, 3, v10, vcc_lo
	s_delay_alu instid0(VALU_DEP_3) | instskip(NEXT) | instid1(VALU_DEP_3)
	v_and_b32_e32 v8, 0x80, v8
	v_and_b32_e32 v146, 0xfc, v146
	s_delay_alu instid0(VALU_DEP_3) | instskip(SKIP_1) | instid1(VALU_DEP_2)
	v_and_b32_e32 v150, 3, v10
	v_or_b32_e32 v9, v9, v10
	v_or3_b32 v8, v8, v146, v150
	s_delay_alu instid0(VALU_DEP_2) | instskip(NEXT) | instid1(VALU_DEP_2)
	v_cmp_ne_u32_e32 vcc_lo, 0, v9
	v_lshlrev_b32_e32 v8, 8, v8
	s_delay_alu instid0(VALU_DEP_1)
	v_cndmask_b32_e32 v161, 0, v8, vcc_lo
.LBB2_4107:                             ;   in Loop: Header=BB2_3931 Depth=3
	s_or_b32 exec_lo, exec_lo, s35
.LBB2_4108:                             ;   in Loop: Header=BB2_3931 Depth=3
	s_delay_alu instid0(SALU_CYCLE_1) | instskip(SKIP_3) | instid1(VALU_DEP_1)
	s_or_b32 exec_lo, exec_lo, s34
	v_lshrrev_b32_e32 v8, 16, v11
	s_mov_b32 s14, 0
	s_mov_b32 s35, exec_lo
                                        ; implicit-def: $sgpr34
	v_and_b32_e32 v10, 0xff, v8
	s_delay_alu instid0(VALU_DEP_1)
	v_cmpx_lt_i16_e32 0x7f, v10
	s_xor_b32 s35, exec_lo, s35
	s_cbranch_execnz .LBB2_4447
; %bb.4109:                             ;   in Loop: Header=BB2_3931 Depth=3
	s_or_saveexec_b32 s35, s35
	v_mov_b32_e32 v9, s34
	s_xor_b32 exec_lo, exec_lo, s35
	s_cbranch_execnz .LBB2_4450
.LBB2_4110:                             ;   in Loop: Header=BB2_3931 Depth=3
	s_or_b32 exec_lo, exec_lo, s35
	s_and_saveexec_b32 s34, s14
	s_cbranch_execz .LBB2_4112
.LBB2_4111:                             ;   in Loop: Header=BB2_3931 Depth=3
	v_bfe_u32 v9, v11, 16, 2
	v_lshlrev_b32_e32 v150, 8, v11
	s_delay_alu instid0(VALU_DEP_2) | instskip(NEXT) | instid1(VALU_DEP_1)
	v_clz_i32_u32_e32 v10, v9
	v_min_u32_e32 v10, 32, v10
	s_delay_alu instid0(VALU_DEP_1) | instskip(SKIP_1) | instid1(VALU_DEP_2)
	v_subrev_nc_u32_e32 v146, 29, v10
	v_sub_nc_u32_e32 v10, 30, v10
	v_lshlrev_b32_e32 v8, v146, v8
	v_bfe_u32 v146, v11, 18, 5
	s_delay_alu instid0(VALU_DEP_2) | instskip(NEXT) | instid1(VALU_DEP_2)
	v_and_b32_e32 v8, 3, v8
	v_cmp_eq_u32_e32 vcc_lo, 0, v146
	v_cndmask_b32_e32 v10, v146, v10, vcc_lo
	s_delay_alu instid0(VALU_DEP_3) | instskip(NEXT) | instid1(VALU_DEP_2)
	v_dual_cndmask_b32 v8, v9, v8 :: v_dual_and_b32 v9, 0x80000000, v150
	v_lshl_add_u32 v10, v10, 23, 0x37800000
	s_delay_alu instid0(VALU_DEP_2) | instskip(NEXT) | instid1(VALU_DEP_1)
	v_lshlrev_b32_e32 v8, 21, v8
	v_or3_b32 v9, v9, v10, v8
.LBB2_4112:                             ;   in Loop: Header=BB2_3931 Depth=3
	s_or_b32 exec_lo, exec_lo, s34
	s_delay_alu instid0(VALU_DEP_1) | instskip(SKIP_2) | instid1(VALU_DEP_2)
	v_mul_f32_e32 v8, s15, v9
	v_mov_b32_e32 v146, 0x80
	s_mov_b32 s34, exec_lo
	v_and_b32_e32 v9, 0x7f800000, v8
	s_delay_alu instid0(VALU_DEP_1)
	v_cmpx_ne_u32_e32 0x7f800000, v9
	s_cbranch_execz .LBB2_4120
; %bb.4113:                             ;   in Loop: Header=BB2_3931 Depth=3
	v_mov_b32_e32 v146, 0
	s_mov_b32 s35, exec_lo
	v_cmpx_ne_u32_e32 0, v8
	s_cbranch_execz .LBB2_4119
; %bb.4114:                             ;   in Loop: Header=BB2_3931 Depth=3
	v_bfe_u32 v9, v8, 23, 8
	v_and_b32_e32 v10, 0x7fffff, v8
	s_delay_alu instid0(VALU_DEP_2) | instskip(SKIP_1) | instid1(VALU_DEP_3)
	v_sub_nc_u32_e32 v146, 0x70, v9
	v_cmp_gt_u32_e32 vcc_lo, 0x71, v9
	v_or_b32_e32 v150, 0x800000, v10
	s_delay_alu instid0(VALU_DEP_3) | instskip(SKIP_2) | instid1(VALU_DEP_3)
	v_cndmask_b32_e32 v146, 0, v146, vcc_lo
	v_cmp_eq_u32_e32 vcc_lo, 0, v9
	v_add_nc_u32_e32 v9, 0xffffff91, v9
	v_cndmask_b32_e64 v146, v146, 0x6f, vcc_lo
	v_cndmask_b32_e32 v10, v150, v10, vcc_lo
	s_delay_alu instid0(VALU_DEP_3) | instskip(NEXT) | instid1(VALU_DEP_3)
	v_cndmask_b32_e64 v9, v9, 0xffffff92, vcc_lo
	v_lshl_add_u32 v150, 0x200000, v146, -1
	s_delay_alu instid0(VALU_DEP_3) | instskip(SKIP_1) | instid1(VALU_DEP_4)
	v_lshrrev_b32_e32 v177, v146, v10
	v_lshlrev_b32_e64 v179, v146, 0x100000
	v_add_nc_u32_e32 v146, v146, v9
	s_delay_alu instid0(VALU_DEP_4) | instskip(NEXT) | instid1(VALU_DEP_4)
	v_and_b32_e32 v10, v150, v10
	v_bfe_u32 v178, v177, 21, 1
	s_delay_alu instid0(VALU_DEP_2) | instskip(NEXT) | instid1(VALU_DEP_2)
	v_cmp_eq_u32_e64 s14, v10, v179
	v_add_nc_u32_e32 v150, -1, v178
	s_delay_alu instid0(VALU_DEP_1) | instskip(SKIP_2) | instid1(VALU_DEP_2)
	v_cndmask_b32_e64 v10, 0, v150, s14
	v_lshrrev_b32_e32 v150, 23, v177
	s_mov_b32 s14, exec_lo
	v_add_nc_u32_e32 v10, v10, v177
	s_delay_alu instid0(VALU_DEP_2) | instskip(NEXT) | instid1(VALU_DEP_2)
	v_xor_b32_e32 v150, 1, v150
	v_and_b32_e32 v9, 0x1fffff, v10
	s_delay_alu instid0(VALU_DEP_1) | instskip(NEXT) | instid1(VALU_DEP_3)
	v_add_nc_u32_e32 v10, v9, v177
                                        ; implicit-def: $vgpr9
	v_cmpx_ne_u32_e64 v146, v150
	s_xor_b32 s14, exec_lo, s14
; %bb.4115:                             ;   in Loop: Header=BB2_3931 Depth=3
	s_delay_alu instid0(VALU_DEP_2) | instskip(SKIP_2) | instid1(VALU_DEP_2)
	v_cmp_lt_u32_e32 vcc_lo, 0xffffff, v10
	v_sub_nc_u32_e32 v9, v146, v150
	v_cndmask_b32_e64 v146, 0, 1, vcc_lo
	v_add_co_ci_u32_e32 v9, vcc_lo, 0, v9, vcc_lo
	s_delay_alu instid0(VALU_DEP_2)
	v_lshrrev_b32_e32 v10, v146, v10
; %bb.4116:                             ;   in Loop: Header=BB2_3931 Depth=3
	s_and_not1_saveexec_b32 s14, s14
; %bb.4117:                             ;   in Loop: Header=BB2_3931 Depth=3
	s_delay_alu instid0(VALU_DEP_1)
	v_bfe_u32 v9, v10, 23, 1
; %bb.4118:                             ;   in Loop: Header=BB2_3931 Depth=3
	s_or_b32 exec_lo, exec_lo, s14
	v_lshrrev_b32_e32 v10, 21, v10
	s_delay_alu instid0(VALU_DEP_2) | instskip(SKIP_2) | instid1(VALU_DEP_3)
	v_min_i32_e32 v146, 31, v9
	v_cmp_gt_i32_e32 vcc_lo, 32, v9
	v_lshrrev_b32_e32 v8, 24, v8
	v_lshlrev_b32_e32 v146, 2, v146
	v_cndmask_b32_e32 v10, 3, v10, vcc_lo
	s_delay_alu instid0(VALU_DEP_3) | instskip(NEXT) | instid1(VALU_DEP_3)
	v_and_b32_e32 v8, 0x80, v8
	v_and_b32_e32 v146, 0xfc, v146
	s_delay_alu instid0(VALU_DEP_3) | instskip(SKIP_1) | instid1(VALU_DEP_2)
	v_and_b32_e32 v150, 3, v10
	v_or_b32_e32 v9, v9, v10
	v_or3_b32 v8, v146, v8, v150
	s_delay_alu instid0(VALU_DEP_2) | instskip(NEXT) | instid1(VALU_DEP_2)
	v_cmp_ne_u32_e32 vcc_lo, 0, v9
	v_cndmask_b32_e32 v146, 0, v8, vcc_lo
.LBB2_4119:                             ;   in Loop: Header=BB2_3931 Depth=3
	s_or_b32 exec_lo, exec_lo, s35
.LBB2_4120:                             ;   in Loop: Header=BB2_3931 Depth=3
	s_delay_alu instid0(SALU_CYCLE_1) | instskip(SKIP_3) | instid1(VALU_DEP_1)
	s_or_b32 exec_lo, exec_lo, s34
	v_lshrrev_b32_e32 v8, 24, v11
	s_mov_b32 s14, 0
	s_mov_b32 s35, exec_lo
                                        ; implicit-def: $sgpr34
	v_cmpx_lt_i16_e32 0x7f, v8
	s_xor_b32 s35, exec_lo, s35
	s_cbranch_execnz .LBB2_4451
; %bb.4121:                             ;   in Loop: Header=BB2_3931 Depth=3
	s_or_saveexec_b32 s35, s35
	v_mov_b32_e32 v9, s34
	s_xor_b32 exec_lo, exec_lo, s35
	s_cbranch_execnz .LBB2_4454
.LBB2_4122:                             ;   in Loop: Header=BB2_3931 Depth=3
	s_or_b32 exec_lo, exec_lo, s35
	s_and_saveexec_b32 s34, s14
	s_cbranch_execz .LBB2_4124
.LBB2_4123:                             ;   in Loop: Header=BB2_3931 Depth=3
	v_bfe_u32 v9, v11, 24, 2
	s_delay_alu instid0(VALU_DEP_1) | instskip(NEXT) | instid1(VALU_DEP_1)
	v_clz_i32_u32_e32 v10, v9
	v_min_u32_e32 v10, 32, v10
	s_delay_alu instid0(VALU_DEP_1) | instskip(SKIP_1) | instid1(VALU_DEP_2)
	v_subrev_nc_u32_e32 v150, 29, v10
	v_sub_nc_u32_e32 v10, 30, v10
	v_lshlrev_b32_e32 v8, v150, v8
	v_bfe_u32 v150, v11, 26, 5
	s_delay_alu instid0(VALU_DEP_2) | instskip(NEXT) | instid1(VALU_DEP_2)
	v_and_b32_e32 v8, 3, v8
	v_cmp_eq_u32_e32 vcc_lo, 0, v150
	v_cndmask_b32_e32 v10, v150, v10, vcc_lo
	s_delay_alu instid0(VALU_DEP_3) | instskip(NEXT) | instid1(VALU_DEP_2)
	v_dual_cndmask_b32 v8, v9, v8 :: v_dual_and_b32 v9, 0x80000000, v11
	v_lshl_add_u32 v10, v10, 23, 0x37800000
	s_delay_alu instid0(VALU_DEP_2) | instskip(NEXT) | instid1(VALU_DEP_1)
	v_lshlrev_b32_e32 v8, 21, v8
	v_or3_b32 v9, v9, v10, v8
.LBB2_4124:                             ;   in Loop: Header=BB2_3931 Depth=3
	s_or_b32 exec_lo, exec_lo, s34
	s_delay_alu instid0(VALU_DEP_1) | instskip(SKIP_2) | instid1(VALU_DEP_2)
	v_mul_f32_e32 v8, s15, v9
	v_mov_b32_e32 v150, 0x8000
	s_mov_b32 s15, exec_lo
	v_and_b32_e32 v9, 0x7f800000, v8
	s_delay_alu instid0(VALU_DEP_1)
	v_cmpx_ne_u32_e32 0x7f800000, v9
	s_cbranch_execz .LBB2_4132
; %bb.4125:                             ;   in Loop: Header=BB2_3931 Depth=3
	v_mov_b32_e32 v150, 0
	s_mov_b32 s34, exec_lo
	v_cmpx_ne_u32_e32 0, v8
	s_cbranch_execz .LBB2_4131
; %bb.4126:                             ;   in Loop: Header=BB2_3931 Depth=3
	v_bfe_u32 v9, v8, 23, 8
	s_delay_alu instid0(VALU_DEP_1) | instskip(SKIP_1) | instid1(VALU_DEP_2)
	v_sub_nc_u32_e32 v11, 0x70, v9
	v_cmp_gt_u32_e32 vcc_lo, 0x71, v9
	v_dual_cndmask_b32 v11, 0, v11 :: v_dual_and_b32 v10, 0x7fffff, v8
	s_delay_alu instid0(VALU_DEP_1) | instskip(SKIP_2) | instid1(VALU_DEP_4)
	v_or_b32_e32 v150, 0x800000, v10
	v_cmp_eq_u32_e32 vcc_lo, 0, v9
	v_add_nc_u32_e32 v9, 0xffffff91, v9
	v_cndmask_b32_e64 v11, v11, 0x6f, vcc_lo
	s_delay_alu instid0(VALU_DEP_4) | instskip(NEXT) | instid1(VALU_DEP_3)
	v_cndmask_b32_e32 v10, v150, v10, vcc_lo
	v_cndmask_b32_e64 v9, v9, 0xffffff92, vcc_lo
	s_delay_alu instid0(VALU_DEP_3) | instskip(NEXT) | instid1(VALU_DEP_3)
	v_lshl_add_u32 v150, 0x200000, v11, -1
	v_lshrrev_b32_e32 v177, v11, v10
	v_lshlrev_b32_e64 v179, v11, 0x100000
	s_delay_alu instid0(VALU_DEP_4) | instskip(NEXT) | instid1(VALU_DEP_4)
	v_add_nc_u32_e32 v11, v11, v9
	v_and_b32_e32 v10, v150, v10
	s_delay_alu instid0(VALU_DEP_4) | instskip(NEXT) | instid1(VALU_DEP_2)
	v_bfe_u32 v178, v177, 21, 1
	v_cmp_eq_u32_e64 s14, v10, v179
	s_delay_alu instid0(VALU_DEP_2) | instskip(NEXT) | instid1(VALU_DEP_1)
	v_add_nc_u32_e32 v150, -1, v178
	v_cndmask_b32_e64 v10, 0, v150, s14
	v_lshrrev_b32_e32 v150, 23, v177
	s_mov_b32 s14, exec_lo
	s_delay_alu instid0(VALU_DEP_2) | instskip(NEXT) | instid1(VALU_DEP_2)
	v_add_nc_u32_e32 v10, v10, v177
	v_xor_b32_e32 v150, 1, v150
	s_delay_alu instid0(VALU_DEP_2) | instskip(NEXT) | instid1(VALU_DEP_1)
	v_and_b32_e32 v9, 0x1fffff, v10
	v_add_nc_u32_e32 v10, v9, v177
                                        ; implicit-def: $vgpr9
	s_delay_alu instid0(VALU_DEP_3)
	v_cmpx_ne_u32_e64 v11, v150
	s_xor_b32 s14, exec_lo, s14
; %bb.4127:                             ;   in Loop: Header=BB2_3931 Depth=3
	s_delay_alu instid0(VALU_DEP_2) | instskip(SKIP_2) | instid1(VALU_DEP_2)
	v_cmp_lt_u32_e32 vcc_lo, 0xffffff, v10
	v_sub_nc_u32_e32 v9, v11, v150
	v_cndmask_b32_e64 v11, 0, 1, vcc_lo
	v_add_co_ci_u32_e32 v9, vcc_lo, 0, v9, vcc_lo
	s_delay_alu instid0(VALU_DEP_2)
	v_lshrrev_b32_e32 v10, v11, v10
; %bb.4128:                             ;   in Loop: Header=BB2_3931 Depth=3
	s_and_not1_saveexec_b32 s14, s14
; %bb.4129:                             ;   in Loop: Header=BB2_3931 Depth=3
	s_delay_alu instid0(VALU_DEP_1)
	v_bfe_u32 v9, v10, 23, 1
; %bb.4130:                             ;   in Loop: Header=BB2_3931 Depth=3
	s_or_b32 exec_lo, exec_lo, s14
	v_lshrrev_b32_e32 v10, 21, v10
	s_delay_alu instid0(VALU_DEP_2) | instskip(SKIP_2) | instid1(VALU_DEP_2)
	v_cmp_gt_i32_e32 vcc_lo, 32, v9
	v_min_i32_e32 v11, 31, v9
	v_lshrrev_b32_e32 v8, 24, v8
	v_dual_cndmask_b32 v10, 3, v10 :: v_dual_lshlrev_b32 v11, 2, v11
	s_delay_alu instid0(VALU_DEP_2) | instskip(NEXT) | instid1(VALU_DEP_2)
	v_and_b32_e32 v8, 0x80, v8
	v_or_b32_e32 v9, v9, v10
	v_and_b32_e32 v150, 3, v10
	s_delay_alu instid0(VALU_DEP_2) | instskip(SKIP_1) | instid1(VALU_DEP_1)
	v_cmp_ne_u32_e32 vcc_lo, 0, v9
	v_and_b32_e32 v11, 0xfc, v11
	v_or3_b32 v8, v8, v11, v150
	s_delay_alu instid0(VALU_DEP_1) | instskip(NEXT) | instid1(VALU_DEP_1)
	v_lshlrev_b32_e32 v8, 8, v8
	v_cndmask_b32_e32 v150, 0, v8, vcc_lo
.LBB2_4131:                             ;   in Loop: Header=BB2_3931 Depth=3
	s_or_b32 exec_lo, exec_lo, s34
.LBB2_4132:                             ;   in Loop: Header=BB2_3931 Depth=3
	s_delay_alu instid0(SALU_CYCLE_1) | instskip(SKIP_4) | instid1(VALU_DEP_1)
	s_or_b32 exec_lo, exec_lo, s15
	global_load_b128 v[8:11], v[66:67], off slc dlc
	v_and_b32_e32 v178, 0xff, v145
	s_mov_b32 s14, 0
	s_mov_b32 s34, exec_lo
                                        ; implicit-def: $sgpr15
	v_cmpx_lt_i16_e64 0x7f, v178
	s_xor_b32 s34, exec_lo, s34
	s_cbranch_execnz .LBB2_4455
; %bb.4133:                             ;   in Loop: Header=BB2_3931 Depth=3
	s_or_saveexec_b32 s34, s34
	v_mov_b32_e32 v177, s15
	s_xor_b32 exec_lo, exec_lo, s34
	s_cbranch_execnz .LBB2_4458
.LBB2_4134:                             ;   in Loop: Header=BB2_3931 Depth=3
	s_or_b32 exec_lo, exec_lo, s34
	s_and_saveexec_b32 s15, s14
	s_cbranch_execz .LBB2_4136
.LBB2_4135:                             ;   in Loop: Header=BB2_3931 Depth=3
	v_bfe_u32 v180, v145, 2, 5
	s_delay_alu instid0(VALU_DEP_1) | instskip(SKIP_1) | instid1(VALU_DEP_1)
	v_cmp_eq_u32_e32 vcc_lo, 0, v180
	v_and_b32_e32 v177, 3, v145
	v_clz_i32_u32_e32 v178, v177
	s_delay_alu instid0(VALU_DEP_1) | instskip(NEXT) | instid1(VALU_DEP_1)
	v_min_u32_e32 v178, 32, v178
	v_subrev_nc_u32_e32 v179, 29, v178
	v_sub_nc_u32_e32 v178, 30, v178
	s_delay_alu instid0(VALU_DEP_1) | instskip(SKIP_1) | instid1(VALU_DEP_2)
	v_dual_cndmask_b32 v178, v180, v178 :: v_dual_lshlrev_b32 v179, v179, v145
	v_lshlrev_b32_e32 v145, 24, v145
	v_and_b32_e32 v179, 3, v179
	s_delay_alu instid0(VALU_DEP_3) | instskip(NEXT) | instid1(VALU_DEP_3)
	v_lshl_add_u32 v178, v178, 23, 0x37800000
	v_and_b32_e32 v145, 0x80000000, v145
	s_delay_alu instid0(VALU_DEP_3) | instskip(NEXT) | instid1(VALU_DEP_1)
	v_cndmask_b32_e32 v177, v177, v179, vcc_lo
	v_lshlrev_b32_e32 v177, 21, v177
	s_delay_alu instid0(VALU_DEP_1)
	v_or3_b32 v177, v145, v178, v177
.LBB2_4136:                             ;   in Loop: Header=BB2_3931 Depth=3
	s_or_b32 exec_lo, exec_lo, s15
	s_waitcnt vmcnt(0)
	v_and_b32_e32 v178, 0xff, v8
	s_mov_b32 s14, 0
	s_mov_b32 s34, exec_lo
                                        ; implicit-def: $sgpr15
	s_delay_alu instid0(VALU_DEP_1)
	v_cmpx_lt_i16_e64 0x7f, v178
	s_xor_b32 s34, exec_lo, s34
	s_cbranch_execnz .LBB2_4459
; %bb.4137:                             ;   in Loop: Header=BB2_3931 Depth=3
	s_or_saveexec_b32 s34, s34
	v_mov_b32_e32 v145, s15
	s_xor_b32 exec_lo, exec_lo, s34
	s_cbranch_execnz .LBB2_4462
.LBB2_4138:                             ;   in Loop: Header=BB2_3931 Depth=3
	s_or_b32 exec_lo, exec_lo, s34
	s_and_saveexec_b32 s15, s14
	s_cbranch_execz .LBB2_4140
.LBB2_4139:                             ;   in Loop: Header=BB2_3931 Depth=3
	v_bfe_u32 v180, v8, 2, 5
	v_lshlrev_b32_e32 v181, 24, v8
	s_delay_alu instid0(VALU_DEP_2) | instskip(SKIP_1) | instid1(VALU_DEP_1)
	v_cmp_eq_u32_e32 vcc_lo, 0, v180
	v_and_b32_e32 v145, 3, v8
	v_clz_i32_u32_e32 v178, v145
	s_delay_alu instid0(VALU_DEP_1) | instskip(NEXT) | instid1(VALU_DEP_1)
	v_min_u32_e32 v178, 32, v178
	v_subrev_nc_u32_e32 v179, 29, v178
	v_sub_nc_u32_e32 v178, 30, v178
	s_delay_alu instid0(VALU_DEP_1) | instskip(NEXT) | instid1(VALU_DEP_1)
	v_dual_cndmask_b32 v178, v180, v178 :: v_dual_lshlrev_b32 v179, v179, v8
	v_and_b32_e32 v179, 3, v179
	s_delay_alu instid0(VALU_DEP_2) | instskip(NEXT) | instid1(VALU_DEP_2)
	v_lshl_add_u32 v178, v178, 23, 0x37800000
	v_cndmask_b32_e32 v145, v145, v179, vcc_lo
	v_and_b32_e32 v179, 0x80000000, v181
	s_delay_alu instid0(VALU_DEP_2) | instskip(NEXT) | instid1(VALU_DEP_1)
	v_lshlrev_b32_e32 v145, 21, v145
	v_or3_b32 v145, v179, v178, v145
.LBB2_4140:                             ;   in Loop: Header=BB2_3931 Depth=3
	s_or_b32 exec_lo, exec_lo, s15
	s_delay_alu instid0(VALU_DEP_1) | instskip(NEXT) | instid1(VALU_DEP_1)
	v_add_f32_e32 v177, v177, v145
	v_and_b32_e32 v145, 0x7f800000, v177
	s_delay_alu instid0(VALU_DEP_1)
	v_cmp_ne_u32_e32 vcc_lo, 0x7f800000, v145
	v_mov_b32_e32 v145, 0x80
	s_and_saveexec_b32 s15, vcc_lo
	s_cbranch_execz .LBB2_4148
; %bb.4141:                             ;   in Loop: Header=BB2_3931 Depth=3
	v_mov_b32_e32 v145, 0
	s_mov_b32 s34, exec_lo
	v_cmpx_ne_u32_e32 0, v177
	s_cbranch_execz .LBB2_4147
; %bb.4142:                             ;   in Loop: Header=BB2_3931 Depth=3
	v_bfe_u32 v145, v177, 23, 8
	s_delay_alu instid0(VALU_DEP_1) | instskip(SKIP_1) | instid1(VALU_DEP_2)
	v_sub_nc_u32_e32 v179, 0x70, v145
	v_cmp_gt_u32_e32 vcc_lo, 0x71, v145
	v_dual_cndmask_b32 v179, 0, v179 :: v_dual_and_b32 v178, 0x7fffff, v177
	s_delay_alu instid0(VALU_DEP_1) | instskip(SKIP_2) | instid1(VALU_DEP_4)
	v_or_b32_e32 v180, 0x800000, v178
	v_cmp_eq_u32_e32 vcc_lo, 0, v145
	v_add_nc_u32_e32 v145, 0xffffff91, v145
	v_cndmask_b32_e64 v179, v179, 0x6f, vcc_lo
	s_delay_alu instid0(VALU_DEP_4) | instskip(NEXT) | instid1(VALU_DEP_3)
	v_cndmask_b32_e32 v178, v180, v178, vcc_lo
	v_cndmask_b32_e64 v145, v145, 0xffffff92, vcc_lo
	s_delay_alu instid0(VALU_DEP_3) | instskip(NEXT) | instid1(VALU_DEP_3)
	v_lshl_add_u32 v180, 0x200000, v179, -1
	v_lshrrev_b32_e32 v181, v179, v178
	v_lshlrev_b32_e64 v183, v179, 0x100000
	s_delay_alu instid0(VALU_DEP_4) | instskip(NEXT) | instid1(VALU_DEP_4)
	v_add_nc_u32_e32 v179, v179, v145
	v_and_b32_e32 v178, v180, v178
	s_delay_alu instid0(VALU_DEP_4) | instskip(NEXT) | instid1(VALU_DEP_2)
	v_bfe_u32 v182, v181, 21, 1
	v_cmp_eq_u32_e64 s14, v178, v183
	s_delay_alu instid0(VALU_DEP_2) | instskip(NEXT) | instid1(VALU_DEP_1)
	v_add_nc_u32_e32 v180, -1, v182
	v_cndmask_b32_e64 v178, 0, v180, s14
	v_lshrrev_b32_e32 v180, 23, v181
	s_mov_b32 s14, exec_lo
	s_delay_alu instid0(VALU_DEP_2) | instskip(NEXT) | instid1(VALU_DEP_2)
	v_add_nc_u32_e32 v178, v178, v181
	v_xor_b32_e32 v180, 1, v180
	s_delay_alu instid0(VALU_DEP_2) | instskip(NEXT) | instid1(VALU_DEP_1)
	v_and_b32_e32 v145, 0x1fffff, v178
	v_add_nc_u32_e32 v178, v145, v181
                                        ; implicit-def: $vgpr145
	s_delay_alu instid0(VALU_DEP_3)
	v_cmpx_ne_u32_e64 v179, v180
	s_xor_b32 s14, exec_lo, s14
; %bb.4143:                             ;   in Loop: Header=BB2_3931 Depth=3
	s_delay_alu instid0(VALU_DEP_2) | instskip(SKIP_2) | instid1(VALU_DEP_2)
	v_cmp_lt_u32_e32 vcc_lo, 0xffffff, v178
	v_sub_nc_u32_e32 v145, v179, v180
	v_cndmask_b32_e64 v179, 0, 1, vcc_lo
	v_add_co_ci_u32_e32 v145, vcc_lo, 0, v145, vcc_lo
	s_delay_alu instid0(VALU_DEP_2)
	v_lshrrev_b32_e32 v178, v179, v178
; %bb.4144:                             ;   in Loop: Header=BB2_3931 Depth=3
	s_and_not1_saveexec_b32 s14, s14
; %bb.4145:                             ;   in Loop: Header=BB2_3931 Depth=3
	s_delay_alu instid0(VALU_DEP_1)
	v_bfe_u32 v145, v178, 23, 1
; %bb.4146:                             ;   in Loop: Header=BB2_3931 Depth=3
	s_or_b32 exec_lo, exec_lo, s14
	v_lshrrev_b32_e32 v178, 21, v178
	s_delay_alu instid0(VALU_DEP_2) | instskip(SKIP_2) | instid1(VALU_DEP_2)
	v_cmp_gt_i32_e32 vcc_lo, 32, v145
	v_lshrrev_b32_e32 v177, 24, v177
	v_min_i32_e32 v179, 31, v145
	v_dual_cndmask_b32 v178, 3, v178 :: v_dual_and_b32 v177, 0x80, v177
	s_delay_alu instid0(VALU_DEP_2) | instskip(NEXT) | instid1(VALU_DEP_2)
	v_lshlrev_b32_e32 v179, 2, v179
	v_or_b32_e32 v145, v145, v178
	s_delay_alu instid0(VALU_DEP_1) | instskip(SKIP_1) | instid1(VALU_DEP_1)
	v_cmp_ne_u32_e32 vcc_lo, 0, v145
	v_and_b32_e32 v180, 3, v178
	v_or3_b32 v177, v179, v177, v180
	s_delay_alu instid0(VALU_DEP_1)
	v_cndmask_b32_e32 v145, 0, v177, vcc_lo
.LBB2_4147:                             ;   in Loop: Header=BB2_3931 Depth=3
	s_or_b32 exec_lo, exec_lo, s34
.LBB2_4148:                             ;   in Loop: Header=BB2_3931 Depth=3
	s_delay_alu instid0(SALU_CYCLE_1) | instskip(SKIP_3) | instid1(VALU_DEP_1)
	s_or_b32 exec_lo, exec_lo, s15
	v_and_b32_e32 v178, 0xff, v149
	s_mov_b32 s14, 0
	s_mov_b32 s34, exec_lo
                                        ; implicit-def: $sgpr15
	v_cmpx_lt_i16_e64 0x7f, v178
	s_xor_b32 s34, exec_lo, s34
	s_cbranch_execnz .LBB2_4463
; %bb.4149:                             ;   in Loop: Header=BB2_3931 Depth=3
	s_or_saveexec_b32 s34, s34
	v_mov_b32_e32 v177, s15
	s_xor_b32 exec_lo, exec_lo, s34
	s_cbranch_execnz .LBB2_4466
.LBB2_4150:                             ;   in Loop: Header=BB2_3931 Depth=3
	s_or_b32 exec_lo, exec_lo, s34
	s_and_saveexec_b32 s15, s14
	s_cbranch_execz .LBB2_4152
.LBB2_4151:                             ;   in Loop: Header=BB2_3931 Depth=3
	v_bfe_u32 v180, v149, 2, 5
	s_delay_alu instid0(VALU_DEP_1) | instskip(SKIP_1) | instid1(VALU_DEP_1)
	v_cmp_eq_u32_e32 vcc_lo, 0, v180
	v_and_b32_e32 v177, 3, v149
	v_clz_i32_u32_e32 v178, v177
	s_delay_alu instid0(VALU_DEP_1) | instskip(NEXT) | instid1(VALU_DEP_1)
	v_min_u32_e32 v178, 32, v178
	v_subrev_nc_u32_e32 v179, 29, v178
	v_sub_nc_u32_e32 v178, 30, v178
	s_delay_alu instid0(VALU_DEP_1) | instskip(SKIP_1) | instid1(VALU_DEP_2)
	v_dual_cndmask_b32 v178, v180, v178 :: v_dual_lshlrev_b32 v179, v179, v149
	v_lshlrev_b32_e32 v149, 24, v149
	v_and_b32_e32 v179, 3, v179
	s_delay_alu instid0(VALU_DEP_3) | instskip(NEXT) | instid1(VALU_DEP_3)
	v_lshl_add_u32 v178, v178, 23, 0x37800000
	v_and_b32_e32 v149, 0x80000000, v149
	s_delay_alu instid0(VALU_DEP_3) | instskip(NEXT) | instid1(VALU_DEP_1)
	v_cndmask_b32_e32 v177, v177, v179, vcc_lo
	v_lshlrev_b32_e32 v177, 21, v177
	s_delay_alu instid0(VALU_DEP_1)
	v_or3_b32 v177, v149, v178, v177
.LBB2_4152:                             ;   in Loop: Header=BB2_3931 Depth=3
	s_or_b32 exec_lo, exec_lo, s15
	v_lshrrev_b16 v149, 8, v8
	s_mov_b32 s14, 0
	s_mov_b32 s34, exec_lo
                                        ; implicit-def: $sgpr15
	s_delay_alu instid0(VALU_DEP_1)
	v_cmpx_lt_i16_e64 0x7f, v149
	s_xor_b32 s34, exec_lo, s34
	s_cbranch_execnz .LBB2_4467
; %bb.4153:                             ;   in Loop: Header=BB2_3931 Depth=3
	s_or_saveexec_b32 s34, s34
	v_mov_b32_e32 v178, s15
	s_xor_b32 exec_lo, exec_lo, s34
	s_cbranch_execnz .LBB2_4470
.LBB2_4154:                             ;   in Loop: Header=BB2_3931 Depth=3
	s_or_b32 exec_lo, exec_lo, s34
	s_and_saveexec_b32 s15, s14
	s_cbranch_execz .LBB2_4156
.LBB2_4155:                             ;   in Loop: Header=BB2_3931 Depth=3
	v_and_b32_e32 v178, 0xffff, v149
	v_lshlrev_b32_e32 v149, 24, v149
	s_delay_alu instid0(VALU_DEP_2) | instskip(NEXT) | instid1(VALU_DEP_2)
	v_and_b32_e32 v179, 3, v178
	v_and_b32_e32 v149, 0x80000000, v149
	s_delay_alu instid0(VALU_DEP_2) | instskip(NEXT) | instid1(VALU_DEP_1)
	v_clz_i32_u32_e32 v180, v179
	v_min_u32_e32 v180, 32, v180
	s_delay_alu instid0(VALU_DEP_1) | instskip(SKIP_1) | instid1(VALU_DEP_2)
	v_subrev_nc_u32_e32 v181, 29, v180
	v_sub_nc_u32_e32 v180, 30, v180
	v_lshlrev_b32_e32 v181, v181, v178
	v_bfe_u32 v178, v178, 2, 5
	s_delay_alu instid0(VALU_DEP_2) | instskip(NEXT) | instid1(VALU_DEP_2)
	v_and_b32_e32 v181, 3, v181
	v_cmp_eq_u32_e32 vcc_lo, 0, v178
	s_delay_alu instid0(VALU_DEP_2) | instskip(NEXT) | instid1(VALU_DEP_1)
	v_dual_cndmask_b32 v178, v178, v180 :: v_dual_cndmask_b32 v179, v179, v181
	v_lshl_add_u32 v178, v178, 23, 0x37800000
	s_delay_alu instid0(VALU_DEP_2) | instskip(NEXT) | instid1(VALU_DEP_1)
	v_lshlrev_b32_e32 v179, 21, v179
	v_or3_b32 v178, v149, v178, v179
.LBB2_4156:                             ;   in Loop: Header=BB2_3931 Depth=3
	s_or_b32 exec_lo, exec_lo, s15
	s_delay_alu instid0(VALU_DEP_1) | instskip(NEXT) | instid1(VALU_DEP_1)
	v_add_f32_e32 v177, v177, v178
	v_and_b32_e32 v149, 0x7f800000, v177
	s_delay_alu instid0(VALU_DEP_1)
	v_cmp_ne_u32_e32 vcc_lo, 0x7f800000, v149
	v_mov_b32_e32 v149, 0x80
	s_and_saveexec_b32 s15, vcc_lo
	s_cbranch_execz .LBB2_4164
; %bb.4157:                             ;   in Loop: Header=BB2_3931 Depth=3
	v_mov_b32_e32 v149, 0
	s_mov_b32 s34, exec_lo
	v_cmpx_ne_u32_e32 0, v177
	s_cbranch_execz .LBB2_4163
; %bb.4158:                             ;   in Loop: Header=BB2_3931 Depth=3
	v_bfe_u32 v149, v177, 23, 8
	s_delay_alu instid0(VALU_DEP_1) | instskip(SKIP_1) | instid1(VALU_DEP_2)
	v_sub_nc_u32_e32 v179, 0x70, v149
	v_cmp_gt_u32_e32 vcc_lo, 0x71, v149
	v_dual_cndmask_b32 v179, 0, v179 :: v_dual_and_b32 v178, 0x7fffff, v177
	s_delay_alu instid0(VALU_DEP_1) | instskip(SKIP_2) | instid1(VALU_DEP_4)
	v_or_b32_e32 v180, 0x800000, v178
	v_cmp_eq_u32_e32 vcc_lo, 0, v149
	v_add_nc_u32_e32 v149, 0xffffff91, v149
	v_cndmask_b32_e64 v179, v179, 0x6f, vcc_lo
	s_delay_alu instid0(VALU_DEP_4) | instskip(NEXT) | instid1(VALU_DEP_3)
	v_cndmask_b32_e32 v178, v180, v178, vcc_lo
	v_cndmask_b32_e64 v149, v149, 0xffffff92, vcc_lo
	s_delay_alu instid0(VALU_DEP_3) | instskip(NEXT) | instid1(VALU_DEP_3)
	v_lshl_add_u32 v180, 0x200000, v179, -1
	v_lshrrev_b32_e32 v181, v179, v178
	v_lshlrev_b32_e64 v183, v179, 0x100000
	s_delay_alu instid0(VALU_DEP_4) | instskip(NEXT) | instid1(VALU_DEP_4)
	v_add_nc_u32_e32 v179, v179, v149
	v_and_b32_e32 v178, v180, v178
	s_delay_alu instid0(VALU_DEP_4) | instskip(NEXT) | instid1(VALU_DEP_2)
	v_bfe_u32 v182, v181, 21, 1
	v_cmp_eq_u32_e64 s14, v178, v183
	s_delay_alu instid0(VALU_DEP_2) | instskip(NEXT) | instid1(VALU_DEP_1)
	v_add_nc_u32_e32 v180, -1, v182
	v_cndmask_b32_e64 v178, 0, v180, s14
	v_lshrrev_b32_e32 v180, 23, v181
	s_mov_b32 s14, exec_lo
	s_delay_alu instid0(VALU_DEP_2) | instskip(NEXT) | instid1(VALU_DEP_2)
	v_add_nc_u32_e32 v178, v178, v181
	v_xor_b32_e32 v180, 1, v180
	s_delay_alu instid0(VALU_DEP_2) | instskip(NEXT) | instid1(VALU_DEP_1)
	v_and_b32_e32 v149, 0x1fffff, v178
	v_add_nc_u32_e32 v178, v149, v181
                                        ; implicit-def: $vgpr149
	s_delay_alu instid0(VALU_DEP_3)
	v_cmpx_ne_u32_e64 v179, v180
	s_xor_b32 s14, exec_lo, s14
; %bb.4159:                             ;   in Loop: Header=BB2_3931 Depth=3
	s_delay_alu instid0(VALU_DEP_2) | instskip(SKIP_2) | instid1(VALU_DEP_2)
	v_cmp_lt_u32_e32 vcc_lo, 0xffffff, v178
	v_sub_nc_u32_e32 v149, v179, v180
	v_cndmask_b32_e64 v179, 0, 1, vcc_lo
	v_add_co_ci_u32_e32 v149, vcc_lo, 0, v149, vcc_lo
	s_delay_alu instid0(VALU_DEP_2)
	v_lshrrev_b32_e32 v178, v179, v178
; %bb.4160:                             ;   in Loop: Header=BB2_3931 Depth=3
	s_and_not1_saveexec_b32 s14, s14
; %bb.4161:                             ;   in Loop: Header=BB2_3931 Depth=3
	s_delay_alu instid0(VALU_DEP_1)
	v_bfe_u32 v149, v178, 23, 1
; %bb.4162:                             ;   in Loop: Header=BB2_3931 Depth=3
	s_or_b32 exec_lo, exec_lo, s14
	v_lshrrev_b32_e32 v178, 21, v178
	s_delay_alu instid0(VALU_DEP_2) | instskip(SKIP_2) | instid1(VALU_DEP_2)
	v_cmp_gt_i32_e32 vcc_lo, 32, v149
	v_lshrrev_b32_e32 v177, 24, v177
	v_min_i32_e32 v179, 31, v149
	v_dual_cndmask_b32 v178, 3, v178 :: v_dual_and_b32 v177, 0x80, v177
	s_delay_alu instid0(VALU_DEP_2) | instskip(NEXT) | instid1(VALU_DEP_2)
	v_lshlrev_b32_e32 v179, 2, v179
	v_or_b32_e32 v149, v149, v178
	s_delay_alu instid0(VALU_DEP_1) | instskip(SKIP_1) | instid1(VALU_DEP_1)
	v_cmp_ne_u32_e32 vcc_lo, 0, v149
	v_and_b32_e32 v180, 3, v178
	v_or3_b32 v177, v179, v177, v180
	s_delay_alu instid0(VALU_DEP_1)
	v_cndmask_b32_e32 v149, 0, v177, vcc_lo
.LBB2_4163:                             ;   in Loop: Header=BB2_3931 Depth=3
	s_or_b32 exec_lo, exec_lo, s34
.LBB2_4164:                             ;   in Loop: Header=BB2_3931 Depth=3
	s_delay_alu instid0(SALU_CYCLE_1) | instskip(SKIP_3) | instid1(VALU_DEP_1)
	s_or_b32 exec_lo, exec_lo, s15
	v_and_b32_e32 v178, 0xff, v163
	s_mov_b32 s14, 0
	s_mov_b32 s34, exec_lo
                                        ; implicit-def: $sgpr15
	v_cmpx_lt_i16_e64 0x7f, v178
	s_xor_b32 s34, exec_lo, s34
	s_cbranch_execnz .LBB2_4471
; %bb.4165:                             ;   in Loop: Header=BB2_3931 Depth=3
	s_or_saveexec_b32 s34, s34
	v_mov_b32_e32 v177, s15
	s_xor_b32 exec_lo, exec_lo, s34
	s_cbranch_execnz .LBB2_4474
.LBB2_4166:                             ;   in Loop: Header=BB2_3931 Depth=3
	s_or_b32 exec_lo, exec_lo, s34
	s_and_saveexec_b32 s15, s14
	s_cbranch_execz .LBB2_4168
.LBB2_4167:                             ;   in Loop: Header=BB2_3931 Depth=3
	v_bfe_u32 v180, v163, 2, 5
	s_delay_alu instid0(VALU_DEP_1) | instskip(SKIP_1) | instid1(VALU_DEP_1)
	v_cmp_eq_u32_e32 vcc_lo, 0, v180
	v_and_b32_e32 v177, 3, v163
	v_clz_i32_u32_e32 v178, v177
	s_delay_alu instid0(VALU_DEP_1) | instskip(NEXT) | instid1(VALU_DEP_1)
	v_min_u32_e32 v178, 32, v178
	v_subrev_nc_u32_e32 v179, 29, v178
	v_sub_nc_u32_e32 v178, 30, v178
	s_delay_alu instid0(VALU_DEP_1) | instskip(SKIP_1) | instid1(VALU_DEP_2)
	v_dual_cndmask_b32 v178, v180, v178 :: v_dual_lshlrev_b32 v179, v179, v163
	v_lshlrev_b32_e32 v163, 24, v163
	v_and_b32_e32 v179, 3, v179
	s_delay_alu instid0(VALU_DEP_3) | instskip(NEXT) | instid1(VALU_DEP_3)
	v_lshl_add_u32 v178, v178, 23, 0x37800000
	v_and_b32_e32 v163, 0x80000000, v163
	s_delay_alu instid0(VALU_DEP_3) | instskip(NEXT) | instid1(VALU_DEP_1)
	v_cndmask_b32_e32 v177, v177, v179, vcc_lo
	v_lshlrev_b32_e32 v177, 21, v177
	s_delay_alu instid0(VALU_DEP_1)
	v_or3_b32 v177, v163, v178, v177
.LBB2_4168:                             ;   in Loop: Header=BB2_3931 Depth=3
	s_or_b32 exec_lo, exec_lo, s15
	v_lshrrev_b32_e32 v163, 16, v8
	s_mov_b32 s14, 0
	s_mov_b32 s34, exec_lo
                                        ; implicit-def: $sgpr15
	s_delay_alu instid0(VALU_DEP_1) | instskip(NEXT) | instid1(VALU_DEP_1)
	v_and_b32_e32 v179, 0xff, v163
	v_cmpx_lt_i16_e64 0x7f, v179
	s_xor_b32 s34, exec_lo, s34
	s_cbranch_execnz .LBB2_4475
; %bb.4169:                             ;   in Loop: Header=BB2_3931 Depth=3
	s_or_saveexec_b32 s34, s34
	v_mov_b32_e32 v178, s15
	s_xor_b32 exec_lo, exec_lo, s34
	s_cbranch_execnz .LBB2_4478
.LBB2_4170:                             ;   in Loop: Header=BB2_3931 Depth=3
	s_or_b32 exec_lo, exec_lo, s34
	s_and_saveexec_b32 s15, s14
	s_cbranch_execz .LBB2_4172
.LBB2_4171:                             ;   in Loop: Header=BB2_3931 Depth=3
	v_bfe_u32 v178, v8, 16, 2
	v_lshlrev_b32_e32 v181, 8, v8
	s_delay_alu instid0(VALU_DEP_2) | instskip(NEXT) | instid1(VALU_DEP_1)
	v_clz_i32_u32_e32 v179, v178
	v_min_u32_e32 v179, 32, v179
	s_delay_alu instid0(VALU_DEP_1) | instskip(SKIP_1) | instid1(VALU_DEP_2)
	v_subrev_nc_u32_e32 v180, 29, v179
	v_sub_nc_u32_e32 v179, 30, v179
	v_lshlrev_b32_e32 v163, v180, v163
	v_bfe_u32 v180, v8, 18, 5
	s_delay_alu instid0(VALU_DEP_2) | instskip(NEXT) | instid1(VALU_DEP_2)
	v_and_b32_e32 v163, 3, v163
	v_cmp_eq_u32_e32 vcc_lo, 0, v180
	v_cndmask_b32_e32 v179, v180, v179, vcc_lo
	s_delay_alu instid0(VALU_DEP_3) | instskip(NEXT) | instid1(VALU_DEP_2)
	v_dual_cndmask_b32 v163, v178, v163 :: v_dual_and_b32 v178, 0x80000000, v181
	v_lshl_add_u32 v179, v179, 23, 0x37800000
	s_delay_alu instid0(VALU_DEP_2) | instskip(NEXT) | instid1(VALU_DEP_1)
	v_lshlrev_b32_e32 v163, 21, v163
	v_or3_b32 v178, v178, v179, v163
.LBB2_4172:                             ;   in Loop: Header=BB2_3931 Depth=3
	s_or_b32 exec_lo, exec_lo, s15
	s_delay_alu instid0(VALU_DEP_1) | instskip(NEXT) | instid1(VALU_DEP_1)
	v_add_f32_e32 v177, v177, v178
	v_and_b32_e32 v163, 0x7f800000, v177
	s_delay_alu instid0(VALU_DEP_1)
	v_cmp_ne_u32_e32 vcc_lo, 0x7f800000, v163
	v_mov_b32_e32 v163, 0x80
	s_and_saveexec_b32 s15, vcc_lo
	s_cbranch_execz .LBB2_4180
; %bb.4173:                             ;   in Loop: Header=BB2_3931 Depth=3
	v_mov_b32_e32 v163, 0
	s_mov_b32 s34, exec_lo
	v_cmpx_ne_u32_e32 0, v177
	s_cbranch_execz .LBB2_4179
; %bb.4174:                             ;   in Loop: Header=BB2_3931 Depth=3
	v_bfe_u32 v163, v177, 23, 8
	s_delay_alu instid0(VALU_DEP_1) | instskip(SKIP_1) | instid1(VALU_DEP_2)
	v_sub_nc_u32_e32 v179, 0x70, v163
	v_cmp_gt_u32_e32 vcc_lo, 0x71, v163
	v_dual_cndmask_b32 v179, 0, v179 :: v_dual_and_b32 v178, 0x7fffff, v177
	s_delay_alu instid0(VALU_DEP_1) | instskip(SKIP_2) | instid1(VALU_DEP_4)
	v_or_b32_e32 v180, 0x800000, v178
	v_cmp_eq_u32_e32 vcc_lo, 0, v163
	v_add_nc_u32_e32 v163, 0xffffff91, v163
	v_cndmask_b32_e64 v179, v179, 0x6f, vcc_lo
	s_delay_alu instid0(VALU_DEP_4) | instskip(NEXT) | instid1(VALU_DEP_3)
	v_cndmask_b32_e32 v178, v180, v178, vcc_lo
	v_cndmask_b32_e64 v163, v163, 0xffffff92, vcc_lo
	s_delay_alu instid0(VALU_DEP_3) | instskip(NEXT) | instid1(VALU_DEP_3)
	v_lshl_add_u32 v180, 0x200000, v179, -1
	v_lshrrev_b32_e32 v181, v179, v178
	v_lshlrev_b32_e64 v183, v179, 0x100000
	s_delay_alu instid0(VALU_DEP_4) | instskip(NEXT) | instid1(VALU_DEP_4)
	v_add_nc_u32_e32 v179, v179, v163
	v_and_b32_e32 v178, v180, v178
	s_delay_alu instid0(VALU_DEP_4) | instskip(NEXT) | instid1(VALU_DEP_2)
	v_bfe_u32 v182, v181, 21, 1
	v_cmp_eq_u32_e64 s14, v178, v183
	s_delay_alu instid0(VALU_DEP_2) | instskip(NEXT) | instid1(VALU_DEP_1)
	v_add_nc_u32_e32 v180, -1, v182
	v_cndmask_b32_e64 v178, 0, v180, s14
	v_lshrrev_b32_e32 v180, 23, v181
	s_mov_b32 s14, exec_lo
	s_delay_alu instid0(VALU_DEP_2) | instskip(NEXT) | instid1(VALU_DEP_2)
	v_add_nc_u32_e32 v178, v178, v181
	v_xor_b32_e32 v180, 1, v180
	s_delay_alu instid0(VALU_DEP_2) | instskip(NEXT) | instid1(VALU_DEP_1)
	v_and_b32_e32 v163, 0x1fffff, v178
	v_add_nc_u32_e32 v178, v163, v181
                                        ; implicit-def: $vgpr163
	s_delay_alu instid0(VALU_DEP_3)
	v_cmpx_ne_u32_e64 v179, v180
	s_xor_b32 s14, exec_lo, s14
; %bb.4175:                             ;   in Loop: Header=BB2_3931 Depth=3
	s_delay_alu instid0(VALU_DEP_2) | instskip(SKIP_2) | instid1(VALU_DEP_2)
	v_cmp_lt_u32_e32 vcc_lo, 0xffffff, v178
	v_sub_nc_u32_e32 v163, v179, v180
	v_cndmask_b32_e64 v179, 0, 1, vcc_lo
	v_add_co_ci_u32_e32 v163, vcc_lo, 0, v163, vcc_lo
	s_delay_alu instid0(VALU_DEP_2)
	v_lshrrev_b32_e32 v178, v179, v178
; %bb.4176:                             ;   in Loop: Header=BB2_3931 Depth=3
	s_and_not1_saveexec_b32 s14, s14
; %bb.4177:                             ;   in Loop: Header=BB2_3931 Depth=3
	s_delay_alu instid0(VALU_DEP_1)
	v_bfe_u32 v163, v178, 23, 1
; %bb.4178:                             ;   in Loop: Header=BB2_3931 Depth=3
	s_or_b32 exec_lo, exec_lo, s14
	v_lshrrev_b32_e32 v178, 21, v178
	s_delay_alu instid0(VALU_DEP_2) | instskip(SKIP_2) | instid1(VALU_DEP_2)
	v_cmp_gt_i32_e32 vcc_lo, 32, v163
	v_lshrrev_b32_e32 v177, 24, v177
	v_min_i32_e32 v179, 31, v163
	v_dual_cndmask_b32 v178, 3, v178 :: v_dual_and_b32 v177, 0x80, v177
	s_delay_alu instid0(VALU_DEP_2) | instskip(NEXT) | instid1(VALU_DEP_2)
	v_lshlrev_b32_e32 v179, 2, v179
	v_or_b32_e32 v163, v163, v178
	s_delay_alu instid0(VALU_DEP_1) | instskip(SKIP_1) | instid1(VALU_DEP_1)
	v_cmp_ne_u32_e32 vcc_lo, 0, v163
	v_and_b32_e32 v180, 3, v178
	v_or3_b32 v177, v179, v177, v180
	s_delay_alu instid0(VALU_DEP_1)
	v_cndmask_b32_e32 v163, 0, v177, vcc_lo
.LBB2_4179:                             ;   in Loop: Header=BB2_3931 Depth=3
	s_or_b32 exec_lo, exec_lo, s34
.LBB2_4180:                             ;   in Loop: Header=BB2_3931 Depth=3
	s_delay_alu instid0(SALU_CYCLE_1) | instskip(SKIP_3) | instid1(VALU_DEP_1)
	s_or_b32 exec_lo, exec_lo, s15
	v_and_b32_e32 v178, 0xff, v166
	s_mov_b32 s14, 0
	s_mov_b32 s34, exec_lo
                                        ; implicit-def: $sgpr15
	v_cmpx_lt_i16_e64 0x7f, v178
	s_xor_b32 s34, exec_lo, s34
	s_cbranch_execnz .LBB2_4479
; %bb.4181:                             ;   in Loop: Header=BB2_3931 Depth=3
	s_or_saveexec_b32 s34, s34
	v_mov_b32_e32 v177, s15
	s_xor_b32 exec_lo, exec_lo, s34
	s_cbranch_execnz .LBB2_4482
.LBB2_4182:                             ;   in Loop: Header=BB2_3931 Depth=3
	s_or_b32 exec_lo, exec_lo, s34
	s_and_saveexec_b32 s15, s14
	s_cbranch_execz .LBB2_4184
.LBB2_4183:                             ;   in Loop: Header=BB2_3931 Depth=3
	v_lshlrev_b32_e32 v166, 8, v166
	s_delay_alu instid0(VALU_DEP_1) | instskip(SKIP_1) | instid1(VALU_DEP_2)
	v_and_b32_e32 v177, 0xff00, v166
	v_bfe_u32 v166, v166, 10, 5
	v_bfe_u32 v179, v177, 8, 2
	s_delay_alu instid0(VALU_DEP_2) | instskip(NEXT) | instid1(VALU_DEP_2)
	v_cmp_eq_u32_e32 vcc_lo, 0, v166
	v_clz_i32_u32_e32 v180, v179
	s_delay_alu instid0(VALU_DEP_1) | instskip(NEXT) | instid1(VALU_DEP_1)
	v_min_u32_e32 v180, 32, v180
	v_subrev_nc_u32_e32 v181, 29, v180
	v_sub_nc_u32_e32 v180, 30, v180
	s_delay_alu instid0(VALU_DEP_2) | instskip(NEXT) | instid1(VALU_DEP_2)
	v_lshlrev_b32_e32 v178, v181, v178
	v_cndmask_b32_e32 v166, v166, v180, vcc_lo
	s_delay_alu instid0(VALU_DEP_2) | instskip(SKIP_1) | instid1(VALU_DEP_3)
	v_and_b32_e32 v178, 3, v178
	v_lshlrev_b32_e32 v177, 16, v177
	v_lshl_add_u32 v166, v166, 23, 0x37800000
	s_delay_alu instid0(VALU_DEP_2) | instskip(NEXT) | instid1(VALU_DEP_1)
	v_dual_cndmask_b32 v178, v179, v178 :: v_dual_and_b32 v177, 0x80000000, v177
	v_lshlrev_b32_e32 v178, 21, v178
	s_delay_alu instid0(VALU_DEP_1)
	v_or3_b32 v177, v177, v166, v178
.LBB2_4184:                             ;   in Loop: Header=BB2_3931 Depth=3
	s_or_b32 exec_lo, exec_lo, s15
	v_lshrrev_b32_e32 v166, 24, v8
	s_mov_b32 s14, 0
	s_mov_b32 s34, exec_lo
                                        ; implicit-def: $sgpr15
	s_delay_alu instid0(VALU_DEP_1)
	v_cmpx_lt_i16_e64 0x7f, v166
	s_xor_b32 s34, exec_lo, s34
	s_cbranch_execnz .LBB2_4483
; %bb.4185:                             ;   in Loop: Header=BB2_3931 Depth=3
	s_or_saveexec_b32 s34, s34
	v_mov_b32_e32 v178, s15
	s_xor_b32 exec_lo, exec_lo, s34
	s_cbranch_execnz .LBB2_4486
.LBB2_4186:                             ;   in Loop: Header=BB2_3931 Depth=3
	s_or_b32 exec_lo, exec_lo, s34
	s_and_saveexec_b32 s15, s14
	s_cbranch_execz .LBB2_4188
.LBB2_4187:                             ;   in Loop: Header=BB2_3931 Depth=3
	v_bfe_u32 v178, v8, 24, 2
	s_delay_alu instid0(VALU_DEP_1) | instskip(NEXT) | instid1(VALU_DEP_1)
	v_clz_i32_u32_e32 v179, v178
	v_min_u32_e32 v179, 32, v179
	s_delay_alu instid0(VALU_DEP_1) | instskip(SKIP_1) | instid1(VALU_DEP_2)
	v_subrev_nc_u32_e32 v180, 29, v179
	v_sub_nc_u32_e32 v179, 30, v179
	v_lshlrev_b32_e32 v166, v180, v166
	v_bfe_u32 v180, v8, 26, 5
	v_and_b32_e32 v8, 0x80000000, v8
	s_delay_alu instid0(VALU_DEP_2) | instskip(NEXT) | instid1(VALU_DEP_4)
	v_cmp_eq_u32_e32 vcc_lo, 0, v180
	v_dual_cndmask_b32 v179, v180, v179 :: v_dual_and_b32 v166, 3, v166
	s_delay_alu instid0(VALU_DEP_1) | instskip(NEXT) | instid1(VALU_DEP_2)
	v_cndmask_b32_e32 v166, v178, v166, vcc_lo
	v_lshl_add_u32 v178, v179, 23, 0x37800000
	s_delay_alu instid0(VALU_DEP_2) | instskip(NEXT) | instid1(VALU_DEP_1)
	v_lshlrev_b32_e32 v166, 21, v166
	v_or3_b32 v178, v8, v178, v166
.LBB2_4188:                             ;   in Loop: Header=BB2_3931 Depth=3
	s_or_b32 exec_lo, exec_lo, s15
	s_delay_alu instid0(VALU_DEP_1) | instskip(NEXT) | instid1(VALU_DEP_1)
	v_add_f32_e32 v166, v177, v178
	v_and_b32_e32 v8, 0x7f800000, v166
	s_delay_alu instid0(VALU_DEP_1)
	v_cmp_ne_u32_e32 vcc_lo, 0x7f800000, v8
	v_mov_b32_e32 v8, 0x80
	s_and_saveexec_b32 s15, vcc_lo
	s_cbranch_execz .LBB2_4196
; %bb.4189:                             ;   in Loop: Header=BB2_3931 Depth=3
	v_mov_b32_e32 v8, 0
	s_mov_b32 s34, exec_lo
	v_cmpx_ne_u32_e32 0, v166
	s_cbranch_execz .LBB2_4195
; %bb.4190:                             ;   in Loop: Header=BB2_3931 Depth=3
	v_bfe_u32 v8, v166, 23, 8
	v_and_b32_e32 v177, 0x7fffff, v166
	s_delay_alu instid0(VALU_DEP_2) | instskip(SKIP_1) | instid1(VALU_DEP_3)
	v_sub_nc_u32_e32 v178, 0x70, v8
	v_cmp_gt_u32_e32 vcc_lo, 0x71, v8
	v_or_b32_e32 v179, 0x800000, v177
	s_delay_alu instid0(VALU_DEP_3) | instskip(SKIP_1) | instid1(VALU_DEP_3)
	v_cndmask_b32_e32 v178, 0, v178, vcc_lo
	v_cmp_eq_u32_e32 vcc_lo, 0, v8
	v_dual_cndmask_b32 v177, v179, v177 :: v_dual_add_nc_u32 v8, 0xffffff91, v8
	s_delay_alu instid0(VALU_DEP_3) | instskip(NEXT) | instid1(VALU_DEP_2)
	v_cndmask_b32_e64 v178, v178, 0x6f, vcc_lo
	v_cndmask_b32_e64 v8, v8, 0xffffff92, vcc_lo
	s_delay_alu instid0(VALU_DEP_2) | instskip(SKIP_2) | instid1(VALU_DEP_4)
	v_lshrrev_b32_e32 v180, v178, v177
	v_lshl_add_u32 v179, 0x200000, v178, -1
	v_lshlrev_b32_e64 v182, v178, 0x100000
	v_add_nc_u32_e32 v178, v178, v8
	s_delay_alu instid0(VALU_DEP_4) | instskip(NEXT) | instid1(VALU_DEP_4)
	v_bfe_u32 v181, v180, 21, 1
	v_and_b32_e32 v177, v179, v177
	s_delay_alu instid0(VALU_DEP_2) | instskip(NEXT) | instid1(VALU_DEP_2)
	v_add_nc_u32_e32 v179, -1, v181
	v_cmp_eq_u32_e64 s14, v177, v182
	s_delay_alu instid0(VALU_DEP_1) | instskip(SKIP_2) | instid1(VALU_DEP_2)
	v_cndmask_b32_e64 v177, 0, v179, s14
	v_lshrrev_b32_e32 v179, 23, v180
	s_mov_b32 s14, exec_lo
	v_add_nc_u32_e32 v177, v177, v180
	s_delay_alu instid0(VALU_DEP_2) | instskip(NEXT) | instid1(VALU_DEP_2)
	v_xor_b32_e32 v179, 1, v179
	v_and_b32_e32 v8, 0x1fffff, v177
	s_delay_alu instid0(VALU_DEP_1) | instskip(NEXT) | instid1(VALU_DEP_3)
	v_add_nc_u32_e32 v177, v8, v180
                                        ; implicit-def: $vgpr8
	v_cmpx_ne_u32_e64 v178, v179
	s_xor_b32 s14, exec_lo, s14
; %bb.4191:                             ;   in Loop: Header=BB2_3931 Depth=3
	s_delay_alu instid0(VALU_DEP_2) | instskip(SKIP_2) | instid1(VALU_DEP_2)
	v_cmp_lt_u32_e32 vcc_lo, 0xffffff, v177
	v_sub_nc_u32_e32 v8, v178, v179
	v_cndmask_b32_e64 v178, 0, 1, vcc_lo
	v_add_co_ci_u32_e32 v8, vcc_lo, 0, v8, vcc_lo
	s_delay_alu instid0(VALU_DEP_2)
	v_lshrrev_b32_e32 v177, v178, v177
; %bb.4192:                             ;   in Loop: Header=BB2_3931 Depth=3
	s_and_not1_saveexec_b32 s14, s14
; %bb.4193:                             ;   in Loop: Header=BB2_3931 Depth=3
	s_delay_alu instid0(VALU_DEP_1)
	v_bfe_u32 v8, v177, 23, 1
; %bb.4194:                             ;   in Loop: Header=BB2_3931 Depth=3
	s_or_b32 exec_lo, exec_lo, s14
	v_lshrrev_b32_e32 v177, 21, v177
	s_delay_alu instid0(VALU_DEP_2) | instskip(SKIP_2) | instid1(VALU_DEP_2)
	v_cmp_gt_i32_e32 vcc_lo, 32, v8
	v_lshrrev_b32_e32 v166, 24, v166
	v_min_i32_e32 v178, 31, v8
	v_dual_cndmask_b32 v177, 3, v177 :: v_dual_and_b32 v166, 0x80, v166
	s_delay_alu instid0(VALU_DEP_2) | instskip(NEXT) | instid1(VALU_DEP_2)
	v_lshlrev_b32_e32 v178, 2, v178
	v_or_b32_e32 v8, v8, v177
	s_delay_alu instid0(VALU_DEP_1) | instskip(SKIP_1) | instid1(VALU_DEP_1)
	v_cmp_ne_u32_e32 vcc_lo, 0, v8
	v_and_b32_e32 v179, 3, v177
	v_or3_b32 v166, v178, v166, v179
	s_delay_alu instid0(VALU_DEP_1)
	v_cndmask_b32_e32 v8, 0, v166, vcc_lo
.LBB2_4195:                             ;   in Loop: Header=BB2_3931 Depth=3
	s_or_b32 exec_lo, exec_lo, s34
.LBB2_4196:                             ;   in Loop: Header=BB2_3931 Depth=3
	s_delay_alu instid0(SALU_CYCLE_1) | instskip(SKIP_3) | instid1(VALU_DEP_1)
	s_or_b32 exec_lo, exec_lo, s15
	v_or_b32_e32 v176, v176, v165
	s_mov_b32 s14, 0
	s_mov_b32 s34, exec_lo
                                        ; implicit-def: $sgpr15
	v_and_b32_e32 v166, 0xff, v176
	s_delay_alu instid0(VALU_DEP_1)
	v_cmpx_lt_i16_e64 0x7f, v166
	s_xor_b32 s34, exec_lo, s34
	s_cbranch_execnz .LBB2_4487
; %bb.4197:                             ;   in Loop: Header=BB2_3931 Depth=3
	s_or_saveexec_b32 s34, s34
	v_mov_b32_e32 v165, s15
	s_xor_b32 exec_lo, exec_lo, s34
	s_cbranch_execnz .LBB2_4490
.LBB2_4198:                             ;   in Loop: Header=BB2_3931 Depth=3
	s_or_b32 exec_lo, exec_lo, s34
	s_and_saveexec_b32 s15, s14
	s_cbranch_execz .LBB2_4200
.LBB2_4199:                             ;   in Loop: Header=BB2_3931 Depth=3
	v_bfe_u32 v178, v176, 2, 5
	v_lshlrev_b32_e32 v179, 24, v176
	s_delay_alu instid0(VALU_DEP_2) | instskip(SKIP_1) | instid1(VALU_DEP_1)
	v_cmp_eq_u32_e32 vcc_lo, 0, v178
	v_and_b32_e32 v165, 3, v176
	v_clz_i32_u32_e32 v166, v165
	s_delay_alu instid0(VALU_DEP_1) | instskip(NEXT) | instid1(VALU_DEP_1)
	v_min_u32_e32 v166, 32, v166
	v_subrev_nc_u32_e32 v177, 29, v166
	v_sub_nc_u32_e32 v166, 30, v166
	s_delay_alu instid0(VALU_DEP_1) | instskip(NEXT) | instid1(VALU_DEP_1)
	v_dual_cndmask_b32 v166, v178, v166 :: v_dual_lshlrev_b32 v177, v177, v176
	v_and_b32_e32 v177, 3, v177
	s_delay_alu instid0(VALU_DEP_2) | instskip(NEXT) | instid1(VALU_DEP_2)
	v_lshl_add_u32 v166, v166, 23, 0x37800000
	v_cndmask_b32_e32 v165, v165, v177, vcc_lo
	v_and_b32_e32 v177, 0x80000000, v179
	s_delay_alu instid0(VALU_DEP_2) | instskip(NEXT) | instid1(VALU_DEP_1)
	v_lshlrev_b32_e32 v165, 21, v165
	v_or3_b32 v165, v177, v166, v165
.LBB2_4200:                             ;   in Loop: Header=BB2_3931 Depth=3
	s_or_b32 exec_lo, exec_lo, s15
	v_and_b32_e32 v177, 0xff, v9
	s_mov_b32 s14, 0
	s_mov_b32 s34, exec_lo
                                        ; implicit-def: $sgpr15
	s_delay_alu instid0(VALU_DEP_1)
	v_cmpx_lt_i16_e64 0x7f, v177
	s_xor_b32 s34, exec_lo, s34
	s_cbranch_execnz .LBB2_4491
; %bb.4201:                             ;   in Loop: Header=BB2_3931 Depth=3
	s_or_saveexec_b32 s34, s34
	v_mov_b32_e32 v166, s15
	s_xor_b32 exec_lo, exec_lo, s34
	s_cbranch_execnz .LBB2_4494
.LBB2_4202:                             ;   in Loop: Header=BB2_3931 Depth=3
	s_or_b32 exec_lo, exec_lo, s34
	s_and_saveexec_b32 s15, s14
	s_cbranch_execz .LBB2_4204
.LBB2_4203:                             ;   in Loop: Header=BB2_3931 Depth=3
	v_and_b32_e32 v166, 3, v9
	v_bfe_u32 v179, v9, 2, 5
	v_lshlrev_b32_e32 v180, 24, v9
	s_delay_alu instid0(VALU_DEP_3) | instskip(NEXT) | instid1(VALU_DEP_3)
	v_clz_i32_u32_e32 v177, v166
	v_cmp_eq_u32_e32 vcc_lo, 0, v179
	s_delay_alu instid0(VALU_DEP_2) | instskip(NEXT) | instid1(VALU_DEP_1)
	v_min_u32_e32 v177, 32, v177
	v_subrev_nc_u32_e32 v178, 29, v177
	v_sub_nc_u32_e32 v177, 30, v177
	s_delay_alu instid0(VALU_DEP_2) | instskip(NEXT) | instid1(VALU_DEP_1)
	v_lshlrev_b32_e32 v178, v178, v9
	v_dual_cndmask_b32 v177, v179, v177 :: v_dual_and_b32 v178, 3, v178
	s_delay_alu instid0(VALU_DEP_1) | instskip(NEXT) | instid1(VALU_DEP_2)
	v_lshl_add_u32 v177, v177, 23, 0x37800000
	v_cndmask_b32_e32 v166, v166, v178, vcc_lo
	v_and_b32_e32 v178, 0x80000000, v180
	s_delay_alu instid0(VALU_DEP_2) | instskip(NEXT) | instid1(VALU_DEP_1)
	v_lshlrev_b32_e32 v166, 21, v166
	v_or3_b32 v166, v178, v177, v166
.LBB2_4204:                             ;   in Loop: Header=BB2_3931 Depth=3
	s_or_b32 exec_lo, exec_lo, s15
	s_delay_alu instid0(VALU_DEP_1) | instskip(NEXT) | instid1(VALU_DEP_1)
	v_add_f32_e32 v166, v165, v166
	v_and_b32_e32 v165, 0x7f800000, v166
	s_delay_alu instid0(VALU_DEP_1)
	v_cmp_ne_u32_e32 vcc_lo, 0x7f800000, v165
	v_mov_b32_e32 v165, 0x80
	s_and_saveexec_b32 s15, vcc_lo
	s_cbranch_execz .LBB2_4212
; %bb.4205:                             ;   in Loop: Header=BB2_3931 Depth=3
	v_mov_b32_e32 v165, 0
	s_mov_b32 s34, exec_lo
	v_cmpx_ne_u32_e32 0, v166
	s_cbranch_execz .LBB2_4211
; %bb.4206:                             ;   in Loop: Header=BB2_3931 Depth=3
	v_bfe_u32 v165, v166, 23, 8
	v_and_b32_e32 v177, 0x7fffff, v166
	s_delay_alu instid0(VALU_DEP_2) | instskip(SKIP_1) | instid1(VALU_DEP_3)
	v_sub_nc_u32_e32 v178, 0x70, v165
	v_cmp_gt_u32_e32 vcc_lo, 0x71, v165
	v_or_b32_e32 v179, 0x800000, v177
	s_delay_alu instid0(VALU_DEP_3) | instskip(SKIP_2) | instid1(VALU_DEP_4)
	v_cndmask_b32_e32 v178, 0, v178, vcc_lo
	v_cmp_eq_u32_e32 vcc_lo, 0, v165
	v_add_nc_u32_e32 v165, 0xffffff91, v165
	v_cndmask_b32_e32 v177, v179, v177, vcc_lo
	s_delay_alu instid0(VALU_DEP_4) | instskip(NEXT) | instid1(VALU_DEP_3)
	v_cndmask_b32_e64 v178, v178, 0x6f, vcc_lo
	v_cndmask_b32_e64 v165, v165, 0xffffff92, vcc_lo
	s_delay_alu instid0(VALU_DEP_2) | instskip(SKIP_2) | instid1(VALU_DEP_4)
	v_lshrrev_b32_e32 v180, v178, v177
	v_lshl_add_u32 v179, 0x200000, v178, -1
	v_lshlrev_b32_e64 v182, v178, 0x100000
	v_add_nc_u32_e32 v178, v178, v165
	s_delay_alu instid0(VALU_DEP_4) | instskip(NEXT) | instid1(VALU_DEP_4)
	v_bfe_u32 v181, v180, 21, 1
	v_and_b32_e32 v177, v179, v177
	s_delay_alu instid0(VALU_DEP_2) | instskip(NEXT) | instid1(VALU_DEP_2)
	v_add_nc_u32_e32 v179, -1, v181
	v_cmp_eq_u32_e64 s14, v177, v182
	s_delay_alu instid0(VALU_DEP_1) | instskip(SKIP_2) | instid1(VALU_DEP_2)
	v_cndmask_b32_e64 v177, 0, v179, s14
	v_lshrrev_b32_e32 v179, 23, v180
	s_mov_b32 s14, exec_lo
	v_add_nc_u32_e32 v177, v177, v180
	s_delay_alu instid0(VALU_DEP_2) | instskip(NEXT) | instid1(VALU_DEP_2)
	v_xor_b32_e32 v179, 1, v179
	v_and_b32_e32 v165, 0x1fffff, v177
	s_delay_alu instid0(VALU_DEP_1) | instskip(NEXT) | instid1(VALU_DEP_3)
	v_add_nc_u32_e32 v177, v165, v180
                                        ; implicit-def: $vgpr165
	v_cmpx_ne_u32_e64 v178, v179
	s_xor_b32 s14, exec_lo, s14
; %bb.4207:                             ;   in Loop: Header=BB2_3931 Depth=3
	s_delay_alu instid0(VALU_DEP_2) | instskip(SKIP_2) | instid1(VALU_DEP_2)
	v_cmp_lt_u32_e32 vcc_lo, 0xffffff, v177
	v_sub_nc_u32_e32 v165, v178, v179
	v_cndmask_b32_e64 v178, 0, 1, vcc_lo
	v_add_co_ci_u32_e32 v165, vcc_lo, 0, v165, vcc_lo
	s_delay_alu instid0(VALU_DEP_2)
	v_lshrrev_b32_e32 v177, v178, v177
; %bb.4208:                             ;   in Loop: Header=BB2_3931 Depth=3
	s_and_not1_saveexec_b32 s14, s14
; %bb.4209:                             ;   in Loop: Header=BB2_3931 Depth=3
	s_delay_alu instid0(VALU_DEP_1)
	v_bfe_u32 v165, v177, 23, 1
; %bb.4210:                             ;   in Loop: Header=BB2_3931 Depth=3
	s_or_b32 exec_lo, exec_lo, s14
	v_lshrrev_b32_e32 v177, 21, v177
	s_delay_alu instid0(VALU_DEP_2) | instskip(SKIP_2) | instid1(VALU_DEP_2)
	v_cmp_gt_i32_e32 vcc_lo, 32, v165
	v_lshrrev_b32_e32 v166, 24, v166
	v_min_i32_e32 v178, 31, v165
	v_dual_cndmask_b32 v177, 3, v177 :: v_dual_and_b32 v166, 0x80, v166
	s_delay_alu instid0(VALU_DEP_2) | instskip(NEXT) | instid1(VALU_DEP_2)
	v_lshlrev_b32_e32 v178, 2, v178
	v_and_b32_e32 v179, 3, v177
	v_or_b32_e32 v165, v165, v177
	s_delay_alu instid0(VALU_DEP_2) | instskip(NEXT) | instid1(VALU_DEP_2)
	v_or3_b32 v166, v178, v166, v179
	v_cmp_ne_u32_e32 vcc_lo, 0, v165
	s_delay_alu instid0(VALU_DEP_2)
	v_cndmask_b32_e32 v165, 0, v166, vcc_lo
.LBB2_4211:                             ;   in Loop: Header=BB2_3931 Depth=3
	s_or_b32 exec_lo, exec_lo, s34
.LBB2_4212:                             ;   in Loop: Header=BB2_3931 Depth=3
	s_delay_alu instid0(SALU_CYCLE_1) | instskip(SKIP_3) | instid1(VALU_DEP_1)
	s_or_b32 exec_lo, exec_lo, s15
	v_lshrrev_b16 v177, 8, v176
	s_mov_b32 s14, 0
	s_mov_b32 s34, exec_lo
                                        ; implicit-def: $sgpr15
	v_cmpx_lt_i16_e64 0x7f, v177
	s_xor_b32 s34, exec_lo, s34
	s_cbranch_execnz .LBB2_4495
; %bb.4213:                             ;   in Loop: Header=BB2_3931 Depth=3
	s_or_saveexec_b32 s34, s34
	v_mov_b32_e32 v166, s15
	s_xor_b32 exec_lo, exec_lo, s34
	s_cbranch_execnz .LBB2_4498
.LBB2_4214:                             ;   in Loop: Header=BB2_3931 Depth=3
	s_or_b32 exec_lo, exec_lo, s34
	s_and_saveexec_b32 s15, s14
	s_cbranch_execz .LBB2_4216
.LBB2_4215:                             ;   in Loop: Header=BB2_3931 Depth=3
	v_and_b32_e32 v166, 0xffff, v177
	s_delay_alu instid0(VALU_DEP_1) | instskip(NEXT) | instid1(VALU_DEP_1)
	v_and_b32_e32 v178, 3, v166
	v_clz_i32_u32_e32 v179, v178
	s_delay_alu instid0(VALU_DEP_1) | instskip(NEXT) | instid1(VALU_DEP_1)
	v_min_u32_e32 v179, 32, v179
	v_subrev_nc_u32_e32 v180, 29, v179
	v_sub_nc_u32_e32 v179, 30, v179
	s_delay_alu instid0(VALU_DEP_2) | instskip(SKIP_1) | instid1(VALU_DEP_2)
	v_lshlrev_b32_e32 v180, v180, v166
	v_bfe_u32 v166, v166, 2, 5
	v_and_b32_e32 v180, 3, v180
	s_delay_alu instid0(VALU_DEP_2) | instskip(SKIP_1) | instid1(VALU_DEP_1)
	v_cmp_eq_u32_e32 vcc_lo, 0, v166
	v_dual_cndmask_b32 v166, v166, v179 :: v_dual_lshlrev_b32 v177, 24, v177
	v_dual_cndmask_b32 v178, v178, v180 :: v_dual_and_b32 v177, 0x80000000, v177
	s_delay_alu instid0(VALU_DEP_2) | instskip(NEXT) | instid1(VALU_DEP_2)
	v_lshl_add_u32 v166, v166, 23, 0x37800000
	v_lshlrev_b32_e32 v178, 21, v178
	s_delay_alu instid0(VALU_DEP_1)
	v_or3_b32 v166, v177, v166, v178
.LBB2_4216:                             ;   in Loop: Header=BB2_3931 Depth=3
	s_or_b32 exec_lo, exec_lo, s15
	v_lshrrev_b16 v177, 8, v9
	s_mov_b32 s14, 0
	s_mov_b32 s34, exec_lo
                                        ; implicit-def: $sgpr15
	s_delay_alu instid0(VALU_DEP_1)
	v_cmpx_lt_i16_e64 0x7f, v177
	s_xor_b32 s34, exec_lo, s34
	s_cbranch_execnz .LBB2_4499
; %bb.4217:                             ;   in Loop: Header=BB2_3931 Depth=3
	s_or_saveexec_b32 s34, s34
	v_mov_b32_e32 v178, s15
	s_xor_b32 exec_lo, exec_lo, s34
	s_cbranch_execnz .LBB2_4502
.LBB2_4218:                             ;   in Loop: Header=BB2_3931 Depth=3
	s_or_b32 exec_lo, exec_lo, s34
	s_and_saveexec_b32 s15, s14
	s_cbranch_execz .LBB2_4220
.LBB2_4219:                             ;   in Loop: Header=BB2_3931 Depth=3
	v_and_b32_e32 v178, 0xffff, v177
	v_lshlrev_b32_e32 v177, 24, v177
	s_delay_alu instid0(VALU_DEP_2) | instskip(NEXT) | instid1(VALU_DEP_2)
	v_and_b32_e32 v179, 3, v178
	v_and_b32_e32 v177, 0x80000000, v177
	s_delay_alu instid0(VALU_DEP_2) | instskip(NEXT) | instid1(VALU_DEP_1)
	v_clz_i32_u32_e32 v180, v179
	v_min_u32_e32 v180, 32, v180
	s_delay_alu instid0(VALU_DEP_1) | instskip(SKIP_1) | instid1(VALU_DEP_2)
	v_subrev_nc_u32_e32 v181, 29, v180
	v_sub_nc_u32_e32 v180, 30, v180
	v_lshlrev_b32_e32 v181, v181, v178
	v_bfe_u32 v178, v178, 2, 5
	s_delay_alu instid0(VALU_DEP_2) | instskip(NEXT) | instid1(VALU_DEP_2)
	v_and_b32_e32 v181, 3, v181
	v_cmp_eq_u32_e32 vcc_lo, 0, v178
	s_delay_alu instid0(VALU_DEP_2) | instskip(NEXT) | instid1(VALU_DEP_1)
	v_dual_cndmask_b32 v178, v178, v180 :: v_dual_cndmask_b32 v179, v179, v181
	v_lshl_add_u32 v178, v178, 23, 0x37800000
	s_delay_alu instid0(VALU_DEP_2) | instskip(NEXT) | instid1(VALU_DEP_1)
	v_lshlrev_b32_e32 v179, 21, v179
	v_or3_b32 v178, v177, v178, v179
.LBB2_4220:                             ;   in Loop: Header=BB2_3931 Depth=3
	s_or_b32 exec_lo, exec_lo, s15
	s_delay_alu instid0(VALU_DEP_1) | instskip(NEXT) | instid1(VALU_DEP_1)
	v_add_f32_e32 v177, v166, v178
	v_and_b32_e32 v166, 0x7f800000, v177
	s_delay_alu instid0(VALU_DEP_1)
	v_cmp_ne_u32_e32 vcc_lo, 0x7f800000, v166
	v_mov_b32_e32 v166, 0x8000
	s_and_saveexec_b32 s15, vcc_lo
	s_cbranch_execz .LBB2_4228
; %bb.4221:                             ;   in Loop: Header=BB2_3931 Depth=3
	v_mov_b32_e32 v166, 0
	s_mov_b32 s34, exec_lo
	v_cmpx_ne_u32_e32 0, v177
	s_cbranch_execz .LBB2_4227
; %bb.4222:                             ;   in Loop: Header=BB2_3931 Depth=3
	v_bfe_u32 v166, v177, 23, 8
	s_delay_alu instid0(VALU_DEP_1) | instskip(SKIP_1) | instid1(VALU_DEP_2)
	v_sub_nc_u32_e32 v179, 0x70, v166
	v_cmp_gt_u32_e32 vcc_lo, 0x71, v166
	v_dual_cndmask_b32 v179, 0, v179 :: v_dual_and_b32 v178, 0x7fffff, v177
	s_delay_alu instid0(VALU_DEP_1) | instskip(SKIP_2) | instid1(VALU_DEP_4)
	v_or_b32_e32 v180, 0x800000, v178
	v_cmp_eq_u32_e32 vcc_lo, 0, v166
	v_add_nc_u32_e32 v166, 0xffffff91, v166
	v_cndmask_b32_e64 v179, v179, 0x6f, vcc_lo
	s_delay_alu instid0(VALU_DEP_4) | instskip(NEXT) | instid1(VALU_DEP_3)
	v_cndmask_b32_e32 v178, v180, v178, vcc_lo
	v_cndmask_b32_e64 v166, v166, 0xffffff92, vcc_lo
	s_delay_alu instid0(VALU_DEP_3) | instskip(NEXT) | instid1(VALU_DEP_3)
	v_lshl_add_u32 v180, 0x200000, v179, -1
	v_lshrrev_b32_e32 v181, v179, v178
	v_lshlrev_b32_e64 v183, v179, 0x100000
	s_delay_alu instid0(VALU_DEP_4) | instskip(NEXT) | instid1(VALU_DEP_4)
	v_add_nc_u32_e32 v179, v179, v166
	v_and_b32_e32 v178, v180, v178
	s_delay_alu instid0(VALU_DEP_4) | instskip(NEXT) | instid1(VALU_DEP_2)
	v_bfe_u32 v182, v181, 21, 1
	v_cmp_eq_u32_e64 s14, v178, v183
	s_delay_alu instid0(VALU_DEP_2) | instskip(NEXT) | instid1(VALU_DEP_1)
	v_add_nc_u32_e32 v180, -1, v182
	v_cndmask_b32_e64 v178, 0, v180, s14
	v_lshrrev_b32_e32 v180, 23, v181
	s_mov_b32 s14, exec_lo
	s_delay_alu instid0(VALU_DEP_2) | instskip(NEXT) | instid1(VALU_DEP_2)
	v_add_nc_u32_e32 v178, v178, v181
	v_xor_b32_e32 v180, 1, v180
	s_delay_alu instid0(VALU_DEP_2) | instskip(NEXT) | instid1(VALU_DEP_1)
	v_and_b32_e32 v166, 0x1fffff, v178
	v_add_nc_u32_e32 v178, v166, v181
                                        ; implicit-def: $vgpr166
	s_delay_alu instid0(VALU_DEP_3)
	v_cmpx_ne_u32_e64 v179, v180
	s_xor_b32 s14, exec_lo, s14
; %bb.4223:                             ;   in Loop: Header=BB2_3931 Depth=3
	s_delay_alu instid0(VALU_DEP_2) | instskip(SKIP_2) | instid1(VALU_DEP_2)
	v_cmp_lt_u32_e32 vcc_lo, 0xffffff, v178
	v_sub_nc_u32_e32 v166, v179, v180
	v_cndmask_b32_e64 v179, 0, 1, vcc_lo
	v_add_co_ci_u32_e32 v166, vcc_lo, 0, v166, vcc_lo
	s_delay_alu instid0(VALU_DEP_2)
	v_lshrrev_b32_e32 v178, v179, v178
; %bb.4224:                             ;   in Loop: Header=BB2_3931 Depth=3
	s_and_not1_saveexec_b32 s14, s14
; %bb.4225:                             ;   in Loop: Header=BB2_3931 Depth=3
	s_delay_alu instid0(VALU_DEP_1)
	v_bfe_u32 v166, v178, 23, 1
; %bb.4226:                             ;   in Loop: Header=BB2_3931 Depth=3
	s_or_b32 exec_lo, exec_lo, s14
	v_lshrrev_b32_e32 v178, 21, v178
	s_delay_alu instid0(VALU_DEP_2) | instskip(SKIP_2) | instid1(VALU_DEP_2)
	v_cmp_gt_i32_e32 vcc_lo, 32, v166
	v_min_i32_e32 v179, 31, v166
	v_lshrrev_b32_e32 v177, 24, v177
	v_dual_cndmask_b32 v178, 3, v178 :: v_dual_lshlrev_b32 v179, 2, v179
	s_delay_alu instid0(VALU_DEP_2) | instskip(NEXT) | instid1(VALU_DEP_2)
	v_and_b32_e32 v177, 0x80, v177
	v_or_b32_e32 v166, v166, v178
	v_and_b32_e32 v180, 3, v178
	s_delay_alu instid0(VALU_DEP_2) | instskip(SKIP_1) | instid1(VALU_DEP_1)
	v_cmp_ne_u32_e32 vcc_lo, 0, v166
	v_and_b32_e32 v179, 0xfc, v179
	v_or3_b32 v177, v177, v179, v180
	s_delay_alu instid0(VALU_DEP_1) | instskip(NEXT) | instid1(VALU_DEP_1)
	v_lshlrev_b32_e32 v177, 8, v177
	v_cndmask_b32_e32 v166, 0, v177, vcc_lo
.LBB2_4227:                             ;   in Loop: Header=BB2_3931 Depth=3
	s_or_b32 exec_lo, exec_lo, s34
.LBB2_4228:                             ;   in Loop: Header=BB2_3931 Depth=3
	s_delay_alu instid0(SALU_CYCLE_1) | instskip(SKIP_3) | instid1(VALU_DEP_1)
	s_or_b32 exec_lo, exec_lo, s15
	v_or_b32_e32 v167, v167, v164
	s_mov_b32 s14, 0
	s_mov_b32 s34, exec_lo
                                        ; implicit-def: $sgpr15
	v_and_b32_e32 v177, 0xff, v167
	s_delay_alu instid0(VALU_DEP_1)
	v_cmpx_lt_i16_e64 0x7f, v177
	s_xor_b32 s34, exec_lo, s34
	s_cbranch_execnz .LBB2_4503
; %bb.4229:                             ;   in Loop: Header=BB2_3931 Depth=3
	s_or_saveexec_b32 s34, s34
	v_mov_b32_e32 v164, s15
	s_xor_b32 exec_lo, exec_lo, s34
	s_cbranch_execnz .LBB2_4506
.LBB2_4230:                             ;   in Loop: Header=BB2_3931 Depth=3
	s_or_b32 exec_lo, exec_lo, s34
	v_lshl_or_b32 v167, v167, 16, v176
	s_and_saveexec_b32 s15, s14
	s_cbranch_execz .LBB2_4232
.LBB2_4231:                             ;   in Loop: Header=BB2_3931 Depth=3
	s_delay_alu instid0(VALU_DEP_1) | instskip(SKIP_1) | instid1(VALU_DEP_2)
	v_bfe_u32 v164, v167, 16, 2
	v_lshrrev_b32_e32 v177, 16, v167
	v_clz_i32_u32_e32 v176, v164
	s_delay_alu instid0(VALU_DEP_1) | instskip(NEXT) | instid1(VALU_DEP_1)
	v_min_u32_e32 v176, 32, v176
	v_subrev_nc_u32_e32 v178, 29, v176
	v_sub_nc_u32_e32 v176, 30, v176
	s_delay_alu instid0(VALU_DEP_2) | instskip(SKIP_1) | instid1(VALU_DEP_1)
	v_lshlrev_b32_e32 v177, v178, v177
	v_bfe_u32 v178, v167, 18, 5
	v_cmp_eq_u32_e32 vcc_lo, 0, v178
	s_delay_alu instid0(VALU_DEP_3) | instskip(NEXT) | instid1(VALU_DEP_1)
	v_dual_cndmask_b32 v176, v178, v176 :: v_dual_and_b32 v177, 3, v177
	v_dual_cndmask_b32 v164, v164, v177 :: v_dual_lshlrev_b32 v179, 8, v167
	s_delay_alu instid0(VALU_DEP_2) | instskip(NEXT) | instid1(VALU_DEP_2)
	v_lshl_add_u32 v176, v176, 23, 0x37800000
	v_and_b32_e32 v177, 0x80000000, v179
	s_delay_alu instid0(VALU_DEP_3) | instskip(NEXT) | instid1(VALU_DEP_1)
	v_lshlrev_b32_e32 v164, 21, v164
	v_or3_b32 v164, v177, v176, v164
.LBB2_4232:                             ;   in Loop: Header=BB2_3931 Depth=3
	s_or_b32 exec_lo, exec_lo, s15
	v_lshrrev_b32_e32 v176, 16, v9
	s_mov_b32 s14, 0
	s_mov_b32 s34, exec_lo
                                        ; implicit-def: $sgpr15
	s_delay_alu instid0(VALU_DEP_1) | instskip(NEXT) | instid1(VALU_DEP_1)
	v_and_b32_e32 v178, 0xff, v176
	v_cmpx_lt_i16_e64 0x7f, v178
	s_xor_b32 s34, exec_lo, s34
	s_cbranch_execnz .LBB2_4507
; %bb.4233:                             ;   in Loop: Header=BB2_3931 Depth=3
	s_or_saveexec_b32 s34, s34
	v_mov_b32_e32 v177, s15
	s_xor_b32 exec_lo, exec_lo, s34
	s_cbranch_execnz .LBB2_4510
.LBB2_4234:                             ;   in Loop: Header=BB2_3931 Depth=3
	s_or_b32 exec_lo, exec_lo, s34
	s_and_saveexec_b32 s15, s14
	s_cbranch_execz .LBB2_4236
.LBB2_4235:                             ;   in Loop: Header=BB2_3931 Depth=3
	v_bfe_u32 v177, v9, 16, 2
	v_lshlrev_b32_e32 v180, 8, v9
	s_delay_alu instid0(VALU_DEP_2) | instskip(NEXT) | instid1(VALU_DEP_1)
	v_clz_i32_u32_e32 v178, v177
	v_min_u32_e32 v178, 32, v178
	s_delay_alu instid0(VALU_DEP_1) | instskip(SKIP_1) | instid1(VALU_DEP_2)
	v_subrev_nc_u32_e32 v179, 29, v178
	v_sub_nc_u32_e32 v178, 30, v178
	v_lshlrev_b32_e32 v176, v179, v176
	v_bfe_u32 v179, v9, 18, 5
	s_delay_alu instid0(VALU_DEP_2) | instskip(NEXT) | instid1(VALU_DEP_2)
	v_and_b32_e32 v176, 3, v176
	v_cmp_eq_u32_e32 vcc_lo, 0, v179
	v_cndmask_b32_e32 v178, v179, v178, vcc_lo
	s_delay_alu instid0(VALU_DEP_3) | instskip(SKIP_1) | instid1(VALU_DEP_3)
	v_cndmask_b32_e32 v176, v177, v176, vcc_lo
	v_and_b32_e32 v177, 0x80000000, v180
	v_lshl_add_u32 v178, v178, 23, 0x37800000
	s_delay_alu instid0(VALU_DEP_3) | instskip(NEXT) | instid1(VALU_DEP_1)
	v_lshlrev_b32_e32 v176, 21, v176
	v_or3_b32 v177, v177, v178, v176
.LBB2_4236:                             ;   in Loop: Header=BB2_3931 Depth=3
	s_or_b32 exec_lo, exec_lo, s15
	s_delay_alu instid0(VALU_DEP_1) | instskip(NEXT) | instid1(VALU_DEP_1)
	v_add_f32_e32 v176, v164, v177
	v_and_b32_e32 v164, 0x7f800000, v176
	s_delay_alu instid0(VALU_DEP_1)
	v_cmp_ne_u32_e32 vcc_lo, 0x7f800000, v164
	v_mov_b32_e32 v164, 0x80
	s_and_saveexec_b32 s15, vcc_lo
	s_cbranch_execz .LBB2_4244
; %bb.4237:                             ;   in Loop: Header=BB2_3931 Depth=3
	v_mov_b32_e32 v164, 0
	s_mov_b32 s34, exec_lo
	v_cmpx_ne_u32_e32 0, v176
	s_cbranch_execz .LBB2_4243
; %bb.4238:                             ;   in Loop: Header=BB2_3931 Depth=3
	v_bfe_u32 v164, v176, 23, 8
	s_delay_alu instid0(VALU_DEP_1) | instskip(SKIP_1) | instid1(VALU_DEP_2)
	v_sub_nc_u32_e32 v178, 0x70, v164
	v_cmp_gt_u32_e32 vcc_lo, 0x71, v164
	v_dual_cndmask_b32 v178, 0, v178 :: v_dual_and_b32 v177, 0x7fffff, v176
	s_delay_alu instid0(VALU_DEP_1) | instskip(SKIP_2) | instid1(VALU_DEP_4)
	v_or_b32_e32 v179, 0x800000, v177
	v_cmp_eq_u32_e32 vcc_lo, 0, v164
	v_add_nc_u32_e32 v164, 0xffffff91, v164
	v_cndmask_b32_e64 v178, v178, 0x6f, vcc_lo
	s_delay_alu instid0(VALU_DEP_4) | instskip(NEXT) | instid1(VALU_DEP_3)
	v_cndmask_b32_e32 v177, v179, v177, vcc_lo
	v_cndmask_b32_e64 v164, v164, 0xffffff92, vcc_lo
	s_delay_alu instid0(VALU_DEP_3) | instskip(NEXT) | instid1(VALU_DEP_3)
	v_lshl_add_u32 v179, 0x200000, v178, -1
	v_lshrrev_b32_e32 v180, v178, v177
	v_lshlrev_b32_e64 v182, v178, 0x100000
	s_delay_alu instid0(VALU_DEP_4) | instskip(NEXT) | instid1(VALU_DEP_4)
	v_add_nc_u32_e32 v178, v178, v164
	v_and_b32_e32 v177, v179, v177
	s_delay_alu instid0(VALU_DEP_4) | instskip(NEXT) | instid1(VALU_DEP_2)
	v_bfe_u32 v181, v180, 21, 1
	v_cmp_eq_u32_e64 s14, v177, v182
	s_delay_alu instid0(VALU_DEP_2) | instskip(NEXT) | instid1(VALU_DEP_1)
	v_add_nc_u32_e32 v179, -1, v181
	v_cndmask_b32_e64 v177, 0, v179, s14
	v_lshrrev_b32_e32 v179, 23, v180
	s_mov_b32 s14, exec_lo
	s_delay_alu instid0(VALU_DEP_2) | instskip(NEXT) | instid1(VALU_DEP_2)
	v_add_nc_u32_e32 v177, v177, v180
	v_xor_b32_e32 v179, 1, v179
	s_delay_alu instid0(VALU_DEP_2) | instskip(NEXT) | instid1(VALU_DEP_1)
	v_and_b32_e32 v164, 0x1fffff, v177
	v_add_nc_u32_e32 v177, v164, v180
                                        ; implicit-def: $vgpr164
	s_delay_alu instid0(VALU_DEP_3)
	v_cmpx_ne_u32_e64 v178, v179
	s_xor_b32 s14, exec_lo, s14
; %bb.4239:                             ;   in Loop: Header=BB2_3931 Depth=3
	s_delay_alu instid0(VALU_DEP_2) | instskip(SKIP_2) | instid1(VALU_DEP_2)
	v_cmp_lt_u32_e32 vcc_lo, 0xffffff, v177
	v_sub_nc_u32_e32 v164, v178, v179
	v_cndmask_b32_e64 v178, 0, 1, vcc_lo
	v_add_co_ci_u32_e32 v164, vcc_lo, 0, v164, vcc_lo
	s_delay_alu instid0(VALU_DEP_2)
	v_lshrrev_b32_e32 v177, v178, v177
; %bb.4240:                             ;   in Loop: Header=BB2_3931 Depth=3
	s_and_not1_saveexec_b32 s14, s14
; %bb.4241:                             ;   in Loop: Header=BB2_3931 Depth=3
	s_delay_alu instid0(VALU_DEP_1)
	v_bfe_u32 v164, v177, 23, 1
; %bb.4242:                             ;   in Loop: Header=BB2_3931 Depth=3
	s_or_b32 exec_lo, exec_lo, s14
	v_lshrrev_b32_e32 v177, 21, v177
	s_delay_alu instid0(VALU_DEP_2) | instskip(SKIP_2) | instid1(VALU_DEP_2)
	v_cmp_gt_i32_e32 vcc_lo, 32, v164
	v_min_i32_e32 v178, 31, v164
	v_lshrrev_b32_e32 v176, 24, v176
	v_dual_cndmask_b32 v177, 3, v177 :: v_dual_lshlrev_b32 v178, 2, v178
	s_delay_alu instid0(VALU_DEP_2) | instskip(NEXT) | instid1(VALU_DEP_2)
	v_and_b32_e32 v176, 0x80, v176
	v_or_b32_e32 v164, v164, v177
	s_delay_alu instid0(VALU_DEP_3) | instskip(NEXT) | instid1(VALU_DEP_2)
	v_and_b32_e32 v178, 0xfc, v178
	v_cmp_ne_u32_e32 vcc_lo, 0, v164
	v_and_b32_e32 v179, 3, v177
	s_delay_alu instid0(VALU_DEP_1) | instskip(NEXT) | instid1(VALU_DEP_1)
	v_or3_b32 v176, v178, v176, v179
	v_cndmask_b32_e32 v164, 0, v176, vcc_lo
.LBB2_4243:                             ;   in Loop: Header=BB2_3931 Depth=3
	s_or_b32 exec_lo, exec_lo, s34
.LBB2_4244:                             ;   in Loop: Header=BB2_3931 Depth=3
	s_delay_alu instid0(SALU_CYCLE_1) | instskip(SKIP_3) | instid1(VALU_DEP_1)
	s_or_b32 exec_lo, exec_lo, s15
	v_lshrrev_b32_e32 v177, 24, v167
	s_mov_b32 s14, 0
	s_mov_b32 s34, exec_lo
                                        ; implicit-def: $sgpr15
	v_cmpx_lt_i16_e64 0x7f, v177
	s_xor_b32 s34, exec_lo, s34
	s_cbranch_execnz .LBB2_4511
; %bb.4245:                             ;   in Loop: Header=BB2_3931 Depth=3
	s_or_saveexec_b32 s34, s34
	v_mov_b32_e32 v176, s15
	s_xor_b32 exec_lo, exec_lo, s34
	s_cbranch_execnz .LBB2_4514
.LBB2_4246:                             ;   in Loop: Header=BB2_3931 Depth=3
	s_or_b32 exec_lo, exec_lo, s34
	s_and_saveexec_b32 s15, s14
	s_cbranch_execz .LBB2_4248
.LBB2_4247:                             ;   in Loop: Header=BB2_3931 Depth=3
	v_bfe_u32 v176, v167, 24, 2
	s_delay_alu instid0(VALU_DEP_1) | instskip(NEXT) | instid1(VALU_DEP_1)
	v_clz_i32_u32_e32 v178, v176
	v_min_u32_e32 v178, 32, v178
	s_delay_alu instid0(VALU_DEP_1) | instskip(SKIP_1) | instid1(VALU_DEP_2)
	v_subrev_nc_u32_e32 v179, 29, v178
	v_sub_nc_u32_e32 v178, 30, v178
	v_lshlrev_b32_e32 v177, v179, v177
	v_bfe_u32 v179, v167, 26, 5
	v_and_b32_e32 v167, 0x80000000, v167
	s_delay_alu instid0(VALU_DEP_2) | instskip(NEXT) | instid1(VALU_DEP_4)
	v_cmp_eq_u32_e32 vcc_lo, 0, v179
	v_dual_cndmask_b32 v178, v179, v178 :: v_dual_and_b32 v177, 3, v177
	s_delay_alu instid0(VALU_DEP_1) | instskip(NEXT) | instid1(VALU_DEP_2)
	v_cndmask_b32_e32 v176, v176, v177, vcc_lo
	v_lshl_add_u32 v177, v178, 23, 0x37800000
	s_delay_alu instid0(VALU_DEP_2) | instskip(NEXT) | instid1(VALU_DEP_1)
	v_lshlrev_b32_e32 v176, 21, v176
	v_or3_b32 v176, v167, v177, v176
.LBB2_4248:                             ;   in Loop: Header=BB2_3931 Depth=3
	s_or_b32 exec_lo, exec_lo, s15
	v_lshrrev_b32_e32 v167, 24, v9
	s_mov_b32 s14, 0
	s_mov_b32 s34, exec_lo
                                        ; implicit-def: $sgpr15
	s_delay_alu instid0(VALU_DEP_1)
	v_cmpx_lt_i16_e64 0x7f, v167
	s_xor_b32 s34, exec_lo, s34
	s_cbranch_execnz .LBB2_4515
; %bb.4249:                             ;   in Loop: Header=BB2_3931 Depth=3
	s_or_saveexec_b32 s34, s34
	v_mov_b32_e32 v177, s15
	s_xor_b32 exec_lo, exec_lo, s34
	s_cbranch_execnz .LBB2_4518
.LBB2_4250:                             ;   in Loop: Header=BB2_3931 Depth=3
	s_or_b32 exec_lo, exec_lo, s34
	s_and_saveexec_b32 s15, s14
	s_cbranch_execz .LBB2_4252
.LBB2_4251:                             ;   in Loop: Header=BB2_3931 Depth=3
	v_bfe_u32 v177, v9, 24, 2
	s_delay_alu instid0(VALU_DEP_1) | instskip(NEXT) | instid1(VALU_DEP_1)
	v_clz_i32_u32_e32 v178, v177
	v_min_u32_e32 v178, 32, v178
	s_delay_alu instid0(VALU_DEP_1) | instskip(SKIP_1) | instid1(VALU_DEP_2)
	v_subrev_nc_u32_e32 v179, 29, v178
	v_sub_nc_u32_e32 v178, 30, v178
	v_lshlrev_b32_e32 v167, v179, v167
	v_bfe_u32 v179, v9, 26, 5
	v_and_b32_e32 v9, 0x80000000, v9
	s_delay_alu instid0(VALU_DEP_2) | instskip(NEXT) | instid1(VALU_DEP_4)
	v_cmp_eq_u32_e32 vcc_lo, 0, v179
	v_dual_cndmask_b32 v178, v179, v178 :: v_dual_and_b32 v167, 3, v167
	s_delay_alu instid0(VALU_DEP_1) | instskip(NEXT) | instid1(VALU_DEP_2)
	v_cndmask_b32_e32 v167, v177, v167, vcc_lo
	v_lshl_add_u32 v177, v178, 23, 0x37800000
	s_delay_alu instid0(VALU_DEP_2) | instskip(NEXT) | instid1(VALU_DEP_1)
	v_lshlrev_b32_e32 v167, 21, v167
	v_or3_b32 v177, v9, v177, v167
.LBB2_4252:                             ;   in Loop: Header=BB2_3931 Depth=3
	s_or_b32 exec_lo, exec_lo, s15
	s_delay_alu instid0(VALU_DEP_1) | instskip(NEXT) | instid1(VALU_DEP_1)
	v_add_f32_e32 v167, v176, v177
	v_and_b32_e32 v9, 0x7f800000, v167
	s_delay_alu instid0(VALU_DEP_1)
	v_cmp_ne_u32_e32 vcc_lo, 0x7f800000, v9
	v_mov_b32_e32 v9, 0x8000
	s_and_saveexec_b32 s15, vcc_lo
	s_cbranch_execz .LBB2_4260
; %bb.4253:                             ;   in Loop: Header=BB2_3931 Depth=3
	v_mov_b32_e32 v9, 0
	s_mov_b32 s34, exec_lo
	v_cmpx_ne_u32_e32 0, v167
	s_cbranch_execz .LBB2_4259
; %bb.4254:                             ;   in Loop: Header=BB2_3931 Depth=3
	v_bfe_u32 v9, v167, 23, 8
	s_delay_alu instid0(VALU_DEP_1) | instskip(SKIP_1) | instid1(VALU_DEP_2)
	v_sub_nc_u32_e32 v177, 0x70, v9
	v_cmp_gt_u32_e32 vcc_lo, 0x71, v9
	v_dual_cndmask_b32 v177, 0, v177 :: v_dual_and_b32 v176, 0x7fffff, v167
	s_delay_alu instid0(VALU_DEP_1) | instskip(SKIP_2) | instid1(VALU_DEP_4)
	v_or_b32_e32 v178, 0x800000, v176
	v_cmp_eq_u32_e32 vcc_lo, 0, v9
	v_add_nc_u32_e32 v9, 0xffffff91, v9
	v_cndmask_b32_e64 v177, v177, 0x6f, vcc_lo
	s_delay_alu instid0(VALU_DEP_4) | instskip(NEXT) | instid1(VALU_DEP_3)
	v_cndmask_b32_e32 v176, v178, v176, vcc_lo
	v_cndmask_b32_e64 v9, v9, 0xffffff92, vcc_lo
	s_delay_alu instid0(VALU_DEP_3) | instskip(NEXT) | instid1(VALU_DEP_3)
	v_lshl_add_u32 v178, 0x200000, v177, -1
	v_lshrrev_b32_e32 v179, v177, v176
	v_lshlrev_b32_e64 v181, v177, 0x100000
	s_delay_alu instid0(VALU_DEP_4) | instskip(NEXT) | instid1(VALU_DEP_4)
	v_add_nc_u32_e32 v177, v177, v9
	v_and_b32_e32 v176, v178, v176
	s_delay_alu instid0(VALU_DEP_4) | instskip(NEXT) | instid1(VALU_DEP_2)
	v_bfe_u32 v180, v179, 21, 1
	v_cmp_eq_u32_e64 s14, v176, v181
	s_delay_alu instid0(VALU_DEP_2) | instskip(NEXT) | instid1(VALU_DEP_1)
	v_add_nc_u32_e32 v178, -1, v180
	v_cndmask_b32_e64 v176, 0, v178, s14
	v_lshrrev_b32_e32 v178, 23, v179
	s_mov_b32 s14, exec_lo
	s_delay_alu instid0(VALU_DEP_2) | instskip(NEXT) | instid1(VALU_DEP_2)
	v_add_nc_u32_e32 v176, v176, v179
	v_xor_b32_e32 v178, 1, v178
	s_delay_alu instid0(VALU_DEP_2) | instskip(NEXT) | instid1(VALU_DEP_1)
	v_and_b32_e32 v9, 0x1fffff, v176
	v_add_nc_u32_e32 v176, v9, v179
                                        ; implicit-def: $vgpr9
	s_delay_alu instid0(VALU_DEP_3)
	v_cmpx_ne_u32_e64 v177, v178
	s_xor_b32 s14, exec_lo, s14
; %bb.4255:                             ;   in Loop: Header=BB2_3931 Depth=3
	s_delay_alu instid0(VALU_DEP_2) | instskip(SKIP_2) | instid1(VALU_DEP_2)
	v_cmp_lt_u32_e32 vcc_lo, 0xffffff, v176
	v_sub_nc_u32_e32 v9, v177, v178
	v_cndmask_b32_e64 v177, 0, 1, vcc_lo
	v_add_co_ci_u32_e32 v9, vcc_lo, 0, v9, vcc_lo
	s_delay_alu instid0(VALU_DEP_2)
	v_lshrrev_b32_e32 v176, v177, v176
; %bb.4256:                             ;   in Loop: Header=BB2_3931 Depth=3
	s_and_not1_saveexec_b32 s14, s14
; %bb.4257:                             ;   in Loop: Header=BB2_3931 Depth=3
	s_delay_alu instid0(VALU_DEP_1)
	v_bfe_u32 v9, v176, 23, 1
; %bb.4258:                             ;   in Loop: Header=BB2_3931 Depth=3
	s_or_b32 exec_lo, exec_lo, s14
	v_lshrrev_b32_e32 v176, 21, v176
	s_delay_alu instid0(VALU_DEP_2) | instskip(SKIP_2) | instid1(VALU_DEP_2)
	v_cmp_gt_i32_e32 vcc_lo, 32, v9
	v_min_i32_e32 v177, 31, v9
	v_lshrrev_b32_e32 v167, 24, v167
	v_dual_cndmask_b32 v176, 3, v176 :: v_dual_lshlrev_b32 v177, 2, v177
	s_delay_alu instid0(VALU_DEP_2) | instskip(NEXT) | instid1(VALU_DEP_2)
	v_and_b32_e32 v167, 0x80, v167
	v_or_b32_e32 v9, v9, v176
	s_delay_alu instid0(VALU_DEP_3) | instskip(NEXT) | instid1(VALU_DEP_2)
	v_and_b32_e32 v177, 0xfc, v177
	v_cmp_ne_u32_e32 vcc_lo, 0, v9
	v_and_b32_e32 v178, 3, v176
	s_delay_alu instid0(VALU_DEP_1) | instskip(NEXT) | instid1(VALU_DEP_1)
	v_or3_b32 v167, v167, v177, v178
	v_lshlrev_b32_e32 v167, 8, v167
	s_delay_alu instid0(VALU_DEP_1)
	v_cndmask_b32_e32 v9, 0, v167, vcc_lo
.LBB2_4259:                             ;   in Loop: Header=BB2_3931 Depth=3
	s_or_b32 exec_lo, exec_lo, s34
.LBB2_4260:                             ;   in Loop: Header=BB2_3931 Depth=3
	s_delay_alu instid0(SALU_CYCLE_1) | instskip(SKIP_3) | instid1(VALU_DEP_1)
	s_or_b32 exec_lo, exec_lo, s15
	v_and_b32_e32 v176, 0xff, v162
	s_mov_b32 s14, 0
	s_mov_b32 s34, exec_lo
                                        ; implicit-def: $sgpr15
	v_cmpx_lt_i16_e64 0x7f, v176
	s_xor_b32 s34, exec_lo, s34
	s_cbranch_execnz .LBB2_4519
; %bb.4261:                             ;   in Loop: Header=BB2_3931 Depth=3
	s_or_saveexec_b32 s34, s34
	v_mov_b32_e32 v167, s15
	s_xor_b32 exec_lo, exec_lo, s34
	s_cbranch_execnz .LBB2_4522
.LBB2_4262:                             ;   in Loop: Header=BB2_3931 Depth=3
	s_or_b32 exec_lo, exec_lo, s34
	s_and_saveexec_b32 s15, s14
	s_cbranch_execz .LBB2_4264
.LBB2_4263:                             ;   in Loop: Header=BB2_3931 Depth=3
	v_bfe_u32 v178, v162, 2, 5
	s_delay_alu instid0(VALU_DEP_1) | instskip(SKIP_1) | instid1(VALU_DEP_1)
	v_cmp_eq_u32_e32 vcc_lo, 0, v178
	v_and_b32_e32 v167, 3, v162
	v_clz_i32_u32_e32 v176, v167
	s_delay_alu instid0(VALU_DEP_1) | instskip(NEXT) | instid1(VALU_DEP_1)
	v_min_u32_e32 v176, 32, v176
	v_subrev_nc_u32_e32 v177, 29, v176
	v_sub_nc_u32_e32 v176, 30, v176
	s_delay_alu instid0(VALU_DEP_1) | instskip(NEXT) | instid1(VALU_DEP_1)
	v_dual_cndmask_b32 v176, v178, v176 :: v_dual_lshlrev_b32 v177, v177, v162
	v_and_b32_e32 v177, 3, v177
	v_lshlrev_b32_e32 v162, 24, v162
	s_delay_alu instid0(VALU_DEP_3) | instskip(NEXT) | instid1(VALU_DEP_2)
	v_lshl_add_u32 v176, v176, 23, 0x37800000
	v_dual_cndmask_b32 v167, v167, v177 :: v_dual_and_b32 v162, 0x80000000, v162
	s_delay_alu instid0(VALU_DEP_1) | instskip(NEXT) | instid1(VALU_DEP_1)
	v_lshlrev_b32_e32 v167, 21, v167
	v_or3_b32 v167, v162, v176, v167
.LBB2_4264:                             ;   in Loop: Header=BB2_3931 Depth=3
	s_or_b32 exec_lo, exec_lo, s15
	v_and_b32_e32 v176, 0xff, v10
	s_mov_b32 s14, 0
	s_mov_b32 s34, exec_lo
                                        ; implicit-def: $sgpr15
	s_delay_alu instid0(VALU_DEP_1)
	v_cmpx_lt_i16_e64 0x7f, v176
	s_xor_b32 s34, exec_lo, s34
	s_cbranch_execnz .LBB2_4523
; %bb.4265:                             ;   in Loop: Header=BB2_3931 Depth=3
	s_or_saveexec_b32 s34, s34
	v_mov_b32_e32 v162, s15
	s_xor_b32 exec_lo, exec_lo, s34
	s_cbranch_execnz .LBB2_4526
.LBB2_4266:                             ;   in Loop: Header=BB2_3931 Depth=3
	s_or_b32 exec_lo, exec_lo, s34
	s_and_saveexec_b32 s15, s14
	s_cbranch_execz .LBB2_4268
.LBB2_4267:                             ;   in Loop: Header=BB2_3931 Depth=3
	v_and_b32_e32 v162, 3, v10
	v_bfe_u32 v178, v10, 2, 5
	s_delay_alu instid0(VALU_DEP_2) | instskip(NEXT) | instid1(VALU_DEP_2)
	v_clz_i32_u32_e32 v176, v162
	v_cmp_eq_u32_e32 vcc_lo, 0, v178
	s_delay_alu instid0(VALU_DEP_2) | instskip(NEXT) | instid1(VALU_DEP_1)
	v_min_u32_e32 v176, 32, v176
	v_subrev_nc_u32_e32 v177, 29, v176
	v_sub_nc_u32_e32 v176, 30, v176
	s_delay_alu instid0(VALU_DEP_1) | instskip(NEXT) | instid1(VALU_DEP_1)
	v_dual_cndmask_b32 v176, v178, v176 :: v_dual_lshlrev_b32 v177, v177, v10
	v_and_b32_e32 v177, 3, v177
	v_lshlrev_b32_e32 v179, 24, v10
	s_delay_alu instid0(VALU_DEP_3) | instskip(NEXT) | instid1(VALU_DEP_2)
	v_lshl_add_u32 v176, v176, 23, 0x37800000
	v_dual_cndmask_b32 v162, v162, v177 :: v_dual_and_b32 v177, 0x80000000, v179
	s_delay_alu instid0(VALU_DEP_1) | instskip(NEXT) | instid1(VALU_DEP_1)
	v_lshlrev_b32_e32 v162, 21, v162
	v_or3_b32 v162, v177, v176, v162
.LBB2_4268:                             ;   in Loop: Header=BB2_3931 Depth=3
	s_or_b32 exec_lo, exec_lo, s15
	s_delay_alu instid0(VALU_DEP_1) | instskip(NEXT) | instid1(VALU_DEP_1)
	v_add_f32_e32 v167, v167, v162
	v_and_b32_e32 v162, 0x7f800000, v167
	s_delay_alu instid0(VALU_DEP_1)
	v_cmp_ne_u32_e32 vcc_lo, 0x7f800000, v162
	v_mov_b32_e32 v162, 0x80
	s_and_saveexec_b32 s15, vcc_lo
	s_cbranch_execz .LBB2_4276
; %bb.4269:                             ;   in Loop: Header=BB2_3931 Depth=3
	v_mov_b32_e32 v162, 0
	s_mov_b32 s34, exec_lo
	v_cmpx_ne_u32_e32 0, v167
	s_cbranch_execz .LBB2_4275
; %bb.4270:                             ;   in Loop: Header=BB2_3931 Depth=3
	v_bfe_u32 v162, v167, 23, 8
	s_delay_alu instid0(VALU_DEP_1) | instskip(SKIP_1) | instid1(VALU_DEP_2)
	v_sub_nc_u32_e32 v177, 0x70, v162
	v_cmp_gt_u32_e32 vcc_lo, 0x71, v162
	v_dual_cndmask_b32 v177, 0, v177 :: v_dual_and_b32 v176, 0x7fffff, v167
	s_delay_alu instid0(VALU_DEP_1) | instskip(SKIP_2) | instid1(VALU_DEP_4)
	v_or_b32_e32 v178, 0x800000, v176
	v_cmp_eq_u32_e32 vcc_lo, 0, v162
	v_add_nc_u32_e32 v162, 0xffffff91, v162
	v_cndmask_b32_e64 v177, v177, 0x6f, vcc_lo
	s_delay_alu instid0(VALU_DEP_2) | instskip(SKIP_1) | instid1(VALU_DEP_3)
	v_cndmask_b32_e64 v162, v162, 0xffffff92, vcc_lo
	v_cndmask_b32_e32 v176, v178, v176, vcc_lo
	v_lshl_add_u32 v178, 0x200000, v177, -1
	v_lshlrev_b32_e64 v181, v177, 0x100000
	s_delay_alu instid0(VALU_DEP_3) | instskip(SKIP_1) | instid1(VALU_DEP_4)
	v_lshrrev_b32_e32 v179, v177, v176
	v_add_nc_u32_e32 v177, v177, v162
	v_and_b32_e32 v176, v178, v176
	s_delay_alu instid0(VALU_DEP_3) | instskip(NEXT) | instid1(VALU_DEP_2)
	v_bfe_u32 v180, v179, 21, 1
	v_cmp_eq_u32_e64 s14, v176, v181
	s_delay_alu instid0(VALU_DEP_2) | instskip(NEXT) | instid1(VALU_DEP_1)
	v_add_nc_u32_e32 v178, -1, v180
	v_cndmask_b32_e64 v176, 0, v178, s14
	v_lshrrev_b32_e32 v178, 23, v179
	s_mov_b32 s14, exec_lo
	s_delay_alu instid0(VALU_DEP_2) | instskip(NEXT) | instid1(VALU_DEP_2)
	v_add_nc_u32_e32 v176, v176, v179
	v_xor_b32_e32 v178, 1, v178
	s_delay_alu instid0(VALU_DEP_2) | instskip(NEXT) | instid1(VALU_DEP_1)
	v_and_b32_e32 v162, 0x1fffff, v176
	v_add_nc_u32_e32 v176, v162, v179
                                        ; implicit-def: $vgpr162
	s_delay_alu instid0(VALU_DEP_3)
	v_cmpx_ne_u32_e64 v177, v178
	s_xor_b32 s14, exec_lo, s14
; %bb.4271:                             ;   in Loop: Header=BB2_3931 Depth=3
	s_delay_alu instid0(VALU_DEP_2) | instskip(SKIP_2) | instid1(VALU_DEP_2)
	v_cmp_lt_u32_e32 vcc_lo, 0xffffff, v176
	v_sub_nc_u32_e32 v162, v177, v178
	v_cndmask_b32_e64 v177, 0, 1, vcc_lo
	v_add_co_ci_u32_e32 v162, vcc_lo, 0, v162, vcc_lo
	s_delay_alu instid0(VALU_DEP_2)
	v_lshrrev_b32_e32 v176, v177, v176
; %bb.4272:                             ;   in Loop: Header=BB2_3931 Depth=3
	s_and_not1_saveexec_b32 s14, s14
; %bb.4273:                             ;   in Loop: Header=BB2_3931 Depth=3
	s_delay_alu instid0(VALU_DEP_1)
	v_bfe_u32 v162, v176, 23, 1
; %bb.4274:                             ;   in Loop: Header=BB2_3931 Depth=3
	s_or_b32 exec_lo, exec_lo, s14
	v_lshrrev_b32_e32 v176, 21, v176
	s_delay_alu instid0(VALU_DEP_2) | instskip(SKIP_2) | instid1(VALU_DEP_2)
	v_cmp_gt_i32_e32 vcc_lo, 32, v162
	v_lshrrev_b32_e32 v167, 24, v167
	v_min_i32_e32 v177, 31, v162
	v_dual_cndmask_b32 v176, 3, v176 :: v_dual_and_b32 v167, 0x80, v167
	s_delay_alu instid0(VALU_DEP_1) | instskip(SKIP_1) | instid1(VALU_DEP_2)
	v_or_b32_e32 v162, v162, v176
	v_and_b32_e32 v178, 3, v176
	v_cmp_ne_u32_e32 vcc_lo, 0, v162
	v_lshlrev_b32_e32 v177, 2, v177
	s_delay_alu instid0(VALU_DEP_1) | instskip(NEXT) | instid1(VALU_DEP_1)
	v_or3_b32 v167, v177, v167, v178
	v_cndmask_b32_e32 v162, 0, v167, vcc_lo
.LBB2_4275:                             ;   in Loop: Header=BB2_3931 Depth=3
	s_or_b32 exec_lo, exec_lo, s34
.LBB2_4276:                             ;   in Loop: Header=BB2_3931 Depth=3
	s_delay_alu instid0(SALU_CYCLE_1) | instskip(SKIP_3) | instid1(VALU_DEP_1)
	s_or_b32 exec_lo, exec_lo, s15
	v_and_b32_e32 v176, 0xff, v160
	s_mov_b32 s14, 0
	s_mov_b32 s34, exec_lo
                                        ; implicit-def: $sgpr15
	v_cmpx_lt_i16_e64 0x7f, v176
	s_xor_b32 s34, exec_lo, s34
	s_cbranch_execnz .LBB2_4527
; %bb.4277:                             ;   in Loop: Header=BB2_3931 Depth=3
	s_or_saveexec_b32 s34, s34
	v_mov_b32_e32 v167, s15
	s_xor_b32 exec_lo, exec_lo, s34
	s_cbranch_execnz .LBB2_4530
.LBB2_4278:                             ;   in Loop: Header=BB2_3931 Depth=3
	s_or_b32 exec_lo, exec_lo, s34
	s_and_saveexec_b32 s15, s14
	s_cbranch_execz .LBB2_4280
.LBB2_4279:                             ;   in Loop: Header=BB2_3931 Depth=3
	v_and_b32_e32 v167, 3, v160
	v_bfe_u32 v178, v160, 2, 5
	s_delay_alu instid0(VALU_DEP_2) | instskip(NEXT) | instid1(VALU_DEP_2)
	v_clz_i32_u32_e32 v176, v167
	v_cmp_eq_u32_e32 vcc_lo, 0, v178
	s_delay_alu instid0(VALU_DEP_2) | instskip(NEXT) | instid1(VALU_DEP_1)
	v_min_u32_e32 v176, 32, v176
	v_subrev_nc_u32_e32 v177, 29, v176
	v_sub_nc_u32_e32 v176, 30, v176
	s_delay_alu instid0(VALU_DEP_2) | instskip(NEXT) | instid1(VALU_DEP_1)
	v_lshlrev_b32_e32 v177, v177, v160
	v_dual_cndmask_b32 v176, v178, v176 :: v_dual_and_b32 v177, 3, v177
	v_lshlrev_b32_e32 v160, 24, v160
	s_delay_alu instid0(VALU_DEP_2) | instskip(NEXT) | instid1(VALU_DEP_2)
	v_lshl_add_u32 v176, v176, 23, 0x37800000
	v_dual_cndmask_b32 v167, v167, v177 :: v_dual_and_b32 v160, 0x80000000, v160
	s_delay_alu instid0(VALU_DEP_1) | instskip(NEXT) | instid1(VALU_DEP_1)
	v_lshlrev_b32_e32 v167, 21, v167
	v_or3_b32 v167, v160, v176, v167
.LBB2_4280:                             ;   in Loop: Header=BB2_3931 Depth=3
	s_or_b32 exec_lo, exec_lo, s15
	v_lshrrev_b16 v160, 8, v10
	s_mov_b32 s14, 0
	s_mov_b32 s34, exec_lo
                                        ; implicit-def: $sgpr15
	s_delay_alu instid0(VALU_DEP_1)
	v_cmpx_lt_i16_e64 0x7f, v160
	s_xor_b32 s34, exec_lo, s34
	s_cbranch_execnz .LBB2_4531
; %bb.4281:                             ;   in Loop: Header=BB2_3931 Depth=3
	s_or_saveexec_b32 s34, s34
	v_mov_b32_e32 v176, s15
	s_xor_b32 exec_lo, exec_lo, s34
	s_cbranch_execnz .LBB2_4534
.LBB2_4282:                             ;   in Loop: Header=BB2_3931 Depth=3
	s_or_b32 exec_lo, exec_lo, s34
	s_and_saveexec_b32 s15, s14
	s_cbranch_execz .LBB2_4284
.LBB2_4283:                             ;   in Loop: Header=BB2_3931 Depth=3
	v_and_b32_e32 v176, 0xffff, v160
	v_lshlrev_b32_e32 v160, 24, v160
	s_delay_alu instid0(VALU_DEP_2) | instskip(NEXT) | instid1(VALU_DEP_2)
	v_and_b32_e32 v177, 3, v176
	v_and_b32_e32 v160, 0x80000000, v160
	s_delay_alu instid0(VALU_DEP_2) | instskip(NEXT) | instid1(VALU_DEP_1)
	v_clz_i32_u32_e32 v178, v177
	v_min_u32_e32 v178, 32, v178
	s_delay_alu instid0(VALU_DEP_1) | instskip(SKIP_1) | instid1(VALU_DEP_2)
	v_subrev_nc_u32_e32 v179, 29, v178
	v_sub_nc_u32_e32 v178, 30, v178
	v_lshlrev_b32_e32 v179, v179, v176
	v_bfe_u32 v176, v176, 2, 5
	s_delay_alu instid0(VALU_DEP_2) | instskip(NEXT) | instid1(VALU_DEP_2)
	v_and_b32_e32 v179, 3, v179
	v_cmp_eq_u32_e32 vcc_lo, 0, v176
	s_delay_alu instid0(VALU_DEP_2) | instskip(NEXT) | instid1(VALU_DEP_1)
	v_dual_cndmask_b32 v176, v176, v178 :: v_dual_cndmask_b32 v177, v177, v179
	v_lshl_add_u32 v176, v176, 23, 0x37800000
	s_delay_alu instid0(VALU_DEP_2) | instskip(NEXT) | instid1(VALU_DEP_1)
	v_lshlrev_b32_e32 v177, 21, v177
	v_or3_b32 v176, v160, v176, v177
.LBB2_4284:                             ;   in Loop: Header=BB2_3931 Depth=3
	s_or_b32 exec_lo, exec_lo, s15
	s_delay_alu instid0(VALU_DEP_1) | instskip(NEXT) | instid1(VALU_DEP_1)
	v_add_f32_e32 v167, v167, v176
	v_and_b32_e32 v160, 0x7f800000, v167
	s_delay_alu instid0(VALU_DEP_1)
	v_cmp_ne_u32_e32 vcc_lo, 0x7f800000, v160
	v_mov_b32_e32 v160, 0x80
	s_and_saveexec_b32 s15, vcc_lo
	s_cbranch_execz .LBB2_4292
; %bb.4285:                             ;   in Loop: Header=BB2_3931 Depth=3
	v_mov_b32_e32 v160, 0
	s_mov_b32 s34, exec_lo
	v_cmpx_ne_u32_e32 0, v167
	s_cbranch_execz .LBB2_4291
; %bb.4286:                             ;   in Loop: Header=BB2_3931 Depth=3
	v_bfe_u32 v160, v167, 23, 8
	s_delay_alu instid0(VALU_DEP_1) | instskip(SKIP_1) | instid1(VALU_DEP_2)
	v_sub_nc_u32_e32 v177, 0x70, v160
	v_cmp_gt_u32_e32 vcc_lo, 0x71, v160
	v_dual_cndmask_b32 v177, 0, v177 :: v_dual_and_b32 v176, 0x7fffff, v167
	s_delay_alu instid0(VALU_DEP_1) | instskip(SKIP_2) | instid1(VALU_DEP_4)
	v_or_b32_e32 v178, 0x800000, v176
	v_cmp_eq_u32_e32 vcc_lo, 0, v160
	v_add_nc_u32_e32 v160, 0xffffff91, v160
	v_cndmask_b32_e64 v177, v177, 0x6f, vcc_lo
	s_delay_alu instid0(VALU_DEP_4) | instskip(NEXT) | instid1(VALU_DEP_3)
	v_cndmask_b32_e32 v176, v178, v176, vcc_lo
	v_cndmask_b32_e64 v160, v160, 0xffffff92, vcc_lo
	s_delay_alu instid0(VALU_DEP_3) | instskip(NEXT) | instid1(VALU_DEP_3)
	v_lshl_add_u32 v178, 0x200000, v177, -1
	v_lshrrev_b32_e32 v179, v177, v176
	v_lshlrev_b32_e64 v181, v177, 0x100000
	s_delay_alu instid0(VALU_DEP_4) | instskip(NEXT) | instid1(VALU_DEP_4)
	v_add_nc_u32_e32 v177, v177, v160
	v_and_b32_e32 v176, v178, v176
	s_delay_alu instid0(VALU_DEP_4) | instskip(NEXT) | instid1(VALU_DEP_2)
	v_bfe_u32 v180, v179, 21, 1
	v_cmp_eq_u32_e64 s14, v176, v181
	s_delay_alu instid0(VALU_DEP_2) | instskip(NEXT) | instid1(VALU_DEP_1)
	v_add_nc_u32_e32 v178, -1, v180
	v_cndmask_b32_e64 v176, 0, v178, s14
	v_lshrrev_b32_e32 v178, 23, v179
	s_mov_b32 s14, exec_lo
	s_delay_alu instid0(VALU_DEP_2) | instskip(NEXT) | instid1(VALU_DEP_2)
	v_add_nc_u32_e32 v176, v176, v179
	v_xor_b32_e32 v178, 1, v178
	s_delay_alu instid0(VALU_DEP_2) | instskip(NEXT) | instid1(VALU_DEP_1)
	v_and_b32_e32 v160, 0x1fffff, v176
	v_add_nc_u32_e32 v176, v160, v179
                                        ; implicit-def: $vgpr160
	s_delay_alu instid0(VALU_DEP_3)
	v_cmpx_ne_u32_e64 v177, v178
	s_xor_b32 s14, exec_lo, s14
; %bb.4287:                             ;   in Loop: Header=BB2_3931 Depth=3
	s_delay_alu instid0(VALU_DEP_2) | instskip(SKIP_2) | instid1(VALU_DEP_2)
	v_cmp_lt_u32_e32 vcc_lo, 0xffffff, v176
	v_sub_nc_u32_e32 v160, v177, v178
	v_cndmask_b32_e64 v177, 0, 1, vcc_lo
	v_add_co_ci_u32_e32 v160, vcc_lo, 0, v160, vcc_lo
	s_delay_alu instid0(VALU_DEP_2)
	v_lshrrev_b32_e32 v176, v177, v176
; %bb.4288:                             ;   in Loop: Header=BB2_3931 Depth=3
	s_and_not1_saveexec_b32 s14, s14
; %bb.4289:                             ;   in Loop: Header=BB2_3931 Depth=3
	s_delay_alu instid0(VALU_DEP_1)
	v_bfe_u32 v160, v176, 23, 1
; %bb.4290:                             ;   in Loop: Header=BB2_3931 Depth=3
	s_or_b32 exec_lo, exec_lo, s14
	v_lshrrev_b32_e32 v176, 21, v176
	s_delay_alu instid0(VALU_DEP_2) | instskip(SKIP_2) | instid1(VALU_DEP_2)
	v_cmp_gt_i32_e32 vcc_lo, 32, v160
	v_lshrrev_b32_e32 v167, 24, v167
	v_min_i32_e32 v177, 31, v160
	v_dual_cndmask_b32 v176, 3, v176 :: v_dual_and_b32 v167, 0x80, v167
	s_delay_alu instid0(VALU_DEP_1) | instskip(SKIP_1) | instid1(VALU_DEP_2)
	v_or_b32_e32 v160, v160, v176
	v_and_b32_e32 v178, 3, v176
	v_cmp_ne_u32_e32 vcc_lo, 0, v160
	v_lshlrev_b32_e32 v177, 2, v177
	s_delay_alu instid0(VALU_DEP_1) | instskip(NEXT) | instid1(VALU_DEP_1)
	v_or3_b32 v167, v177, v167, v178
	v_cndmask_b32_e32 v160, 0, v167, vcc_lo
.LBB2_4291:                             ;   in Loop: Header=BB2_3931 Depth=3
	s_or_b32 exec_lo, exec_lo, s34
.LBB2_4292:                             ;   in Loop: Header=BB2_3931 Depth=3
	s_delay_alu instid0(SALU_CYCLE_1) | instskip(SKIP_3) | instid1(VALU_DEP_1)
	s_or_b32 exec_lo, exec_lo, s15
	v_and_b32_e32 v176, 0xff, v151
	s_mov_b32 s14, 0
	s_mov_b32 s34, exec_lo
                                        ; implicit-def: $sgpr15
	v_cmpx_lt_i16_e64 0x7f, v176
	s_xor_b32 s34, exec_lo, s34
	s_cbranch_execnz .LBB2_4535
; %bb.4293:                             ;   in Loop: Header=BB2_3931 Depth=3
	s_or_saveexec_b32 s34, s34
	v_mov_b32_e32 v167, s15
	s_xor_b32 exec_lo, exec_lo, s34
	s_cbranch_execnz .LBB2_4538
.LBB2_4294:                             ;   in Loop: Header=BB2_3931 Depth=3
	s_or_b32 exec_lo, exec_lo, s34
	s_and_saveexec_b32 s15, s14
	s_cbranch_execz .LBB2_4296
.LBB2_4295:                             ;   in Loop: Header=BB2_3931 Depth=3
	v_bfe_u32 v178, v151, 2, 5
	s_delay_alu instid0(VALU_DEP_1) | instskip(SKIP_1) | instid1(VALU_DEP_1)
	v_cmp_eq_u32_e32 vcc_lo, 0, v178
	v_and_b32_e32 v167, 3, v151
	v_clz_i32_u32_e32 v176, v167
	s_delay_alu instid0(VALU_DEP_1) | instskip(NEXT) | instid1(VALU_DEP_1)
	v_min_u32_e32 v176, 32, v176
	v_subrev_nc_u32_e32 v177, 29, v176
	v_sub_nc_u32_e32 v176, 30, v176
	s_delay_alu instid0(VALU_DEP_1) | instskip(SKIP_1) | instid1(VALU_DEP_2)
	v_dual_cndmask_b32 v176, v178, v176 :: v_dual_lshlrev_b32 v177, v177, v151
	v_lshlrev_b32_e32 v151, 24, v151
	v_and_b32_e32 v177, 3, v177
	s_delay_alu instid0(VALU_DEP_3) | instskip(NEXT) | instid1(VALU_DEP_3)
	v_lshl_add_u32 v176, v176, 23, 0x37800000
	v_and_b32_e32 v151, 0x80000000, v151
	s_delay_alu instid0(VALU_DEP_3) | instskip(NEXT) | instid1(VALU_DEP_1)
	v_cndmask_b32_e32 v167, v167, v177, vcc_lo
	v_lshlrev_b32_e32 v167, 21, v167
	s_delay_alu instid0(VALU_DEP_1)
	v_or3_b32 v167, v151, v176, v167
.LBB2_4296:                             ;   in Loop: Header=BB2_3931 Depth=3
	s_or_b32 exec_lo, exec_lo, s15
	v_lshrrev_b32_e32 v151, 16, v10
	s_mov_b32 s14, 0
	s_mov_b32 s34, exec_lo
                                        ; implicit-def: $sgpr15
	s_delay_alu instid0(VALU_DEP_1) | instskip(NEXT) | instid1(VALU_DEP_1)
	v_and_b32_e32 v177, 0xff, v151
	v_cmpx_lt_i16_e64 0x7f, v177
	s_xor_b32 s34, exec_lo, s34
	s_cbranch_execnz .LBB2_4539
; %bb.4297:                             ;   in Loop: Header=BB2_3931 Depth=3
	s_or_saveexec_b32 s34, s34
	v_mov_b32_e32 v176, s15
	s_xor_b32 exec_lo, exec_lo, s34
	s_cbranch_execnz .LBB2_4542
.LBB2_4298:                             ;   in Loop: Header=BB2_3931 Depth=3
	s_or_b32 exec_lo, exec_lo, s34
	s_and_saveexec_b32 s15, s14
	s_cbranch_execz .LBB2_4300
.LBB2_4299:                             ;   in Loop: Header=BB2_3931 Depth=3
	v_bfe_u32 v176, v10, 16, 2
	v_lshlrev_b32_e32 v179, 8, v10
	s_delay_alu instid0(VALU_DEP_2) | instskip(NEXT) | instid1(VALU_DEP_1)
	v_clz_i32_u32_e32 v177, v176
	v_min_u32_e32 v177, 32, v177
	s_delay_alu instid0(VALU_DEP_1) | instskip(SKIP_1) | instid1(VALU_DEP_2)
	v_subrev_nc_u32_e32 v178, 29, v177
	v_sub_nc_u32_e32 v177, 30, v177
	v_lshlrev_b32_e32 v151, v178, v151
	v_bfe_u32 v178, v10, 18, 5
	s_delay_alu instid0(VALU_DEP_2) | instskip(NEXT) | instid1(VALU_DEP_2)
	v_and_b32_e32 v151, 3, v151
	v_cmp_eq_u32_e32 vcc_lo, 0, v178
	v_cndmask_b32_e32 v177, v178, v177, vcc_lo
	s_delay_alu instid0(VALU_DEP_3) | instskip(SKIP_1) | instid1(VALU_DEP_3)
	v_cndmask_b32_e32 v151, v176, v151, vcc_lo
	v_and_b32_e32 v176, 0x80000000, v179
	v_lshl_add_u32 v177, v177, 23, 0x37800000
	s_delay_alu instid0(VALU_DEP_3) | instskip(NEXT) | instid1(VALU_DEP_1)
	v_lshlrev_b32_e32 v151, 21, v151
	v_or3_b32 v176, v176, v177, v151
.LBB2_4300:                             ;   in Loop: Header=BB2_3931 Depth=3
	s_or_b32 exec_lo, exec_lo, s15
	s_delay_alu instid0(VALU_DEP_1) | instskip(NEXT) | instid1(VALU_DEP_1)
	v_add_f32_e32 v167, v167, v176
	v_and_b32_e32 v151, 0x7f800000, v167
	s_delay_alu instid0(VALU_DEP_1)
	v_cmp_ne_u32_e32 vcc_lo, 0x7f800000, v151
	v_mov_b32_e32 v151, 0x80
	s_and_saveexec_b32 s15, vcc_lo
	s_cbranch_execz .LBB2_4308
; %bb.4301:                             ;   in Loop: Header=BB2_3931 Depth=3
	v_mov_b32_e32 v151, 0
	s_mov_b32 s34, exec_lo
	v_cmpx_ne_u32_e32 0, v167
	s_cbranch_execz .LBB2_4307
; %bb.4302:                             ;   in Loop: Header=BB2_3931 Depth=3
	v_bfe_u32 v151, v167, 23, 8
	s_delay_alu instid0(VALU_DEP_1) | instskip(SKIP_1) | instid1(VALU_DEP_2)
	v_sub_nc_u32_e32 v177, 0x70, v151
	v_cmp_gt_u32_e32 vcc_lo, 0x71, v151
	v_dual_cndmask_b32 v177, 0, v177 :: v_dual_and_b32 v176, 0x7fffff, v167
	s_delay_alu instid0(VALU_DEP_1) | instskip(SKIP_2) | instid1(VALU_DEP_4)
	v_or_b32_e32 v178, 0x800000, v176
	v_cmp_eq_u32_e32 vcc_lo, 0, v151
	v_add_nc_u32_e32 v151, 0xffffff91, v151
	v_cndmask_b32_e64 v177, v177, 0x6f, vcc_lo
	s_delay_alu instid0(VALU_DEP_4) | instskip(NEXT) | instid1(VALU_DEP_3)
	v_cndmask_b32_e32 v176, v178, v176, vcc_lo
	v_cndmask_b32_e64 v151, v151, 0xffffff92, vcc_lo
	s_delay_alu instid0(VALU_DEP_3) | instskip(NEXT) | instid1(VALU_DEP_3)
	v_lshl_add_u32 v178, 0x200000, v177, -1
	v_lshrrev_b32_e32 v179, v177, v176
	v_lshlrev_b32_e64 v181, v177, 0x100000
	s_delay_alu instid0(VALU_DEP_4) | instskip(NEXT) | instid1(VALU_DEP_4)
	v_add_nc_u32_e32 v177, v177, v151
	v_and_b32_e32 v176, v178, v176
	s_delay_alu instid0(VALU_DEP_4) | instskip(NEXT) | instid1(VALU_DEP_2)
	v_bfe_u32 v180, v179, 21, 1
	v_cmp_eq_u32_e64 s14, v176, v181
	s_delay_alu instid0(VALU_DEP_2) | instskip(NEXT) | instid1(VALU_DEP_1)
	v_add_nc_u32_e32 v178, -1, v180
	v_cndmask_b32_e64 v176, 0, v178, s14
	v_lshrrev_b32_e32 v178, 23, v179
	s_mov_b32 s14, exec_lo
	s_delay_alu instid0(VALU_DEP_2) | instskip(NEXT) | instid1(VALU_DEP_2)
	v_add_nc_u32_e32 v176, v176, v179
	v_xor_b32_e32 v178, 1, v178
	s_delay_alu instid0(VALU_DEP_2) | instskip(NEXT) | instid1(VALU_DEP_1)
	v_and_b32_e32 v151, 0x1fffff, v176
	v_add_nc_u32_e32 v176, v151, v179
                                        ; implicit-def: $vgpr151
	s_delay_alu instid0(VALU_DEP_3)
	v_cmpx_ne_u32_e64 v177, v178
	s_xor_b32 s14, exec_lo, s14
; %bb.4303:                             ;   in Loop: Header=BB2_3931 Depth=3
	s_delay_alu instid0(VALU_DEP_2) | instskip(SKIP_2) | instid1(VALU_DEP_2)
	v_cmp_lt_u32_e32 vcc_lo, 0xffffff, v176
	v_sub_nc_u32_e32 v151, v177, v178
	v_cndmask_b32_e64 v177, 0, 1, vcc_lo
	v_add_co_ci_u32_e32 v151, vcc_lo, 0, v151, vcc_lo
	s_delay_alu instid0(VALU_DEP_2)
	v_lshrrev_b32_e32 v176, v177, v176
; %bb.4304:                             ;   in Loop: Header=BB2_3931 Depth=3
	s_and_not1_saveexec_b32 s14, s14
; %bb.4305:                             ;   in Loop: Header=BB2_3931 Depth=3
	s_delay_alu instid0(VALU_DEP_1)
	v_bfe_u32 v151, v176, 23, 1
; %bb.4306:                             ;   in Loop: Header=BB2_3931 Depth=3
	s_or_b32 exec_lo, exec_lo, s14
	v_lshrrev_b32_e32 v176, 21, v176
	s_delay_alu instid0(VALU_DEP_2) | instskip(SKIP_2) | instid1(VALU_DEP_2)
	v_cmp_gt_i32_e32 vcc_lo, 32, v151
	v_lshrrev_b32_e32 v167, 24, v167
	v_min_i32_e32 v177, 31, v151
	v_dual_cndmask_b32 v176, 3, v176 :: v_dual_and_b32 v167, 0x80, v167
	s_delay_alu instid0(VALU_DEP_2) | instskip(NEXT) | instid1(VALU_DEP_2)
	v_lshlrev_b32_e32 v177, 2, v177
	v_or_b32_e32 v151, v151, v176
	s_delay_alu instid0(VALU_DEP_1) | instskip(SKIP_1) | instid1(VALU_DEP_1)
	v_cmp_ne_u32_e32 vcc_lo, 0, v151
	v_and_b32_e32 v178, 3, v176
	v_or3_b32 v167, v177, v167, v178
	s_delay_alu instid0(VALU_DEP_1)
	v_cndmask_b32_e32 v151, 0, v167, vcc_lo
.LBB2_4307:                             ;   in Loop: Header=BB2_3931 Depth=3
	s_or_b32 exec_lo, exec_lo, s34
.LBB2_4308:                             ;   in Loop: Header=BB2_3931 Depth=3
	s_delay_alu instid0(SALU_CYCLE_1) | instskip(SKIP_3) | instid1(VALU_DEP_1)
	s_or_b32 exec_lo, exec_lo, s15
	v_and_b32_e32 v176, 0xff, v148
	s_mov_b32 s14, 0
	s_mov_b32 s34, exec_lo
                                        ; implicit-def: $sgpr15
	v_cmpx_lt_i16_e64 0x7f, v176
	s_xor_b32 s34, exec_lo, s34
	s_cbranch_execnz .LBB2_4543
; %bb.4309:                             ;   in Loop: Header=BB2_3931 Depth=3
	s_or_saveexec_b32 s34, s34
	v_mov_b32_e32 v167, s15
	s_xor_b32 exec_lo, exec_lo, s34
	s_cbranch_execnz .LBB2_4546
.LBB2_4310:                             ;   in Loop: Header=BB2_3931 Depth=3
	s_or_b32 exec_lo, exec_lo, s34
	s_and_saveexec_b32 s15, s14
	s_cbranch_execz .LBB2_4312
.LBB2_4311:                             ;   in Loop: Header=BB2_3931 Depth=3
	v_lshlrev_b32_e32 v148, 8, v148
	s_delay_alu instid0(VALU_DEP_1) | instskip(SKIP_1) | instid1(VALU_DEP_2)
	v_and_b32_e32 v167, 0xff00, v148
	v_bfe_u32 v148, v148, 10, 5
	v_bfe_u32 v177, v167, 8, 2
	s_delay_alu instid0(VALU_DEP_2) | instskip(NEXT) | instid1(VALU_DEP_2)
	v_cmp_eq_u32_e32 vcc_lo, 0, v148
	v_clz_i32_u32_e32 v178, v177
	s_delay_alu instid0(VALU_DEP_1) | instskip(NEXT) | instid1(VALU_DEP_1)
	v_min_u32_e32 v178, 32, v178
	v_subrev_nc_u32_e32 v179, 29, v178
	v_sub_nc_u32_e32 v178, 30, v178
	s_delay_alu instid0(VALU_DEP_2) | instskip(NEXT) | instid1(VALU_DEP_2)
	v_lshlrev_b32_e32 v176, v179, v176
	v_cndmask_b32_e32 v148, v148, v178, vcc_lo
	s_delay_alu instid0(VALU_DEP_2) | instskip(SKIP_1) | instid1(VALU_DEP_3)
	v_and_b32_e32 v176, 3, v176
	v_lshlrev_b32_e32 v167, 16, v167
	v_lshl_add_u32 v148, v148, 23, 0x37800000
	s_delay_alu instid0(VALU_DEP_2) | instskip(NEXT) | instid1(VALU_DEP_1)
	v_dual_cndmask_b32 v176, v177, v176 :: v_dual_and_b32 v167, 0x80000000, v167
	v_lshlrev_b32_e32 v176, 21, v176
	s_delay_alu instid0(VALU_DEP_1)
	v_or3_b32 v167, v167, v148, v176
.LBB2_4312:                             ;   in Loop: Header=BB2_3931 Depth=3
	s_or_b32 exec_lo, exec_lo, s15
	v_lshrrev_b32_e32 v148, 24, v10
	s_mov_b32 s14, 0
	s_mov_b32 s34, exec_lo
                                        ; implicit-def: $sgpr15
	s_delay_alu instid0(VALU_DEP_1)
	v_cmpx_lt_i16_e64 0x7f, v148
	s_xor_b32 s34, exec_lo, s34
	s_cbranch_execnz .LBB2_4547
; %bb.4313:                             ;   in Loop: Header=BB2_3931 Depth=3
	s_or_saveexec_b32 s34, s34
	v_mov_b32_e32 v176, s15
	s_xor_b32 exec_lo, exec_lo, s34
	s_cbranch_execnz .LBB2_4550
.LBB2_4314:                             ;   in Loop: Header=BB2_3931 Depth=3
	s_or_b32 exec_lo, exec_lo, s34
	s_and_saveexec_b32 s15, s14
	s_cbranch_execz .LBB2_4316
.LBB2_4315:                             ;   in Loop: Header=BB2_3931 Depth=3
	v_bfe_u32 v176, v10, 24, 2
	s_delay_alu instid0(VALU_DEP_1) | instskip(NEXT) | instid1(VALU_DEP_1)
	v_clz_i32_u32_e32 v177, v176
	v_min_u32_e32 v177, 32, v177
	s_delay_alu instid0(VALU_DEP_1) | instskip(SKIP_1) | instid1(VALU_DEP_2)
	v_subrev_nc_u32_e32 v178, 29, v177
	v_sub_nc_u32_e32 v177, 30, v177
	v_lshlrev_b32_e32 v148, v178, v148
	v_bfe_u32 v178, v10, 26, 5
	v_and_b32_e32 v10, 0x80000000, v10
	s_delay_alu instid0(VALU_DEP_2) | instskip(NEXT) | instid1(VALU_DEP_4)
	v_cmp_eq_u32_e32 vcc_lo, 0, v178
	v_dual_cndmask_b32 v177, v178, v177 :: v_dual_and_b32 v148, 3, v148
	s_delay_alu instid0(VALU_DEP_1) | instskip(NEXT) | instid1(VALU_DEP_2)
	v_cndmask_b32_e32 v148, v176, v148, vcc_lo
	v_lshl_add_u32 v176, v177, 23, 0x37800000
	s_delay_alu instid0(VALU_DEP_2) | instskip(NEXT) | instid1(VALU_DEP_1)
	v_lshlrev_b32_e32 v148, 21, v148
	v_or3_b32 v176, v10, v176, v148
.LBB2_4316:                             ;   in Loop: Header=BB2_3931 Depth=3
	s_or_b32 exec_lo, exec_lo, s15
	s_delay_alu instid0(VALU_DEP_1) | instskip(NEXT) | instid1(VALU_DEP_1)
	v_add_f32_e32 v148, v167, v176
	v_and_b32_e32 v10, 0x7f800000, v148
	s_delay_alu instid0(VALU_DEP_1)
	v_cmp_ne_u32_e32 vcc_lo, 0x7f800000, v10
	v_mov_b32_e32 v10, 0x80
	s_and_saveexec_b32 s15, vcc_lo
	s_cbranch_execz .LBB2_4324
; %bb.4317:                             ;   in Loop: Header=BB2_3931 Depth=3
	v_mov_b32_e32 v10, 0
	s_mov_b32 s34, exec_lo
	v_cmpx_ne_u32_e32 0, v148
	s_cbranch_execz .LBB2_4323
; %bb.4318:                             ;   in Loop: Header=BB2_3931 Depth=3
	v_bfe_u32 v10, v148, 23, 8
	v_and_b32_e32 v167, 0x7fffff, v148
	s_delay_alu instid0(VALU_DEP_2) | instskip(SKIP_1) | instid1(VALU_DEP_3)
	v_sub_nc_u32_e32 v176, 0x70, v10
	v_cmp_gt_u32_e32 vcc_lo, 0x71, v10
	v_or_b32_e32 v177, 0x800000, v167
	s_delay_alu instid0(VALU_DEP_3) | instskip(SKIP_1) | instid1(VALU_DEP_3)
	v_cndmask_b32_e32 v176, 0, v176, vcc_lo
	v_cmp_eq_u32_e32 vcc_lo, 0, v10
	v_dual_cndmask_b32 v167, v177, v167 :: v_dual_add_nc_u32 v10, 0xffffff91, v10
	s_delay_alu instid0(VALU_DEP_3) | instskip(NEXT) | instid1(VALU_DEP_2)
	v_cndmask_b32_e64 v176, v176, 0x6f, vcc_lo
	v_cndmask_b32_e64 v10, v10, 0xffffff92, vcc_lo
	s_delay_alu instid0(VALU_DEP_2) | instskip(SKIP_2) | instid1(VALU_DEP_4)
	v_lshrrev_b32_e32 v178, v176, v167
	v_lshl_add_u32 v177, 0x200000, v176, -1
	v_lshlrev_b32_e64 v180, v176, 0x100000
	v_add_nc_u32_e32 v176, v176, v10
	s_delay_alu instid0(VALU_DEP_4) | instskip(NEXT) | instid1(VALU_DEP_4)
	v_bfe_u32 v179, v178, 21, 1
	v_and_b32_e32 v167, v177, v167
	s_delay_alu instid0(VALU_DEP_2) | instskip(NEXT) | instid1(VALU_DEP_2)
	v_add_nc_u32_e32 v177, -1, v179
	v_cmp_eq_u32_e64 s14, v167, v180
	s_delay_alu instid0(VALU_DEP_1) | instskip(SKIP_2) | instid1(VALU_DEP_2)
	v_cndmask_b32_e64 v167, 0, v177, s14
	v_lshrrev_b32_e32 v177, 23, v178
	s_mov_b32 s14, exec_lo
	v_add_nc_u32_e32 v167, v167, v178
	s_delay_alu instid0(VALU_DEP_2) | instskip(NEXT) | instid1(VALU_DEP_2)
	v_xor_b32_e32 v177, 1, v177
	v_and_b32_e32 v10, 0x1fffff, v167
	s_delay_alu instid0(VALU_DEP_1) | instskip(NEXT) | instid1(VALU_DEP_3)
	v_add_nc_u32_e32 v167, v10, v178
                                        ; implicit-def: $vgpr10
	v_cmpx_ne_u32_e64 v176, v177
	s_xor_b32 s14, exec_lo, s14
; %bb.4319:                             ;   in Loop: Header=BB2_3931 Depth=3
	s_delay_alu instid0(VALU_DEP_2) | instskip(SKIP_2) | instid1(VALU_DEP_2)
	v_cmp_lt_u32_e32 vcc_lo, 0xffffff, v167
	v_sub_nc_u32_e32 v10, v176, v177
	v_cndmask_b32_e64 v176, 0, 1, vcc_lo
	v_add_co_ci_u32_e32 v10, vcc_lo, 0, v10, vcc_lo
	s_delay_alu instid0(VALU_DEP_2)
	v_lshrrev_b32_e32 v167, v176, v167
; %bb.4320:                             ;   in Loop: Header=BB2_3931 Depth=3
	s_and_not1_saveexec_b32 s14, s14
; %bb.4321:                             ;   in Loop: Header=BB2_3931 Depth=3
	s_delay_alu instid0(VALU_DEP_1)
	v_bfe_u32 v10, v167, 23, 1
; %bb.4322:                             ;   in Loop: Header=BB2_3931 Depth=3
	s_or_b32 exec_lo, exec_lo, s14
	v_lshrrev_b32_e32 v167, 21, v167
	s_delay_alu instid0(VALU_DEP_2) | instskip(SKIP_2) | instid1(VALU_DEP_2)
	v_cmp_gt_i32_e32 vcc_lo, 32, v10
	v_lshrrev_b32_e32 v148, 24, v148
	v_min_i32_e32 v176, 31, v10
	v_dual_cndmask_b32 v167, 3, v167 :: v_dual_and_b32 v148, 0x80, v148
	s_delay_alu instid0(VALU_DEP_2) | instskip(NEXT) | instid1(VALU_DEP_2)
	v_lshlrev_b32_e32 v176, 2, v176
	v_or_b32_e32 v10, v10, v167
	s_delay_alu instid0(VALU_DEP_1) | instskip(SKIP_1) | instid1(VALU_DEP_1)
	v_cmp_ne_u32_e32 vcc_lo, 0, v10
	v_and_b32_e32 v177, 3, v167
	v_or3_b32 v148, v176, v148, v177
	s_delay_alu instid0(VALU_DEP_1)
	v_cndmask_b32_e32 v10, 0, v148, vcc_lo
.LBB2_4323:                             ;   in Loop: Header=BB2_3931 Depth=3
	s_or_b32 exec_lo, exec_lo, s34
.LBB2_4324:                             ;   in Loop: Header=BB2_3931 Depth=3
	s_delay_alu instid0(SALU_CYCLE_1) | instskip(SKIP_3) | instid1(VALU_DEP_1)
	s_or_b32 exec_lo, exec_lo, s15
	v_or_b32_e32 v148, v161, v147
	s_mov_b32 s14, 0
	s_mov_b32 s34, exec_lo
                                        ; implicit-def: $sgpr15
	v_and_b32_e32 v161, 0xff, v148
	s_delay_alu instid0(VALU_DEP_1)
	v_cmpx_lt_i16_e64 0x7f, v161
	s_xor_b32 s34, exec_lo, s34
	s_cbranch_execnz .LBB2_4551
; %bb.4325:                             ;   in Loop: Header=BB2_3931 Depth=3
	s_or_saveexec_b32 s34, s34
	v_mov_b32_e32 v147, s15
	s_xor_b32 exec_lo, exec_lo, s34
	s_cbranch_execnz .LBB2_4554
.LBB2_4326:                             ;   in Loop: Header=BB2_3931 Depth=3
	s_or_b32 exec_lo, exec_lo, s34
	s_and_saveexec_b32 s15, s14
	s_cbranch_execz .LBB2_4328
.LBB2_4327:                             ;   in Loop: Header=BB2_3931 Depth=3
	v_and_b32_e32 v147, 3, v148
	v_bfe_u32 v176, v148, 2, 5
	v_lshlrev_b32_e32 v177, 24, v148
	s_delay_alu instid0(VALU_DEP_3) | instskip(NEXT) | instid1(VALU_DEP_3)
	v_clz_i32_u32_e32 v161, v147
	v_cmp_eq_u32_e32 vcc_lo, 0, v176
	s_delay_alu instid0(VALU_DEP_2) | instskip(NEXT) | instid1(VALU_DEP_1)
	v_min_u32_e32 v161, 32, v161
	v_subrev_nc_u32_e32 v167, 29, v161
	v_sub_nc_u32_e32 v161, 30, v161
	s_delay_alu instid0(VALU_DEP_2) | instskip(NEXT) | instid1(VALU_DEP_2)
	v_lshlrev_b32_e32 v167, v167, v148
	v_cndmask_b32_e32 v161, v176, v161, vcc_lo
	s_delay_alu instid0(VALU_DEP_2) | instskip(NEXT) | instid1(VALU_DEP_2)
	v_and_b32_e32 v167, 3, v167
	v_lshl_add_u32 v161, v161, 23, 0x37800000
	s_delay_alu instid0(VALU_DEP_2) | instskip(SKIP_1) | instid1(VALU_DEP_2)
	v_cndmask_b32_e32 v147, v147, v167, vcc_lo
	v_and_b32_e32 v167, 0x80000000, v177
	v_lshlrev_b32_e32 v147, 21, v147
	s_delay_alu instid0(VALU_DEP_1)
	v_or3_b32 v147, v167, v161, v147
.LBB2_4328:                             ;   in Loop: Header=BB2_3931 Depth=3
	s_or_b32 exec_lo, exec_lo, s15
	v_and_b32_e32 v167, 0xff, v11
	s_mov_b32 s14, 0
	s_mov_b32 s34, exec_lo
                                        ; implicit-def: $sgpr15
	s_delay_alu instid0(VALU_DEP_1)
	v_cmpx_lt_i16_e64 0x7f, v167
	s_xor_b32 s34, exec_lo, s34
	s_cbranch_execnz .LBB2_4555
; %bb.4329:                             ;   in Loop: Header=BB2_3931 Depth=3
	s_or_saveexec_b32 s34, s34
	v_mov_b32_e32 v161, s15
	s_xor_b32 exec_lo, exec_lo, s34
	s_cbranch_execnz .LBB2_4558
.LBB2_4330:                             ;   in Loop: Header=BB2_3931 Depth=3
	s_or_b32 exec_lo, exec_lo, s34
	s_and_saveexec_b32 s15, s14
	s_cbranch_execz .LBB2_4332
.LBB2_4331:                             ;   in Loop: Header=BB2_3931 Depth=3
	v_and_b32_e32 v161, 3, v11
	v_bfe_u32 v177, v11, 2, 5
	s_delay_alu instid0(VALU_DEP_2) | instskip(NEXT) | instid1(VALU_DEP_2)
	v_clz_i32_u32_e32 v167, v161
	v_cmp_eq_u32_e32 vcc_lo, 0, v177
	s_delay_alu instid0(VALU_DEP_2) | instskip(NEXT) | instid1(VALU_DEP_1)
	v_min_u32_e32 v167, 32, v167
	v_subrev_nc_u32_e32 v176, 29, v167
	v_sub_nc_u32_e32 v167, 30, v167
	s_delay_alu instid0(VALU_DEP_2) | instskip(NEXT) | instid1(VALU_DEP_1)
	v_lshlrev_b32_e32 v176, v176, v11
	v_dual_cndmask_b32 v167, v177, v167 :: v_dual_and_b32 v176, 3, v176
	v_lshlrev_b32_e32 v178, 24, v11
	s_delay_alu instid0(VALU_DEP_2) | instskip(NEXT) | instid1(VALU_DEP_2)
	v_lshl_add_u32 v167, v167, 23, 0x37800000
	v_dual_cndmask_b32 v161, v161, v176 :: v_dual_and_b32 v176, 0x80000000, v178
	s_delay_alu instid0(VALU_DEP_1) | instskip(NEXT) | instid1(VALU_DEP_1)
	v_lshlrev_b32_e32 v161, 21, v161
	v_or3_b32 v161, v176, v167, v161
.LBB2_4332:                             ;   in Loop: Header=BB2_3931 Depth=3
	s_or_b32 exec_lo, exec_lo, s15
	s_delay_alu instid0(VALU_DEP_1) | instskip(NEXT) | instid1(VALU_DEP_1)
	v_add_f32_e32 v161, v147, v161
	v_and_b32_e32 v147, 0x7f800000, v161
	s_delay_alu instid0(VALU_DEP_1)
	v_cmp_ne_u32_e32 vcc_lo, 0x7f800000, v147
	v_mov_b32_e32 v147, 0x80
	s_and_saveexec_b32 s15, vcc_lo
	s_cbranch_execz .LBB2_4340
; %bb.4333:                             ;   in Loop: Header=BB2_3931 Depth=3
	v_mov_b32_e32 v147, 0
	s_mov_b32 s34, exec_lo
	v_cmpx_ne_u32_e32 0, v161
	s_cbranch_execz .LBB2_4339
; %bb.4334:                             ;   in Loop: Header=BB2_3931 Depth=3
	v_bfe_u32 v147, v161, 23, 8
	s_delay_alu instid0(VALU_DEP_1) | instskip(SKIP_1) | instid1(VALU_DEP_2)
	v_sub_nc_u32_e32 v176, 0x70, v147
	v_cmp_gt_u32_e32 vcc_lo, 0x71, v147
	v_dual_cndmask_b32 v176, 0, v176 :: v_dual_and_b32 v167, 0x7fffff, v161
	s_delay_alu instid0(VALU_DEP_1) | instskip(SKIP_2) | instid1(VALU_DEP_4)
	v_or_b32_e32 v177, 0x800000, v167
	v_cmp_eq_u32_e32 vcc_lo, 0, v147
	v_add_nc_u32_e32 v147, 0xffffff91, v147
	v_cndmask_b32_e64 v176, v176, 0x6f, vcc_lo
	s_delay_alu instid0(VALU_DEP_4) | instskip(NEXT) | instid1(VALU_DEP_3)
	v_cndmask_b32_e32 v167, v177, v167, vcc_lo
	v_cndmask_b32_e64 v147, v147, 0xffffff92, vcc_lo
	s_delay_alu instid0(VALU_DEP_3) | instskip(NEXT) | instid1(VALU_DEP_3)
	v_lshl_add_u32 v177, 0x200000, v176, -1
	v_lshrrev_b32_e32 v178, v176, v167
	v_lshlrev_b32_e64 v180, v176, 0x100000
	s_delay_alu instid0(VALU_DEP_4) | instskip(NEXT) | instid1(VALU_DEP_4)
	v_add_nc_u32_e32 v176, v176, v147
	v_and_b32_e32 v167, v177, v167
	s_delay_alu instid0(VALU_DEP_4) | instskip(NEXT) | instid1(VALU_DEP_2)
	v_bfe_u32 v179, v178, 21, 1
	v_cmp_eq_u32_e64 s14, v167, v180
	s_delay_alu instid0(VALU_DEP_2) | instskip(NEXT) | instid1(VALU_DEP_1)
	v_add_nc_u32_e32 v177, -1, v179
	v_cndmask_b32_e64 v167, 0, v177, s14
	v_lshrrev_b32_e32 v177, 23, v178
	s_mov_b32 s14, exec_lo
	s_delay_alu instid0(VALU_DEP_2) | instskip(NEXT) | instid1(VALU_DEP_2)
	v_add_nc_u32_e32 v167, v167, v178
	v_xor_b32_e32 v177, 1, v177
	s_delay_alu instid0(VALU_DEP_2) | instskip(NEXT) | instid1(VALU_DEP_1)
	v_and_b32_e32 v147, 0x1fffff, v167
	v_add_nc_u32_e32 v167, v147, v178
                                        ; implicit-def: $vgpr147
	s_delay_alu instid0(VALU_DEP_3)
	v_cmpx_ne_u32_e64 v176, v177
	s_xor_b32 s14, exec_lo, s14
; %bb.4335:                             ;   in Loop: Header=BB2_3931 Depth=3
	s_delay_alu instid0(VALU_DEP_2) | instskip(SKIP_2) | instid1(VALU_DEP_2)
	v_cmp_lt_u32_e32 vcc_lo, 0xffffff, v167
	v_sub_nc_u32_e32 v147, v176, v177
	v_cndmask_b32_e64 v176, 0, 1, vcc_lo
	v_add_co_ci_u32_e32 v147, vcc_lo, 0, v147, vcc_lo
	s_delay_alu instid0(VALU_DEP_2)
	v_lshrrev_b32_e32 v167, v176, v167
; %bb.4336:                             ;   in Loop: Header=BB2_3931 Depth=3
	s_and_not1_saveexec_b32 s14, s14
; %bb.4337:                             ;   in Loop: Header=BB2_3931 Depth=3
	s_delay_alu instid0(VALU_DEP_1)
	v_bfe_u32 v147, v167, 23, 1
; %bb.4338:                             ;   in Loop: Header=BB2_3931 Depth=3
	s_or_b32 exec_lo, exec_lo, s14
	v_lshrrev_b32_e32 v167, 21, v167
	s_delay_alu instid0(VALU_DEP_2) | instskip(SKIP_2) | instid1(VALU_DEP_4)
	v_cmp_gt_i32_e32 vcc_lo, 32, v147
	v_lshrrev_b32_e32 v161, 24, v161
	v_min_i32_e32 v176, 31, v147
	v_cndmask_b32_e32 v167, 3, v167, vcc_lo
	s_delay_alu instid0(VALU_DEP_3) | instskip(NEXT) | instid1(VALU_DEP_3)
	v_and_b32_e32 v161, 0x80, v161
	v_lshlrev_b32_e32 v176, 2, v176
	s_delay_alu instid0(VALU_DEP_3) | instskip(SKIP_1) | instid1(VALU_DEP_2)
	v_and_b32_e32 v177, 3, v167
	v_or_b32_e32 v147, v147, v167
	v_or3_b32 v161, v176, v161, v177
	s_delay_alu instid0(VALU_DEP_2) | instskip(NEXT) | instid1(VALU_DEP_2)
	v_cmp_ne_u32_e32 vcc_lo, 0, v147
	v_cndmask_b32_e32 v147, 0, v161, vcc_lo
.LBB2_4339:                             ;   in Loop: Header=BB2_3931 Depth=3
	s_or_b32 exec_lo, exec_lo, s34
.LBB2_4340:                             ;   in Loop: Header=BB2_3931 Depth=3
	s_delay_alu instid0(SALU_CYCLE_1) | instskip(SKIP_3) | instid1(VALU_DEP_1)
	s_or_b32 exec_lo, exec_lo, s15
	v_lshrrev_b16 v167, 8, v148
	s_mov_b32 s14, 0
	s_mov_b32 s34, exec_lo
                                        ; implicit-def: $sgpr15
	v_cmpx_lt_i16_e64 0x7f, v167
	s_xor_b32 s34, exec_lo, s34
	s_cbranch_execnz .LBB2_4559
; %bb.4341:                             ;   in Loop: Header=BB2_3931 Depth=3
	s_or_saveexec_b32 s34, s34
	v_mov_b32_e32 v161, s15
	s_xor_b32 exec_lo, exec_lo, s34
	s_cbranch_execnz .LBB2_4562
.LBB2_4342:                             ;   in Loop: Header=BB2_3931 Depth=3
	s_or_b32 exec_lo, exec_lo, s34
	s_and_saveexec_b32 s15, s14
	s_cbranch_execz .LBB2_4344
.LBB2_4343:                             ;   in Loop: Header=BB2_3931 Depth=3
	v_and_b32_e32 v161, 0xffff, v167
	v_lshlrev_b32_e32 v167, 24, v167
	s_delay_alu instid0(VALU_DEP_2) | instskip(NEXT) | instid1(VALU_DEP_2)
	v_and_b32_e32 v176, 3, v161
	v_and_b32_e32 v167, 0x80000000, v167
	s_delay_alu instid0(VALU_DEP_2) | instskip(NEXT) | instid1(VALU_DEP_1)
	v_clz_i32_u32_e32 v177, v176
	v_min_u32_e32 v177, 32, v177
	s_delay_alu instid0(VALU_DEP_1) | instskip(SKIP_1) | instid1(VALU_DEP_2)
	v_subrev_nc_u32_e32 v178, 29, v177
	v_sub_nc_u32_e32 v177, 30, v177
	v_lshlrev_b32_e32 v178, v178, v161
	v_bfe_u32 v161, v161, 2, 5
	s_delay_alu instid0(VALU_DEP_1) | instskip(NEXT) | instid1(VALU_DEP_3)
	v_cmp_eq_u32_e32 vcc_lo, 0, v161
	v_dual_cndmask_b32 v161, v161, v177 :: v_dual_and_b32 v178, 3, v178
	s_delay_alu instid0(VALU_DEP_1) | instskip(NEXT) | instid1(VALU_DEP_2)
	v_cndmask_b32_e32 v176, v176, v178, vcc_lo
	v_lshl_add_u32 v161, v161, 23, 0x37800000
	s_delay_alu instid0(VALU_DEP_2) | instskip(NEXT) | instid1(VALU_DEP_1)
	v_lshlrev_b32_e32 v176, 21, v176
	v_or3_b32 v161, v167, v161, v176
.LBB2_4344:                             ;   in Loop: Header=BB2_3931 Depth=3
	s_or_b32 exec_lo, exec_lo, s15
	v_lshrrev_b16 v167, 8, v11
	s_mov_b32 s14, 0
	s_mov_b32 s34, exec_lo
                                        ; implicit-def: $sgpr15
	s_delay_alu instid0(VALU_DEP_1)
	v_cmpx_lt_i16_e64 0x7f, v167
	s_xor_b32 s34, exec_lo, s34
	s_cbranch_execnz .LBB2_4563
; %bb.4345:                             ;   in Loop: Header=BB2_3931 Depth=3
	s_or_saveexec_b32 s34, s34
	v_mov_b32_e32 v176, s15
	s_xor_b32 exec_lo, exec_lo, s34
	s_cbranch_execnz .LBB2_4566
.LBB2_4346:                             ;   in Loop: Header=BB2_3931 Depth=3
	s_or_b32 exec_lo, exec_lo, s34
	s_and_saveexec_b32 s15, s14
	s_cbranch_execz .LBB2_4348
.LBB2_4347:                             ;   in Loop: Header=BB2_3931 Depth=3
	v_and_b32_e32 v176, 0xffff, v167
	v_lshlrev_b32_e32 v167, 24, v167
	s_delay_alu instid0(VALU_DEP_2) | instskip(NEXT) | instid1(VALU_DEP_2)
	v_and_b32_e32 v177, 3, v176
	v_and_b32_e32 v167, 0x80000000, v167
	s_delay_alu instid0(VALU_DEP_2) | instskip(NEXT) | instid1(VALU_DEP_1)
	v_clz_i32_u32_e32 v178, v177
	v_min_u32_e32 v178, 32, v178
	s_delay_alu instid0(VALU_DEP_1) | instskip(SKIP_1) | instid1(VALU_DEP_2)
	v_subrev_nc_u32_e32 v179, 29, v178
	v_sub_nc_u32_e32 v178, 30, v178
	v_lshlrev_b32_e32 v179, v179, v176
	v_bfe_u32 v176, v176, 2, 5
	s_delay_alu instid0(VALU_DEP_2) | instskip(NEXT) | instid1(VALU_DEP_2)
	v_and_b32_e32 v179, 3, v179
	v_cmp_eq_u32_e32 vcc_lo, 0, v176
	s_delay_alu instid0(VALU_DEP_2) | instskip(NEXT) | instid1(VALU_DEP_1)
	v_dual_cndmask_b32 v176, v176, v178 :: v_dual_cndmask_b32 v177, v177, v179
	v_lshl_add_u32 v176, v176, 23, 0x37800000
	s_delay_alu instid0(VALU_DEP_2) | instskip(NEXT) | instid1(VALU_DEP_1)
	v_lshlrev_b32_e32 v177, 21, v177
	v_or3_b32 v176, v167, v176, v177
.LBB2_4348:                             ;   in Loop: Header=BB2_3931 Depth=3
	s_or_b32 exec_lo, exec_lo, s15
	s_delay_alu instid0(VALU_DEP_1) | instskip(NEXT) | instid1(VALU_DEP_1)
	v_add_f32_e32 v167, v161, v176
	v_and_b32_e32 v161, 0x7f800000, v167
	s_delay_alu instid0(VALU_DEP_1)
	v_cmp_ne_u32_e32 vcc_lo, 0x7f800000, v161
	v_mov_b32_e32 v161, 0x8000
	s_and_saveexec_b32 s15, vcc_lo
	s_cbranch_execz .LBB2_4356
; %bb.4349:                             ;   in Loop: Header=BB2_3931 Depth=3
	v_mov_b32_e32 v161, 0
	s_mov_b32 s34, exec_lo
	v_cmpx_ne_u32_e32 0, v167
	s_cbranch_execz .LBB2_4355
; %bb.4350:                             ;   in Loop: Header=BB2_3931 Depth=3
	v_bfe_u32 v161, v167, 23, 8
	s_delay_alu instid0(VALU_DEP_1) | instskip(SKIP_1) | instid1(VALU_DEP_2)
	v_sub_nc_u32_e32 v177, 0x70, v161
	v_cmp_gt_u32_e32 vcc_lo, 0x71, v161
	v_dual_cndmask_b32 v177, 0, v177 :: v_dual_and_b32 v176, 0x7fffff, v167
	s_delay_alu instid0(VALU_DEP_1) | instskip(SKIP_2) | instid1(VALU_DEP_4)
	v_or_b32_e32 v178, 0x800000, v176
	v_cmp_eq_u32_e32 vcc_lo, 0, v161
	v_add_nc_u32_e32 v161, 0xffffff91, v161
	v_cndmask_b32_e64 v177, v177, 0x6f, vcc_lo
	s_delay_alu instid0(VALU_DEP_4) | instskip(NEXT) | instid1(VALU_DEP_3)
	v_cndmask_b32_e32 v176, v178, v176, vcc_lo
	v_cndmask_b32_e64 v161, v161, 0xffffff92, vcc_lo
	s_delay_alu instid0(VALU_DEP_3) | instskip(NEXT) | instid1(VALU_DEP_3)
	v_lshl_add_u32 v178, 0x200000, v177, -1
	v_lshrrev_b32_e32 v179, v177, v176
	v_lshlrev_b32_e64 v181, v177, 0x100000
	s_delay_alu instid0(VALU_DEP_4) | instskip(NEXT) | instid1(VALU_DEP_4)
	v_add_nc_u32_e32 v177, v177, v161
	v_and_b32_e32 v176, v178, v176
	s_delay_alu instid0(VALU_DEP_4) | instskip(NEXT) | instid1(VALU_DEP_2)
	v_bfe_u32 v180, v179, 21, 1
	v_cmp_eq_u32_e64 s14, v176, v181
	s_delay_alu instid0(VALU_DEP_2) | instskip(NEXT) | instid1(VALU_DEP_1)
	v_add_nc_u32_e32 v178, -1, v180
	v_cndmask_b32_e64 v176, 0, v178, s14
	v_lshrrev_b32_e32 v178, 23, v179
	s_mov_b32 s14, exec_lo
	s_delay_alu instid0(VALU_DEP_2) | instskip(NEXT) | instid1(VALU_DEP_2)
	v_add_nc_u32_e32 v176, v176, v179
	v_xor_b32_e32 v178, 1, v178
	s_delay_alu instid0(VALU_DEP_2) | instskip(NEXT) | instid1(VALU_DEP_1)
	v_and_b32_e32 v161, 0x1fffff, v176
	v_add_nc_u32_e32 v176, v161, v179
                                        ; implicit-def: $vgpr161
	s_delay_alu instid0(VALU_DEP_3)
	v_cmpx_ne_u32_e64 v177, v178
	s_xor_b32 s14, exec_lo, s14
; %bb.4351:                             ;   in Loop: Header=BB2_3931 Depth=3
	s_delay_alu instid0(VALU_DEP_2) | instskip(SKIP_2) | instid1(VALU_DEP_2)
	v_cmp_lt_u32_e32 vcc_lo, 0xffffff, v176
	v_sub_nc_u32_e32 v161, v177, v178
	v_cndmask_b32_e64 v177, 0, 1, vcc_lo
	v_add_co_ci_u32_e32 v161, vcc_lo, 0, v161, vcc_lo
	s_delay_alu instid0(VALU_DEP_2)
	v_lshrrev_b32_e32 v176, v177, v176
; %bb.4352:                             ;   in Loop: Header=BB2_3931 Depth=3
	s_and_not1_saveexec_b32 s14, s14
; %bb.4353:                             ;   in Loop: Header=BB2_3931 Depth=3
	s_delay_alu instid0(VALU_DEP_1)
	v_bfe_u32 v161, v176, 23, 1
; %bb.4354:                             ;   in Loop: Header=BB2_3931 Depth=3
	s_or_b32 exec_lo, exec_lo, s14
	v_lshrrev_b32_e32 v176, 21, v176
	s_delay_alu instid0(VALU_DEP_2) | instskip(SKIP_2) | instid1(VALU_DEP_2)
	v_cmp_gt_i32_e32 vcc_lo, 32, v161
	v_min_i32_e32 v177, 31, v161
	v_lshrrev_b32_e32 v167, 24, v167
	v_dual_cndmask_b32 v176, 3, v176 :: v_dual_lshlrev_b32 v177, 2, v177
	s_delay_alu instid0(VALU_DEP_2) | instskip(NEXT) | instid1(VALU_DEP_2)
	v_and_b32_e32 v167, 0x80, v167
	v_or_b32_e32 v161, v161, v176
	s_delay_alu instid0(VALU_DEP_3) | instskip(NEXT) | instid1(VALU_DEP_2)
	v_and_b32_e32 v177, 0xfc, v177
	v_cmp_ne_u32_e32 vcc_lo, 0, v161
	v_and_b32_e32 v178, 3, v176
	s_delay_alu instid0(VALU_DEP_1) | instskip(NEXT) | instid1(VALU_DEP_1)
	v_or3_b32 v167, v167, v177, v178
	v_lshlrev_b32_e32 v167, 8, v167
	s_delay_alu instid0(VALU_DEP_1)
	v_cndmask_b32_e32 v161, 0, v167, vcc_lo
.LBB2_4355:                             ;   in Loop: Header=BB2_3931 Depth=3
	s_or_b32 exec_lo, exec_lo, s34
.LBB2_4356:                             ;   in Loop: Header=BB2_3931 Depth=3
	s_delay_alu instid0(SALU_CYCLE_1) | instskip(SKIP_3) | instid1(VALU_DEP_1)
	s_or_b32 exec_lo, exec_lo, s15
	v_or_b32_e32 v150, v150, v146
	s_mov_b32 s14, 0
	s_mov_b32 s34, exec_lo
                                        ; implicit-def: $sgpr15
	v_and_b32_e32 v167, 0xff, v150
	s_delay_alu instid0(VALU_DEP_1)
	v_cmpx_lt_i16_e64 0x7f, v167
	s_xor_b32 s34, exec_lo, s34
	s_cbranch_execnz .LBB2_4567
; %bb.4357:                             ;   in Loop: Header=BB2_3931 Depth=3
	s_or_saveexec_b32 s34, s34
	v_mov_b32_e32 v146, s15
	s_xor_b32 exec_lo, exec_lo, s34
	s_cbranch_execnz .LBB2_4570
.LBB2_4358:                             ;   in Loop: Header=BB2_3931 Depth=3
	s_or_b32 exec_lo, exec_lo, s34
	v_lshl_or_b32 v148, v150, 16, v148
	s_and_saveexec_b32 s15, s14
	s_cbranch_execz .LBB2_4360
.LBB2_4359:                             ;   in Loop: Header=BB2_3931 Depth=3
	s_delay_alu instid0(VALU_DEP_1) | instskip(SKIP_1) | instid1(VALU_DEP_2)
	v_bfe_u32 v146, v148, 16, 2
	v_lshrrev_b32_e32 v167, 16, v148
	v_clz_i32_u32_e32 v150, v146
	s_delay_alu instid0(VALU_DEP_1) | instskip(NEXT) | instid1(VALU_DEP_1)
	v_min_u32_e32 v150, 32, v150
	v_subrev_nc_u32_e32 v176, 29, v150
	v_sub_nc_u32_e32 v150, 30, v150
	s_delay_alu instid0(VALU_DEP_2) | instskip(SKIP_1) | instid1(VALU_DEP_1)
	v_lshlrev_b32_e32 v167, v176, v167
	v_bfe_u32 v176, v148, 18, 5
	v_cmp_eq_u32_e32 vcc_lo, 0, v176
	s_delay_alu instid0(VALU_DEP_3) | instskip(NEXT) | instid1(VALU_DEP_1)
	v_dual_cndmask_b32 v150, v176, v150 :: v_dual_and_b32 v167, 3, v167
	v_dual_cndmask_b32 v146, v146, v167 :: v_dual_lshlrev_b32 v177, 8, v148
	s_delay_alu instid0(VALU_DEP_2) | instskip(NEXT) | instid1(VALU_DEP_2)
	v_lshl_add_u32 v150, v150, 23, 0x37800000
	v_and_b32_e32 v167, 0x80000000, v177
	s_delay_alu instid0(VALU_DEP_3) | instskip(NEXT) | instid1(VALU_DEP_1)
	v_lshlrev_b32_e32 v146, 21, v146
	v_or3_b32 v146, v167, v150, v146
.LBB2_4360:                             ;   in Loop: Header=BB2_3931 Depth=3
	s_or_b32 exec_lo, exec_lo, s15
	v_lshrrev_b32_e32 v150, 16, v11
	s_mov_b32 s14, 0
	s_mov_b32 s34, exec_lo
                                        ; implicit-def: $sgpr15
	s_delay_alu instid0(VALU_DEP_1) | instskip(NEXT) | instid1(VALU_DEP_1)
	v_and_b32_e32 v176, 0xff, v150
	v_cmpx_lt_i16_e64 0x7f, v176
	s_xor_b32 s34, exec_lo, s34
	s_cbranch_execnz .LBB2_4571
; %bb.4361:                             ;   in Loop: Header=BB2_3931 Depth=3
	s_or_saveexec_b32 s34, s34
	v_mov_b32_e32 v167, s15
	s_xor_b32 exec_lo, exec_lo, s34
	s_cbranch_execnz .LBB2_4574
.LBB2_4362:                             ;   in Loop: Header=BB2_3931 Depth=3
	s_or_b32 exec_lo, exec_lo, s34
	s_and_saveexec_b32 s15, s14
	s_cbranch_execz .LBB2_4364
.LBB2_4363:                             ;   in Loop: Header=BB2_3931 Depth=3
	v_bfe_u32 v167, v11, 16, 2
	v_lshlrev_b32_e32 v178, 8, v11
	s_delay_alu instid0(VALU_DEP_2) | instskip(NEXT) | instid1(VALU_DEP_1)
	v_clz_i32_u32_e32 v176, v167
	v_min_u32_e32 v176, 32, v176
	s_delay_alu instid0(VALU_DEP_1) | instskip(SKIP_1) | instid1(VALU_DEP_2)
	v_subrev_nc_u32_e32 v177, 29, v176
	v_sub_nc_u32_e32 v176, 30, v176
	v_lshlrev_b32_e32 v150, v177, v150
	v_bfe_u32 v177, v11, 18, 5
	s_delay_alu instid0(VALU_DEP_2) | instskip(NEXT) | instid1(VALU_DEP_2)
	v_and_b32_e32 v150, 3, v150
	v_cmp_eq_u32_e32 vcc_lo, 0, v177
	v_cndmask_b32_e32 v176, v177, v176, vcc_lo
	s_delay_alu instid0(VALU_DEP_3) | instskip(SKIP_1) | instid1(VALU_DEP_3)
	v_cndmask_b32_e32 v150, v167, v150, vcc_lo
	v_and_b32_e32 v167, 0x80000000, v178
	v_lshl_add_u32 v176, v176, 23, 0x37800000
	s_delay_alu instid0(VALU_DEP_3) | instskip(NEXT) | instid1(VALU_DEP_1)
	v_lshlrev_b32_e32 v150, 21, v150
	v_or3_b32 v167, v167, v176, v150
.LBB2_4364:                             ;   in Loop: Header=BB2_3931 Depth=3
	s_or_b32 exec_lo, exec_lo, s15
	s_delay_alu instid0(VALU_DEP_1) | instskip(NEXT) | instid1(VALU_DEP_1)
	v_add_f32_e32 v150, v146, v167
	v_and_b32_e32 v146, 0x7f800000, v150
	s_delay_alu instid0(VALU_DEP_1)
	v_cmp_ne_u32_e32 vcc_lo, 0x7f800000, v146
	v_mov_b32_e32 v146, 0x80
	s_and_saveexec_b32 s15, vcc_lo
	s_cbranch_execz .LBB2_4372
; %bb.4365:                             ;   in Loop: Header=BB2_3931 Depth=3
	v_mov_b32_e32 v146, 0
	s_mov_b32 s34, exec_lo
	v_cmpx_ne_u32_e32 0, v150
	s_cbranch_execz .LBB2_4371
; %bb.4366:                             ;   in Loop: Header=BB2_3931 Depth=3
	v_bfe_u32 v146, v150, 23, 8
	s_delay_alu instid0(VALU_DEP_1) | instskip(SKIP_1) | instid1(VALU_DEP_2)
	v_sub_nc_u32_e32 v176, 0x70, v146
	v_cmp_gt_u32_e32 vcc_lo, 0x71, v146
	v_dual_cndmask_b32 v176, 0, v176 :: v_dual_and_b32 v167, 0x7fffff, v150
	s_delay_alu instid0(VALU_DEP_1) | instskip(SKIP_2) | instid1(VALU_DEP_4)
	v_or_b32_e32 v177, 0x800000, v167
	v_cmp_eq_u32_e32 vcc_lo, 0, v146
	v_add_nc_u32_e32 v146, 0xffffff91, v146
	v_cndmask_b32_e64 v176, v176, 0x6f, vcc_lo
	s_delay_alu instid0(VALU_DEP_4) | instskip(NEXT) | instid1(VALU_DEP_3)
	v_cndmask_b32_e32 v167, v177, v167, vcc_lo
	v_cndmask_b32_e64 v146, v146, 0xffffff92, vcc_lo
	s_delay_alu instid0(VALU_DEP_3) | instskip(NEXT) | instid1(VALU_DEP_3)
	v_lshl_add_u32 v177, 0x200000, v176, -1
	v_lshrrev_b32_e32 v178, v176, v167
	v_lshlrev_b32_e64 v180, v176, 0x100000
	s_delay_alu instid0(VALU_DEP_4) | instskip(NEXT) | instid1(VALU_DEP_4)
	v_add_nc_u32_e32 v176, v176, v146
	v_and_b32_e32 v167, v177, v167
	s_delay_alu instid0(VALU_DEP_4) | instskip(NEXT) | instid1(VALU_DEP_2)
	v_bfe_u32 v179, v178, 21, 1
	v_cmp_eq_u32_e64 s14, v167, v180
	s_delay_alu instid0(VALU_DEP_2) | instskip(NEXT) | instid1(VALU_DEP_1)
	v_add_nc_u32_e32 v177, -1, v179
	v_cndmask_b32_e64 v167, 0, v177, s14
	v_lshrrev_b32_e32 v177, 23, v178
	s_mov_b32 s14, exec_lo
	s_delay_alu instid0(VALU_DEP_2) | instskip(NEXT) | instid1(VALU_DEP_2)
	v_add_nc_u32_e32 v167, v167, v178
	v_xor_b32_e32 v177, 1, v177
	s_delay_alu instid0(VALU_DEP_2) | instskip(NEXT) | instid1(VALU_DEP_1)
	v_and_b32_e32 v146, 0x1fffff, v167
	v_add_nc_u32_e32 v167, v146, v178
                                        ; implicit-def: $vgpr146
	s_delay_alu instid0(VALU_DEP_3)
	v_cmpx_ne_u32_e64 v176, v177
	s_xor_b32 s14, exec_lo, s14
; %bb.4367:                             ;   in Loop: Header=BB2_3931 Depth=3
	s_delay_alu instid0(VALU_DEP_2) | instskip(SKIP_2) | instid1(VALU_DEP_2)
	v_cmp_lt_u32_e32 vcc_lo, 0xffffff, v167
	v_sub_nc_u32_e32 v146, v176, v177
	v_cndmask_b32_e64 v176, 0, 1, vcc_lo
	v_add_co_ci_u32_e32 v146, vcc_lo, 0, v146, vcc_lo
	s_delay_alu instid0(VALU_DEP_2)
	v_lshrrev_b32_e32 v167, v176, v167
; %bb.4368:                             ;   in Loop: Header=BB2_3931 Depth=3
	s_and_not1_saveexec_b32 s14, s14
; %bb.4369:                             ;   in Loop: Header=BB2_3931 Depth=3
	s_delay_alu instid0(VALU_DEP_1)
	v_bfe_u32 v146, v167, 23, 1
; %bb.4370:                             ;   in Loop: Header=BB2_3931 Depth=3
	s_or_b32 exec_lo, exec_lo, s14
	v_lshrrev_b32_e32 v167, 21, v167
	s_delay_alu instid0(VALU_DEP_2) | instskip(SKIP_2) | instid1(VALU_DEP_2)
	v_cmp_gt_i32_e32 vcc_lo, 32, v146
	v_min_i32_e32 v176, 31, v146
	v_lshrrev_b32_e32 v150, 24, v150
	v_dual_cndmask_b32 v167, 3, v167 :: v_dual_lshlrev_b32 v176, 2, v176
	s_delay_alu instid0(VALU_DEP_2) | instskip(NEXT) | instid1(VALU_DEP_2)
	v_and_b32_e32 v150, 0x80, v150
	v_or_b32_e32 v146, v146, v167
	s_delay_alu instid0(VALU_DEP_3) | instskip(NEXT) | instid1(VALU_DEP_2)
	v_and_b32_e32 v176, 0xfc, v176
	v_cmp_ne_u32_e32 vcc_lo, 0, v146
	v_and_b32_e32 v177, 3, v167
	s_delay_alu instid0(VALU_DEP_1) | instskip(NEXT) | instid1(VALU_DEP_1)
	v_or3_b32 v150, v176, v150, v177
	v_cndmask_b32_e32 v146, 0, v150, vcc_lo
.LBB2_4371:                             ;   in Loop: Header=BB2_3931 Depth=3
	s_or_b32 exec_lo, exec_lo, s34
.LBB2_4372:                             ;   in Loop: Header=BB2_3931 Depth=3
	s_delay_alu instid0(SALU_CYCLE_1) | instskip(SKIP_3) | instid1(VALU_DEP_1)
	s_or_b32 exec_lo, exec_lo, s15
	v_lshrrev_b32_e32 v167, 24, v148
	s_mov_b32 s14, 0
	s_mov_b32 s34, exec_lo
                                        ; implicit-def: $sgpr15
	v_cmpx_lt_i16_e64 0x7f, v167
	s_xor_b32 s34, exec_lo, s34
	s_cbranch_execnz .LBB2_4575
; %bb.4373:                             ;   in Loop: Header=BB2_3931 Depth=3
	s_or_saveexec_b32 s34, s34
	v_mov_b32_e32 v150, s15
	s_xor_b32 exec_lo, exec_lo, s34
	s_cbranch_execnz .LBB2_4578
.LBB2_4374:                             ;   in Loop: Header=BB2_3931 Depth=3
	s_or_b32 exec_lo, exec_lo, s34
	s_and_saveexec_b32 s15, s14
	s_cbranch_execz .LBB2_4376
.LBB2_4375:                             ;   in Loop: Header=BB2_3931 Depth=3
	v_bfe_u32 v150, v148, 24, 2
	s_delay_alu instid0(VALU_DEP_1) | instskip(NEXT) | instid1(VALU_DEP_1)
	v_clz_i32_u32_e32 v176, v150
	v_min_u32_e32 v176, 32, v176
	s_delay_alu instid0(VALU_DEP_1) | instskip(SKIP_1) | instid1(VALU_DEP_2)
	v_subrev_nc_u32_e32 v177, 29, v176
	v_sub_nc_u32_e32 v176, 30, v176
	v_lshlrev_b32_e32 v167, v177, v167
	v_bfe_u32 v177, v148, 26, 5
	v_and_b32_e32 v148, 0x80000000, v148
	s_delay_alu instid0(VALU_DEP_2) | instskip(NEXT) | instid1(VALU_DEP_4)
	v_cmp_eq_u32_e32 vcc_lo, 0, v177
	v_dual_cndmask_b32 v176, v177, v176 :: v_dual_and_b32 v167, 3, v167
	s_delay_alu instid0(VALU_DEP_1) | instskip(NEXT) | instid1(VALU_DEP_2)
	v_cndmask_b32_e32 v150, v150, v167, vcc_lo
	v_lshl_add_u32 v167, v176, 23, 0x37800000
	s_delay_alu instid0(VALU_DEP_2) | instskip(NEXT) | instid1(VALU_DEP_1)
	v_lshlrev_b32_e32 v150, 21, v150
	v_or3_b32 v150, v148, v167, v150
.LBB2_4376:                             ;   in Loop: Header=BB2_3931 Depth=3
	s_or_b32 exec_lo, exec_lo, s15
	v_lshrrev_b32_e32 v148, 24, v11
	s_mov_b32 s14, 0
	s_mov_b32 s34, exec_lo
                                        ; implicit-def: $sgpr15
	s_delay_alu instid0(VALU_DEP_1)
	v_cmpx_lt_i16_e64 0x7f, v148
	s_xor_b32 s34, exec_lo, s34
	s_cbranch_execnz .LBB2_4579
; %bb.4377:                             ;   in Loop: Header=BB2_3931 Depth=3
	s_or_saveexec_b32 s34, s34
	v_mov_b32_e32 v167, s15
	s_xor_b32 exec_lo, exec_lo, s34
	s_cbranch_execnz .LBB2_4582
.LBB2_4378:                             ;   in Loop: Header=BB2_3931 Depth=3
	s_or_b32 exec_lo, exec_lo, s34
	s_and_saveexec_b32 s15, s14
	s_cbranch_execz .LBB2_4380
.LBB2_4379:                             ;   in Loop: Header=BB2_3931 Depth=3
	v_bfe_u32 v167, v11, 24, 2
	s_delay_alu instid0(VALU_DEP_1) | instskip(NEXT) | instid1(VALU_DEP_1)
	v_clz_i32_u32_e32 v176, v167
	v_min_u32_e32 v176, 32, v176
	s_delay_alu instid0(VALU_DEP_1) | instskip(SKIP_1) | instid1(VALU_DEP_2)
	v_subrev_nc_u32_e32 v177, 29, v176
	v_sub_nc_u32_e32 v176, 30, v176
	v_lshlrev_b32_e32 v148, v177, v148
	v_bfe_u32 v177, v11, 26, 5
	v_and_b32_e32 v11, 0x80000000, v11
	s_delay_alu instid0(VALU_DEP_3) | instskip(NEXT) | instid1(VALU_DEP_3)
	v_and_b32_e32 v148, 3, v148
	v_cmp_eq_u32_e32 vcc_lo, 0, v177
	v_cndmask_b32_e32 v176, v177, v176, vcc_lo
	s_delay_alu instid0(VALU_DEP_3) | instskip(NEXT) | instid1(VALU_DEP_2)
	v_cndmask_b32_e32 v148, v167, v148, vcc_lo
	v_lshl_add_u32 v167, v176, 23, 0x37800000
	s_delay_alu instid0(VALU_DEP_2) | instskip(NEXT) | instid1(VALU_DEP_1)
	v_lshlrev_b32_e32 v148, 21, v148
	v_or3_b32 v167, v11, v167, v148
.LBB2_4380:                             ;   in Loop: Header=BB2_3931 Depth=3
	s_or_b32 exec_lo, exec_lo, s15
	s_delay_alu instid0(VALU_DEP_1) | instskip(NEXT) | instid1(VALU_DEP_1)
	v_add_f32_e32 v11, v150, v167
	v_and_b32_e32 v148, 0x7f800000, v11
	s_delay_alu instid0(VALU_DEP_1)
	v_cmp_ne_u32_e32 vcc_lo, 0x7f800000, v148
	v_mov_b32_e32 v148, 0x8000
	s_and_saveexec_b32 s15, vcc_lo
	s_cbranch_execz .LBB2_4388
; %bb.4381:                             ;   in Loop: Header=BB2_3931 Depth=3
	v_mov_b32_e32 v148, 0
	s_mov_b32 s34, exec_lo
	v_cmpx_ne_u32_e32 0, v11
	s_cbranch_execz .LBB2_4387
; %bb.4382:                             ;   in Loop: Header=BB2_3931 Depth=3
	v_bfe_u32 v148, v11, 23, 8
	v_and_b32_e32 v150, 0x7fffff, v11
	s_delay_alu instid0(VALU_DEP_2) | instskip(SKIP_1) | instid1(VALU_DEP_3)
	v_sub_nc_u32_e32 v167, 0x70, v148
	v_cmp_gt_u32_e32 vcc_lo, 0x71, v148
	v_or_b32_e32 v176, 0x800000, v150
	s_delay_alu instid0(VALU_DEP_3) | instskip(SKIP_2) | instid1(VALU_DEP_4)
	v_cndmask_b32_e32 v167, 0, v167, vcc_lo
	v_cmp_eq_u32_e32 vcc_lo, 0, v148
	v_add_nc_u32_e32 v148, 0xffffff91, v148
	v_cndmask_b32_e32 v150, v176, v150, vcc_lo
	s_delay_alu instid0(VALU_DEP_4) | instskip(NEXT) | instid1(VALU_DEP_3)
	v_cndmask_b32_e64 v167, v167, 0x6f, vcc_lo
	v_cndmask_b32_e64 v148, v148, 0xffffff92, vcc_lo
	s_delay_alu instid0(VALU_DEP_2) | instskip(SKIP_2) | instid1(VALU_DEP_4)
	v_lshrrev_b32_e32 v177, v167, v150
	v_lshl_add_u32 v176, 0x200000, v167, -1
	v_lshlrev_b32_e64 v179, v167, 0x100000
	v_add_nc_u32_e32 v167, v167, v148
	s_delay_alu instid0(VALU_DEP_4) | instskip(NEXT) | instid1(VALU_DEP_4)
	v_bfe_u32 v178, v177, 21, 1
	v_and_b32_e32 v150, v176, v150
	s_delay_alu instid0(VALU_DEP_2) | instskip(NEXT) | instid1(VALU_DEP_2)
	v_add_nc_u32_e32 v176, -1, v178
	v_cmp_eq_u32_e64 s14, v150, v179
	s_delay_alu instid0(VALU_DEP_1) | instskip(SKIP_2) | instid1(VALU_DEP_2)
	v_cndmask_b32_e64 v150, 0, v176, s14
	v_lshrrev_b32_e32 v176, 23, v177
	s_mov_b32 s14, exec_lo
	v_add_nc_u32_e32 v150, v150, v177
	s_delay_alu instid0(VALU_DEP_2) | instskip(NEXT) | instid1(VALU_DEP_2)
	v_xor_b32_e32 v176, 1, v176
	v_and_b32_e32 v148, 0x1fffff, v150
	s_delay_alu instid0(VALU_DEP_1) | instskip(NEXT) | instid1(VALU_DEP_3)
	v_add_nc_u32_e32 v150, v148, v177
                                        ; implicit-def: $vgpr148
	v_cmpx_ne_u32_e64 v167, v176
	s_xor_b32 s14, exec_lo, s14
; %bb.4383:                             ;   in Loop: Header=BB2_3931 Depth=3
	s_delay_alu instid0(VALU_DEP_2) | instskip(SKIP_2) | instid1(VALU_DEP_2)
	v_cmp_lt_u32_e32 vcc_lo, 0xffffff, v150
	v_sub_nc_u32_e32 v148, v167, v176
	v_cndmask_b32_e64 v167, 0, 1, vcc_lo
	v_add_co_ci_u32_e32 v148, vcc_lo, 0, v148, vcc_lo
	s_delay_alu instid0(VALU_DEP_2)
	v_lshrrev_b32_e32 v150, v167, v150
; %bb.4384:                             ;   in Loop: Header=BB2_3931 Depth=3
	s_and_not1_saveexec_b32 s14, s14
; %bb.4385:                             ;   in Loop: Header=BB2_3931 Depth=3
	s_delay_alu instid0(VALU_DEP_1)
	v_bfe_u32 v148, v150, 23, 1
; %bb.4386:                             ;   in Loop: Header=BB2_3931 Depth=3
	s_or_b32 exec_lo, exec_lo, s14
	v_lshrrev_b32_e32 v150, 21, v150
	s_delay_alu instid0(VALU_DEP_2) | instskip(SKIP_2) | instid1(VALU_DEP_3)
	v_min_i32_e32 v167, 31, v148
	v_cmp_gt_i32_e32 vcc_lo, 32, v148
	v_lshrrev_b32_e32 v11, 24, v11
	v_dual_cndmask_b32 v150, 3, v150 :: v_dual_lshlrev_b32 v167, 2, v167
	s_delay_alu instid0(VALU_DEP_2) | instskip(NEXT) | instid1(VALU_DEP_2)
	v_and_b32_e32 v11, 0x80, v11
	v_and_b32_e32 v167, 0xfc, v167
	s_delay_alu instid0(VALU_DEP_3) | instskip(SKIP_1) | instid1(VALU_DEP_2)
	v_and_b32_e32 v176, 3, v150
	v_or_b32_e32 v148, v148, v150
	v_or3_b32 v11, v11, v167, v176
	s_delay_alu instid0(VALU_DEP_2) | instskip(NEXT) | instid1(VALU_DEP_2)
	v_cmp_ne_u32_e32 vcc_lo, 0, v148
	v_lshlrev_b32_e32 v11, 8, v11
	s_delay_alu instid0(VALU_DEP_1)
	v_cndmask_b32_e32 v148, 0, v11, vcc_lo
.LBB2_4387:                             ;   in Loop: Header=BB2_3931 Depth=3
	s_or_b32 exec_lo, exec_lo, s34
.LBB2_4388:                             ;   in Loop: Header=BB2_3931 Depth=3
	s_delay_alu instid0(SALU_CYCLE_1)
	s_or_b32 exec_lo, exec_lo, s15
	v_or_b32_e32 v9, v9, v164
	v_and_b32_e32 v11, 0xff, v163
	v_lshlrev_b32_e32 v149, 8, v149
	v_and_b32_e32 v151, 0xff, v151
	v_lshlrev_b32_e32 v160, 8, v160
	v_or_b32_e32 v146, v148, v146
	v_and_b32_e32 v150, 0xff, v165
	v_lshlrev_b32_e32 v8, 24, v8
	v_lshlrev_b32_e32 v9, 16, v9
	;; [unrolled: 1-line block ×3, first 2 shown]
	v_perm_b32 v145, v149, v145, 0xc0c0500
	v_lshlrev_b32_e32 v10, 24, v10
	v_lshlrev_b32_e32 v148, 16, v151
	v_perm_b32 v149, v160, v162, 0xc0c0500
	v_and_b32_e32 v147, 0xff, v147
	v_lshlrev_b32_e32 v146, 16, v146
	v_or3_b32 v9, v166, v150, v9
	v_or3_b32 v8, v8, v11, v145
	;; [unrolled: 1-line block ×3, first 2 shown]
	s_mov_b64 s[14:15], 0
	v_or3_b32 v11, v161, v147, v146
	s_mov_b32 s34, -1
.LBB2_4389:                             ;   Parent Loop BB2_51 Depth=1
                                        ;     Parent Loop BB2_3186 Depth=2
                                        ;       Parent Loop BB2_3931 Depth=3
                                        ; =>      This Inner Loop Header: Depth=4
	s_cmp_eq_u32 s14, 0
	v_cndmask_b32_e64 v147, 0, 1, s34
	s_cselect_b32 vcc_lo, -1, 0
	s_cmp_eq_u32 s14, 1
	s_mov_b32 s34, 0
	s_cselect_b32 s14, -1, 0
	s_delay_alu instid0(SALU_CYCLE_1) | instskip(SKIP_1) | instid1(VALU_DEP_2)
	v_cndmask_b32_e64 v145, v51, v53, s14
	v_cndmask_b32_e64 v146, v52, v54, s14
	v_add_co_u32 v148, s15, 0x200, v145
	s_delay_alu instid0(VALU_DEP_1) | instskip(SKIP_1) | instid1(VALU_DEP_3)
	v_add_co_ci_u32_e64 v149, s15, 0, v146, s15
	v_cmp_ne_u32_e64 s15, 1, v147
	v_cndmask_b32_e64 v53, v53, v148, s14
	v_cndmask_b32_e32 v51, v51, v148, vcc_lo
	s_delay_alu instid0(VALU_DEP_4)
	v_cndmask_b32_e64 v54, v54, v149, s14
	v_cndmask_b32_e32 v52, v52, v149, vcc_lo
	s_and_b32 vcc_lo, exec_lo, s15
	s_mov_b64 s[14:15], 1
	global_store_b128 v[145:146], v[8:11], off glc slc dlc
	s_cbranch_vccz .LBB2_4389
; %bb.4390:                             ;   in Loop: Header=BB2_3931 Depth=3
	v_add_co_u32 v64, vcc_lo, v64, v96
	v_add_co_ci_u32_e32 v65, vcc_lo, v65, v97, vcc_lo
	v_add_co_u32 v66, vcc_lo, v66, v96
	v_sub_nc_u32_e32 v135, v135, v82
	v_add_co_ci_u32_e32 v67, vcc_lo, v67, v97, vcc_lo
	v_add_co_u32 v51, vcc_lo, v51, v83
	v_add_co_ci_u32_e32 v52, vcc_lo, v52, v86, vcc_lo
	s_delay_alu instid0(VALU_DEP_4) | instskip(SKIP_1) | instid1(VALU_DEP_1)
	v_cmp_gt_i32_e32 vcc_lo, 16, v135
	v_add_co_u32 v53, s14, v53, v83
	v_add_co_ci_u32_e64 v54, s14, v54, v86, s14
	v_sub_nc_u32_e32 v134, v134, v71
	s_or_b32 s30, vcc_lo, s30
	s_delay_alu instid0(SALU_CYCLE_1)
	s_and_not1_b32 exec_lo, exec_lo, s30
	s_cbranch_execnz .LBB2_3931
	s_branch .LBB2_4583
.LBB2_4391:                             ;   in Loop: Header=BB2_3931 Depth=3
	s_mov_b32 s14, -1
	s_mov_b32 s36, exec_lo
                                        ; implicit-def: $sgpr34
	v_cmpx_eq_u16_e64 0x80, v146
; %bb.4392:                             ;   in Loop: Header=BB2_3931 Depth=3
	s_mov_b32 s34, 0x7f800001
	s_xor_b32 s14, exec_lo, -1
; %bb.4393:                             ;   in Loop: Header=BB2_3931 Depth=3
	s_or_b32 exec_lo, exec_lo, s36
	s_delay_alu instid0(SALU_CYCLE_1)
	s_and_b32 s14, s14, exec_lo
                                        ; implicit-def: $vgpr146
	s_or_saveexec_b32 s35, s35
	v_mov_b32_e32 v145, s34
	s_xor_b32 exec_lo, exec_lo, s35
	s_cbranch_execz .LBB2_3942
.LBB2_4394:                             ;   in Loop: Header=BB2_3931 Depth=3
	v_cmp_ne_u16_e64 vcc_lo, 0, v146
	v_mov_b32_e32 v145, 0
	s_and_not1_b32 s14, s14, exec_lo
	s_delay_alu instid0(VALU_DEP_2) | instskip(NEXT) | instid1(SALU_CYCLE_1)
	s_and_b32 vcc_lo, vcc_lo, exec_lo
	s_or_b32 s14, s14, vcc_lo
	s_or_b32 exec_lo, exec_lo, s35
	s_and_saveexec_b32 s34, s14
	s_cbranch_execnz .LBB2_3943
	s_branch .LBB2_3944
.LBB2_4395:                             ;   in Loop: Header=BB2_3931 Depth=3
	s_mov_b32 s14, -1
	s_mov_b32 s36, exec_lo
                                        ; implicit-def: $sgpr34
	v_cmpx_eq_u16_e64 0x80, v146
; %bb.4396:                             ;   in Loop: Header=BB2_3931 Depth=3
	s_mov_b32 s34, 0x7f800001
	s_xor_b32 s14, exec_lo, -1
; %bb.4397:                             ;   in Loop: Header=BB2_3931 Depth=3
	s_or_b32 exec_lo, exec_lo, s36
	s_delay_alu instid0(SALU_CYCLE_1)
	s_and_b32 s14, s14, exec_lo
	s_or_saveexec_b32 s35, s35
	v_mov_b32_e32 v147, s34
	s_xor_b32 exec_lo, exec_lo, s35
	s_cbranch_execz .LBB2_3954
.LBB2_4398:                             ;   in Loop: Header=BB2_3931 Depth=3
	v_cmp_ne_u16_e64 vcc_lo, 0, v146
	v_mov_b32_e32 v147, 0
	s_and_not1_b32 s14, s14, exec_lo
	s_delay_alu instid0(VALU_DEP_2) | instskip(NEXT) | instid1(SALU_CYCLE_1)
	s_and_b32 vcc_lo, vcc_lo, exec_lo
	s_or_b32 s14, s14, vcc_lo
	s_or_b32 exec_lo, exec_lo, s35
	s_and_saveexec_b32 s34, s14
	s_cbranch_execnz .LBB2_3955
	s_branch .LBB2_3956
.LBB2_4399:                             ;   in Loop: Header=BB2_3931 Depth=3
	s_mov_b32 s14, -1
	s_mov_b32 s36, exec_lo
                                        ; implicit-def: $sgpr34
	v_cmpx_eq_u16_e64 0x80, v148
; %bb.4400:                             ;   in Loop: Header=BB2_3931 Depth=3
	s_mov_b32 s34, 0x7f800001
	s_xor_b32 s14, exec_lo, -1
; %bb.4401:                             ;   in Loop: Header=BB2_3931 Depth=3
	s_or_b32 exec_lo, exec_lo, s36
	s_delay_alu instid0(SALU_CYCLE_1)
	s_and_b32 s14, s14, exec_lo
                                        ; implicit-def: $vgpr148
	s_or_saveexec_b32 s35, s35
	v_mov_b32_e32 v147, s34
	s_xor_b32 exec_lo, exec_lo, s35
	s_cbranch_execz .LBB2_3966
.LBB2_4402:                             ;   in Loop: Header=BB2_3931 Depth=3
	v_cmp_ne_u16_e64 vcc_lo, 0, v148
	v_mov_b32_e32 v147, 0
	s_and_not1_b32 s14, s14, exec_lo
	s_delay_alu instid0(VALU_DEP_2) | instskip(NEXT) | instid1(SALU_CYCLE_1)
	s_and_b32 vcc_lo, vcc_lo, exec_lo
	s_or_b32 s14, s14, vcc_lo
	s_or_b32 exec_lo, exec_lo, s35
	s_and_saveexec_b32 s34, s14
	s_cbranch_execnz .LBB2_3967
	s_branch .LBB2_3968
.LBB2_4403:                             ;   in Loop: Header=BB2_3931 Depth=3
	s_mov_b32 s14, -1
	s_mov_b32 s36, exec_lo
                                        ; implicit-def: $sgpr34
	v_cmpx_eq_u16_e64 0x80, v146
; %bb.4404:                             ;   in Loop: Header=BB2_3931 Depth=3
	s_mov_b32 s34, 0x7f800001
	s_xor_b32 s14, exec_lo, -1
; %bb.4405:                             ;   in Loop: Header=BB2_3931 Depth=3
	s_or_b32 exec_lo, exec_lo, s36
	s_delay_alu instid0(SALU_CYCLE_1)
	s_and_b32 s14, s14, exec_lo
	s_or_saveexec_b32 s35, s35
	v_mov_b32_e32 v147, s34
	s_xor_b32 exec_lo, exec_lo, s35
	s_cbranch_execz .LBB2_3978
.LBB2_4406:                             ;   in Loop: Header=BB2_3931 Depth=3
	v_cmp_ne_u16_e64 vcc_lo, 0, v146
	v_mov_b32_e32 v147, 0
	s_and_not1_b32 s14, s14, exec_lo
	s_delay_alu instid0(VALU_DEP_2) | instskip(NEXT) | instid1(SALU_CYCLE_1)
	s_and_b32 vcc_lo, vcc_lo, exec_lo
	s_or_b32 s14, s14, vcc_lo
	s_or_b32 exec_lo, exec_lo, s35
	s_and_saveexec_b32 s34, s14
	s_cbranch_execnz .LBB2_3979
	s_branch .LBB2_3980
.LBB2_4407:                             ;   in Loop: Header=BB2_3931 Depth=3
	s_mov_b32 s14, -1
	s_mov_b32 s36, exec_lo
                                        ; implicit-def: $sgpr34
	v_cmpx_eq_u16_e64 0x80, v146
; %bb.4408:                             ;   in Loop: Header=BB2_3931 Depth=3
	s_mov_b32 s34, 0x7f800001
	s_xor_b32 s14, exec_lo, -1
; %bb.4409:                             ;   in Loop: Header=BB2_3931 Depth=3
	s_or_b32 exec_lo, exec_lo, s36
	s_delay_alu instid0(SALU_CYCLE_1)
	s_and_b32 s14, s14, exec_lo
                                        ; implicit-def: $vgpr146
	s_or_saveexec_b32 s35, s35
	v_mov_b32_e32 v8, s34
	s_xor_b32 exec_lo, exec_lo, s35
	s_cbranch_execz .LBB2_3990
.LBB2_4410:                             ;   in Loop: Header=BB2_3931 Depth=3
	v_cmp_ne_u16_e64 vcc_lo, 0, v146
	v_mov_b32_e32 v8, 0
	s_and_not1_b32 s14, s14, exec_lo
	s_delay_alu instid0(VALU_DEP_2) | instskip(NEXT) | instid1(SALU_CYCLE_1)
	s_and_b32 vcc_lo, vcc_lo, exec_lo
	s_or_b32 s14, s14, vcc_lo
	s_or_b32 exec_lo, exec_lo, s35
	s_and_saveexec_b32 s34, s14
	s_cbranch_execnz .LBB2_3991
	s_branch .LBB2_3992
.LBB2_4411:                             ;   in Loop: Header=BB2_3931 Depth=3
	s_mov_b32 s14, -1
	s_mov_b32 s36, exec_lo
                                        ; implicit-def: $sgpr34
	v_cmpx_eq_u16_e32 0x80, v8
; %bb.4412:                             ;   in Loop: Header=BB2_3931 Depth=3
	s_mov_b32 s34, 0x7f800001
	s_xor_b32 s14, exec_lo, -1
; %bb.4413:                             ;   in Loop: Header=BB2_3931 Depth=3
	s_or_b32 exec_lo, exec_lo, s36
	s_delay_alu instid0(SALU_CYCLE_1)
	s_and_b32 s14, s14, exec_lo
	s_or_saveexec_b32 s35, s35
	v_mov_b32_e32 v146, s34
	s_xor_b32 exec_lo, exec_lo, s35
	s_cbranch_execz .LBB2_4002
.LBB2_4414:                             ;   in Loop: Header=BB2_3931 Depth=3
	v_cmp_ne_u16_e32 vcc_lo, 0, v8
	v_mov_b32_e32 v146, 0
	s_and_not1_b32 s14, s14, exec_lo
	s_and_b32 vcc_lo, vcc_lo, exec_lo
	s_delay_alu instid0(SALU_CYCLE_1)
	s_or_b32 s14, s14, vcc_lo
	s_or_b32 exec_lo, exec_lo, s35
	s_and_saveexec_b32 s34, s14
	s_cbranch_execnz .LBB2_4003
	s_branch .LBB2_4004
.LBB2_4415:                             ;   in Loop: Header=BB2_3931 Depth=3
	s_mov_b32 s14, -1
	s_mov_b32 s36, exec_lo
                                        ; implicit-def: $sgpr34
	v_cmpx_eq_u16_e64 0x80, v147
; %bb.4416:                             ;   in Loop: Header=BB2_3931 Depth=3
	s_mov_b32 s34, 0x7f800001
	s_xor_b32 s14, exec_lo, -1
; %bb.4417:                             ;   in Loop: Header=BB2_3931 Depth=3
	s_or_b32 exec_lo, exec_lo, s36
	s_delay_alu instid0(SALU_CYCLE_1)
	s_and_b32 s14, s14, exec_lo
                                        ; implicit-def: $vgpr147
	s_or_saveexec_b32 s35, s35
	v_mov_b32_e32 v146, s34
	s_xor_b32 exec_lo, exec_lo, s35
	s_cbranch_execz .LBB2_4014
.LBB2_4418:                             ;   in Loop: Header=BB2_3931 Depth=3
	v_cmp_ne_u16_e64 vcc_lo, 0, v147
	v_mov_b32_e32 v146, 0
	s_and_not1_b32 s14, s14, exec_lo
	s_delay_alu instid0(VALU_DEP_2) | instskip(NEXT) | instid1(SALU_CYCLE_1)
	s_and_b32 vcc_lo, vcc_lo, exec_lo
	s_or_b32 s14, s14, vcc_lo
	s_or_b32 exec_lo, exec_lo, s35
	s_and_saveexec_b32 s34, s14
	s_cbranch_execnz .LBB2_4015
	s_branch .LBB2_4016
.LBB2_4419:                             ;   in Loop: Header=BB2_3931 Depth=3
	s_mov_b32 s14, -1
	s_mov_b32 s36, exec_lo
                                        ; implicit-def: $sgpr34
	v_cmpx_eq_u16_e32 0x80, v8
; %bb.4420:                             ;   in Loop: Header=BB2_3931 Depth=3
	s_mov_b32 s34, 0x7f800001
	s_xor_b32 s14, exec_lo, -1
; %bb.4421:                             ;   in Loop: Header=BB2_3931 Depth=3
	s_or_b32 exec_lo, exec_lo, s36
	s_delay_alu instid0(SALU_CYCLE_1)
	s_and_b32 s14, s14, exec_lo
	s_or_saveexec_b32 s35, s35
	v_mov_b32_e32 v146, s34
	s_xor_b32 exec_lo, exec_lo, s35
	s_cbranch_execz .LBB2_4026
.LBB2_4422:                             ;   in Loop: Header=BB2_3931 Depth=3
	v_cmp_ne_u16_e32 vcc_lo, 0, v8
	v_mov_b32_e32 v146, 0
	s_and_not1_b32 s14, s14, exec_lo
	s_and_b32 vcc_lo, vcc_lo, exec_lo
	s_delay_alu instid0(SALU_CYCLE_1)
	s_or_b32 s14, s14, vcc_lo
	s_or_b32 exec_lo, exec_lo, s35
	s_and_saveexec_b32 s34, s14
	s_cbranch_execnz .LBB2_4027
	s_branch .LBB2_4028
.LBB2_4423:                             ;   in Loop: Header=BB2_3931 Depth=3
	s_mov_b32 s14, -1
	s_mov_b32 s36, exec_lo
                                        ; implicit-def: $sgpr34
	v_cmpx_eq_u16_e32 0x80, v9
; %bb.4424:                             ;   in Loop: Header=BB2_3931 Depth=3
	s_mov_b32 s34, 0x7f800001
	s_xor_b32 s14, exec_lo, -1
; %bb.4425:                             ;   in Loop: Header=BB2_3931 Depth=3
	s_or_b32 exec_lo, exec_lo, s36
	s_delay_alu instid0(SALU_CYCLE_1)
	s_and_b32 s14, s14, exec_lo
                                        ; implicit-def: $vgpr9
	s_or_saveexec_b32 s35, s35
	v_mov_b32_e32 v8, s34
	s_xor_b32 exec_lo, exec_lo, s35
	s_cbranch_execz .LBB2_4038
.LBB2_4426:                             ;   in Loop: Header=BB2_3931 Depth=3
	v_cmp_ne_u16_e32 vcc_lo, 0, v9
	v_mov_b32_e32 v8, 0
	s_and_not1_b32 s14, s14, exec_lo
	s_and_b32 vcc_lo, vcc_lo, exec_lo
	s_delay_alu instid0(SALU_CYCLE_1)
	s_or_b32 s14, s14, vcc_lo
	s_or_b32 exec_lo, exec_lo, s35
	s_and_saveexec_b32 s34, s14
	s_cbranch_execnz .LBB2_4039
	s_branch .LBB2_4040
.LBB2_4427:                             ;   in Loop: Header=BB2_3931 Depth=3
	s_mov_b32 s14, -1
	s_mov_b32 s36, exec_lo
                                        ; implicit-def: $sgpr34
	v_cmpx_eq_u16_e32 0x80, v8
; %bb.4428:                             ;   in Loop: Header=BB2_3931 Depth=3
	s_mov_b32 s34, 0x7f800001
	s_xor_b32 s14, exec_lo, -1
; %bb.4429:                             ;   in Loop: Header=BB2_3931 Depth=3
	s_or_b32 exec_lo, exec_lo, s36
	s_delay_alu instid0(SALU_CYCLE_1)
	s_and_b32 s14, s14, exec_lo
	s_or_saveexec_b32 s35, s35
	v_mov_b32_e32 v9, s34
	s_xor_b32 exec_lo, exec_lo, s35
	s_cbranch_execz .LBB2_4050
.LBB2_4430:                             ;   in Loop: Header=BB2_3931 Depth=3
	v_cmp_ne_u16_e32 vcc_lo, 0, v8
	v_mov_b32_e32 v9, 0
	s_and_not1_b32 s14, s14, exec_lo
	s_and_b32 vcc_lo, vcc_lo, exec_lo
	s_delay_alu instid0(SALU_CYCLE_1)
	s_or_b32 s14, s14, vcc_lo
	s_or_b32 exec_lo, exec_lo, s35
	s_and_saveexec_b32 s34, s14
	s_cbranch_execnz .LBB2_4051
	s_branch .LBB2_4052
.LBB2_4431:                             ;   in Loop: Header=BB2_3931 Depth=3
	s_mov_b32 s14, -1
	s_mov_b32 s36, exec_lo
                                        ; implicit-def: $sgpr34
	v_cmpx_eq_u16_e64 0x80, v146
; %bb.4432:                             ;   in Loop: Header=BB2_3931 Depth=3
	s_mov_b32 s34, 0x7f800001
	s_xor_b32 s14, exec_lo, -1
; %bb.4433:                             ;   in Loop: Header=BB2_3931 Depth=3
	s_or_b32 exec_lo, exec_lo, s36
	s_delay_alu instid0(SALU_CYCLE_1)
	s_and_b32 s14, s14, exec_lo
                                        ; implicit-def: $vgpr146
	s_or_saveexec_b32 s35, s35
	v_mov_b32_e32 v9, s34
	s_xor_b32 exec_lo, exec_lo, s35
	s_cbranch_execz .LBB2_4062
.LBB2_4434:                             ;   in Loop: Header=BB2_3931 Depth=3
	v_cmp_ne_u16_e64 vcc_lo, 0, v146
	v_mov_b32_e32 v9, 0
	s_and_not1_b32 s14, s14, exec_lo
	s_delay_alu instid0(VALU_DEP_2) | instskip(NEXT) | instid1(SALU_CYCLE_1)
	s_and_b32 vcc_lo, vcc_lo, exec_lo
	s_or_b32 s14, s14, vcc_lo
	s_or_b32 exec_lo, exec_lo, s35
	s_and_saveexec_b32 s34, s14
	s_cbranch_execnz .LBB2_4063
	s_branch .LBB2_4064
.LBB2_4435:                             ;   in Loop: Header=BB2_3931 Depth=3
	s_mov_b32 s14, -1
	s_mov_b32 s36, exec_lo
                                        ; implicit-def: $sgpr34
	v_cmpx_eq_u16_e32 0x80, v8
; %bb.4436:                             ;   in Loop: Header=BB2_3931 Depth=3
	s_mov_b32 s34, 0x7f800001
	s_xor_b32 s14, exec_lo, -1
; %bb.4437:                             ;   in Loop: Header=BB2_3931 Depth=3
	s_or_b32 exec_lo, exec_lo, s36
	s_delay_alu instid0(SALU_CYCLE_1)
	s_and_b32 s14, s14, exec_lo
	s_or_saveexec_b32 s35, s35
	v_mov_b32_e32 v9, s34
	s_xor_b32 exec_lo, exec_lo, s35
	s_cbranch_execz .LBB2_4074
.LBB2_4438:                             ;   in Loop: Header=BB2_3931 Depth=3
	v_cmp_ne_u16_e32 vcc_lo, 0, v8
	v_mov_b32_e32 v9, 0
	s_and_not1_b32 s14, s14, exec_lo
	s_and_b32 vcc_lo, vcc_lo, exec_lo
	s_delay_alu instid0(SALU_CYCLE_1)
	s_or_b32 s14, s14, vcc_lo
	s_or_b32 exec_lo, exec_lo, s35
	s_and_saveexec_b32 s34, s14
	s_cbranch_execnz .LBB2_4075
	s_branch .LBB2_4076
.LBB2_4439:                             ;   in Loop: Header=BB2_3931 Depth=3
	s_mov_b32 s14, -1
	s_mov_b32 s36, exec_lo
                                        ; implicit-def: $sgpr34
	v_cmpx_eq_u16_e32 0x80, v9
; %bb.4440:                             ;   in Loop: Header=BB2_3931 Depth=3
	s_mov_b32 s34, 0x7f800001
	s_xor_b32 s14, exec_lo, -1
; %bb.4441:                             ;   in Loop: Header=BB2_3931 Depth=3
	s_or_b32 exec_lo, exec_lo, s36
	s_delay_alu instid0(SALU_CYCLE_1)
	s_and_b32 s14, s14, exec_lo
                                        ; implicit-def: $vgpr9
	s_or_saveexec_b32 s35, s35
	v_mov_b32_e32 v8, s34
	s_xor_b32 exec_lo, exec_lo, s35
	s_cbranch_execz .LBB2_4086
.LBB2_4442:                             ;   in Loop: Header=BB2_3931 Depth=3
	v_cmp_ne_u16_e32 vcc_lo, 0, v9
	v_mov_b32_e32 v8, 0
	s_and_not1_b32 s14, s14, exec_lo
	s_and_b32 vcc_lo, vcc_lo, exec_lo
	s_delay_alu instid0(SALU_CYCLE_1)
	s_or_b32 s14, s14, vcc_lo
	s_or_b32 exec_lo, exec_lo, s35
	s_and_saveexec_b32 s34, s14
	s_cbranch_execnz .LBB2_4087
	s_branch .LBB2_4088
.LBB2_4443:                             ;   in Loop: Header=BB2_3931 Depth=3
	s_mov_b32 s14, -1
	s_mov_b32 s36, exec_lo
                                        ; implicit-def: $sgpr34
	v_cmpx_eq_u16_e32 0x80, v8
; %bb.4444:                             ;   in Loop: Header=BB2_3931 Depth=3
	s_mov_b32 s34, 0x7f800001
	s_xor_b32 s14, exec_lo, -1
; %bb.4445:                             ;   in Loop: Header=BB2_3931 Depth=3
	s_or_b32 exec_lo, exec_lo, s36
	s_delay_alu instid0(SALU_CYCLE_1)
	s_and_b32 s14, s14, exec_lo
	s_or_saveexec_b32 s35, s35
	v_mov_b32_e32 v9, s34
	s_xor_b32 exec_lo, exec_lo, s35
	s_cbranch_execz .LBB2_4098
.LBB2_4446:                             ;   in Loop: Header=BB2_3931 Depth=3
	v_cmp_ne_u16_e32 vcc_lo, 0, v8
	v_mov_b32_e32 v9, 0
	s_and_not1_b32 s14, s14, exec_lo
	s_and_b32 vcc_lo, vcc_lo, exec_lo
	s_delay_alu instid0(SALU_CYCLE_1)
	s_or_b32 s14, s14, vcc_lo
	s_or_b32 exec_lo, exec_lo, s35
	s_and_saveexec_b32 s34, s14
	s_cbranch_execnz .LBB2_4099
	s_branch .LBB2_4100
.LBB2_4447:                             ;   in Loop: Header=BB2_3931 Depth=3
	s_mov_b32 s14, -1
	s_mov_b32 s36, exec_lo
                                        ; implicit-def: $sgpr34
	v_cmpx_eq_u16_e32 0x80, v10
; %bb.4448:                             ;   in Loop: Header=BB2_3931 Depth=3
	s_mov_b32 s34, 0x7f800001
	s_xor_b32 s14, exec_lo, -1
; %bb.4449:                             ;   in Loop: Header=BB2_3931 Depth=3
	s_or_b32 exec_lo, exec_lo, s36
	s_delay_alu instid0(SALU_CYCLE_1)
	s_and_b32 s14, s14, exec_lo
                                        ; implicit-def: $vgpr10
	s_or_saveexec_b32 s35, s35
	v_mov_b32_e32 v9, s34
	s_xor_b32 exec_lo, exec_lo, s35
	s_cbranch_execz .LBB2_4110
.LBB2_4450:                             ;   in Loop: Header=BB2_3931 Depth=3
	v_cmp_ne_u16_e32 vcc_lo, 0, v10
	v_mov_b32_e32 v9, 0
	s_and_not1_b32 s14, s14, exec_lo
	s_and_b32 vcc_lo, vcc_lo, exec_lo
	s_delay_alu instid0(SALU_CYCLE_1)
	s_or_b32 s14, s14, vcc_lo
	s_or_b32 exec_lo, exec_lo, s35
	s_and_saveexec_b32 s34, s14
	s_cbranch_execnz .LBB2_4111
	s_branch .LBB2_4112
.LBB2_4451:                             ;   in Loop: Header=BB2_3931 Depth=3
	s_mov_b32 s14, -1
	s_mov_b32 s36, exec_lo
                                        ; implicit-def: $sgpr34
	v_cmpx_eq_u16_e32 0x80, v8
; %bb.4452:                             ;   in Loop: Header=BB2_3931 Depth=3
	s_mov_b32 s34, 0x7f800001
	s_xor_b32 s14, exec_lo, -1
; %bb.4453:                             ;   in Loop: Header=BB2_3931 Depth=3
	s_or_b32 exec_lo, exec_lo, s36
	s_delay_alu instid0(SALU_CYCLE_1)
	s_and_b32 s14, s14, exec_lo
	s_or_saveexec_b32 s35, s35
	v_mov_b32_e32 v9, s34
	s_xor_b32 exec_lo, exec_lo, s35
	s_cbranch_execz .LBB2_4122
.LBB2_4454:                             ;   in Loop: Header=BB2_3931 Depth=3
	v_cmp_ne_u16_e32 vcc_lo, 0, v8
	v_mov_b32_e32 v9, 0
	s_and_not1_b32 s14, s14, exec_lo
	s_and_b32 vcc_lo, vcc_lo, exec_lo
	s_delay_alu instid0(SALU_CYCLE_1)
	s_or_b32 s14, s14, vcc_lo
	s_or_b32 exec_lo, exec_lo, s35
	s_and_saveexec_b32 s34, s14
	s_cbranch_execnz .LBB2_4123
	s_branch .LBB2_4124
.LBB2_4455:                             ;   in Loop: Header=BB2_3931 Depth=3
	s_mov_b32 s14, -1
	s_mov_b32 s35, exec_lo
                                        ; implicit-def: $sgpr15
	v_cmpx_eq_u16_e64 0x80, v178
; %bb.4456:                             ;   in Loop: Header=BB2_3931 Depth=3
	s_mov_b32 s15, 0x7f800001
	s_xor_b32 s14, exec_lo, -1
; %bb.4457:                             ;   in Loop: Header=BB2_3931 Depth=3
	s_or_b32 exec_lo, exec_lo, s35
	s_delay_alu instid0(SALU_CYCLE_1)
	s_and_b32 s14, s14, exec_lo
                                        ; implicit-def: $vgpr178
	s_or_saveexec_b32 s34, s34
	v_mov_b32_e32 v177, s15
	s_xor_b32 exec_lo, exec_lo, s34
	s_cbranch_execz .LBB2_4134
.LBB2_4458:                             ;   in Loop: Header=BB2_3931 Depth=3
	v_cmp_ne_u16_e64 vcc_lo, 0, v178
	v_mov_b32_e32 v177, 0
	s_and_not1_b32 s14, s14, exec_lo
	s_delay_alu instid0(VALU_DEP_2) | instskip(NEXT) | instid1(SALU_CYCLE_1)
	s_and_b32 s15, vcc_lo, exec_lo
	s_or_b32 s14, s14, s15
	s_or_b32 exec_lo, exec_lo, s34
	s_and_saveexec_b32 s15, s14
	s_cbranch_execnz .LBB2_4135
	s_branch .LBB2_4136
.LBB2_4459:                             ;   in Loop: Header=BB2_3931 Depth=3
	s_mov_b32 s14, -1
	s_mov_b32 s35, exec_lo
                                        ; implicit-def: $sgpr15
	v_cmpx_eq_u16_e64 0x80, v178
; %bb.4460:                             ;   in Loop: Header=BB2_3931 Depth=3
	s_mov_b32 s15, 0x7f800001
	s_xor_b32 s14, exec_lo, -1
; %bb.4461:                             ;   in Loop: Header=BB2_3931 Depth=3
	s_or_b32 exec_lo, exec_lo, s35
	s_delay_alu instid0(SALU_CYCLE_1)
	s_and_b32 s14, s14, exec_lo
                                        ; implicit-def: $vgpr178
	s_or_saveexec_b32 s34, s34
	v_mov_b32_e32 v145, s15
	s_xor_b32 exec_lo, exec_lo, s34
	s_cbranch_execz .LBB2_4138
.LBB2_4462:                             ;   in Loop: Header=BB2_3931 Depth=3
	v_cmp_ne_u16_e64 vcc_lo, 0, v178
	v_mov_b32_e32 v145, 0
	s_and_not1_b32 s14, s14, exec_lo
	s_delay_alu instid0(VALU_DEP_2) | instskip(NEXT) | instid1(SALU_CYCLE_1)
	s_and_b32 s15, vcc_lo, exec_lo
	s_or_b32 s14, s14, s15
	s_or_b32 exec_lo, exec_lo, s34
	s_and_saveexec_b32 s15, s14
	s_cbranch_execnz .LBB2_4139
	s_branch .LBB2_4140
.LBB2_4463:                             ;   in Loop: Header=BB2_3931 Depth=3
	s_mov_b32 s14, -1
	s_mov_b32 s35, exec_lo
                                        ; implicit-def: $sgpr15
	v_cmpx_eq_u16_e64 0x80, v178
; %bb.4464:                             ;   in Loop: Header=BB2_3931 Depth=3
	s_mov_b32 s15, 0x7f800001
	s_xor_b32 s14, exec_lo, -1
; %bb.4465:                             ;   in Loop: Header=BB2_3931 Depth=3
	s_or_b32 exec_lo, exec_lo, s35
	s_delay_alu instid0(SALU_CYCLE_1)
	s_and_b32 s14, s14, exec_lo
                                        ; implicit-def: $vgpr178
	s_or_saveexec_b32 s34, s34
	v_mov_b32_e32 v177, s15
	s_xor_b32 exec_lo, exec_lo, s34
	s_cbranch_execz .LBB2_4150
.LBB2_4466:                             ;   in Loop: Header=BB2_3931 Depth=3
	v_cmp_ne_u16_e64 vcc_lo, 0, v178
	v_mov_b32_e32 v177, 0
	s_and_not1_b32 s14, s14, exec_lo
	s_delay_alu instid0(VALU_DEP_2) | instskip(NEXT) | instid1(SALU_CYCLE_1)
	s_and_b32 s15, vcc_lo, exec_lo
	s_or_b32 s14, s14, s15
	s_or_b32 exec_lo, exec_lo, s34
	s_and_saveexec_b32 s15, s14
	s_cbranch_execnz .LBB2_4151
	s_branch .LBB2_4152
.LBB2_4467:                             ;   in Loop: Header=BB2_3931 Depth=3
	s_mov_b32 s14, -1
	s_mov_b32 s35, exec_lo
                                        ; implicit-def: $sgpr15
	v_cmpx_eq_u16_e64 0x80, v149
; %bb.4468:                             ;   in Loop: Header=BB2_3931 Depth=3
	s_mov_b32 s15, 0x7f800001
	s_xor_b32 s14, exec_lo, -1
; %bb.4469:                             ;   in Loop: Header=BB2_3931 Depth=3
	s_or_b32 exec_lo, exec_lo, s35
	s_delay_alu instid0(SALU_CYCLE_1)
	s_and_b32 s14, s14, exec_lo
	s_or_saveexec_b32 s34, s34
	v_mov_b32_e32 v178, s15
	s_xor_b32 exec_lo, exec_lo, s34
	s_cbranch_execz .LBB2_4154
.LBB2_4470:                             ;   in Loop: Header=BB2_3931 Depth=3
	v_cmp_ne_u16_e64 vcc_lo, 0, v149
	v_mov_b32_e32 v178, 0
	s_and_not1_b32 s14, s14, exec_lo
	s_delay_alu instid0(VALU_DEP_2) | instskip(NEXT) | instid1(SALU_CYCLE_1)
	s_and_b32 s15, vcc_lo, exec_lo
	s_or_b32 s14, s14, s15
	s_or_b32 exec_lo, exec_lo, s34
	s_and_saveexec_b32 s15, s14
	s_cbranch_execnz .LBB2_4155
	s_branch .LBB2_4156
.LBB2_4471:                             ;   in Loop: Header=BB2_3931 Depth=3
	s_mov_b32 s14, -1
	s_mov_b32 s35, exec_lo
                                        ; implicit-def: $sgpr15
	v_cmpx_eq_u16_e64 0x80, v178
; %bb.4472:                             ;   in Loop: Header=BB2_3931 Depth=3
	s_mov_b32 s15, 0x7f800001
	s_xor_b32 s14, exec_lo, -1
; %bb.4473:                             ;   in Loop: Header=BB2_3931 Depth=3
	s_or_b32 exec_lo, exec_lo, s35
	s_delay_alu instid0(SALU_CYCLE_1)
	s_and_b32 s14, s14, exec_lo
                                        ; implicit-def: $vgpr178
	s_or_saveexec_b32 s34, s34
	v_mov_b32_e32 v177, s15
	s_xor_b32 exec_lo, exec_lo, s34
	s_cbranch_execz .LBB2_4166
.LBB2_4474:                             ;   in Loop: Header=BB2_3931 Depth=3
	v_cmp_ne_u16_e64 vcc_lo, 0, v178
	v_mov_b32_e32 v177, 0
	s_and_not1_b32 s14, s14, exec_lo
	s_delay_alu instid0(VALU_DEP_2) | instskip(NEXT) | instid1(SALU_CYCLE_1)
	s_and_b32 s15, vcc_lo, exec_lo
	s_or_b32 s14, s14, s15
	s_or_b32 exec_lo, exec_lo, s34
	s_and_saveexec_b32 s15, s14
	s_cbranch_execnz .LBB2_4167
	s_branch .LBB2_4168
.LBB2_4475:                             ;   in Loop: Header=BB2_3931 Depth=3
	s_mov_b32 s14, -1
	s_mov_b32 s35, exec_lo
                                        ; implicit-def: $sgpr15
	v_cmpx_eq_u16_e64 0x80, v179
; %bb.4476:                             ;   in Loop: Header=BB2_3931 Depth=3
	s_mov_b32 s15, 0x7f800001
	s_xor_b32 s14, exec_lo, -1
; %bb.4477:                             ;   in Loop: Header=BB2_3931 Depth=3
	s_or_b32 exec_lo, exec_lo, s35
	s_delay_alu instid0(SALU_CYCLE_1)
	s_and_b32 s14, s14, exec_lo
                                        ; implicit-def: $vgpr179
	s_or_saveexec_b32 s34, s34
	v_mov_b32_e32 v178, s15
	s_xor_b32 exec_lo, exec_lo, s34
	s_cbranch_execz .LBB2_4170
.LBB2_4478:                             ;   in Loop: Header=BB2_3931 Depth=3
	v_cmp_ne_u16_e64 vcc_lo, 0, v179
	v_mov_b32_e32 v178, 0
	s_and_not1_b32 s14, s14, exec_lo
	s_delay_alu instid0(VALU_DEP_2) | instskip(NEXT) | instid1(SALU_CYCLE_1)
	s_and_b32 s15, vcc_lo, exec_lo
	s_or_b32 s14, s14, s15
	s_or_b32 exec_lo, exec_lo, s34
	s_and_saveexec_b32 s15, s14
	s_cbranch_execnz .LBB2_4171
	s_branch .LBB2_4172
.LBB2_4479:                             ;   in Loop: Header=BB2_3931 Depth=3
	s_mov_b32 s14, -1
	s_mov_b32 s35, exec_lo
                                        ; implicit-def: $sgpr15
	v_cmpx_eq_u16_e64 0x80, v178
; %bb.4480:                             ;   in Loop: Header=BB2_3931 Depth=3
	s_mov_b32 s15, 0x7f800001
	s_xor_b32 s14, exec_lo, -1
; %bb.4481:                             ;   in Loop: Header=BB2_3931 Depth=3
	s_or_b32 exec_lo, exec_lo, s35
	s_delay_alu instid0(SALU_CYCLE_1)
	s_and_b32 s14, s14, exec_lo
	s_or_saveexec_b32 s34, s34
	v_mov_b32_e32 v177, s15
	s_xor_b32 exec_lo, exec_lo, s34
	s_cbranch_execz .LBB2_4182
.LBB2_4482:                             ;   in Loop: Header=BB2_3931 Depth=3
	v_cmp_ne_u16_e64 vcc_lo, 0, v178
	v_mov_b32_e32 v177, 0
	s_and_not1_b32 s14, s14, exec_lo
	s_delay_alu instid0(VALU_DEP_2) | instskip(NEXT) | instid1(SALU_CYCLE_1)
	s_and_b32 s15, vcc_lo, exec_lo
	s_or_b32 s14, s14, s15
	s_or_b32 exec_lo, exec_lo, s34
	s_and_saveexec_b32 s15, s14
	s_cbranch_execnz .LBB2_4183
	s_branch .LBB2_4184
.LBB2_4483:                             ;   in Loop: Header=BB2_3931 Depth=3
	s_mov_b32 s14, -1
	s_mov_b32 s35, exec_lo
                                        ; implicit-def: $sgpr15
	v_cmpx_eq_u16_e64 0x80, v166
; %bb.4484:                             ;   in Loop: Header=BB2_3931 Depth=3
	s_mov_b32 s15, 0x7f800001
	s_xor_b32 s14, exec_lo, -1
; %bb.4485:                             ;   in Loop: Header=BB2_3931 Depth=3
	s_or_b32 exec_lo, exec_lo, s35
	s_delay_alu instid0(SALU_CYCLE_1)
	s_and_b32 s14, s14, exec_lo
	s_or_saveexec_b32 s34, s34
	v_mov_b32_e32 v178, s15
	s_xor_b32 exec_lo, exec_lo, s34
	s_cbranch_execz .LBB2_4186
.LBB2_4486:                             ;   in Loop: Header=BB2_3931 Depth=3
	v_cmp_ne_u16_e64 vcc_lo, 0, v166
	v_mov_b32_e32 v178, 0
	s_and_not1_b32 s14, s14, exec_lo
	s_delay_alu instid0(VALU_DEP_2) | instskip(NEXT) | instid1(SALU_CYCLE_1)
	s_and_b32 s15, vcc_lo, exec_lo
	s_or_b32 s14, s14, s15
	s_or_b32 exec_lo, exec_lo, s34
	s_and_saveexec_b32 s15, s14
	s_cbranch_execnz .LBB2_4187
	s_branch .LBB2_4188
.LBB2_4487:                             ;   in Loop: Header=BB2_3931 Depth=3
	s_mov_b32 s14, -1
	s_mov_b32 s35, exec_lo
                                        ; implicit-def: $sgpr15
	v_cmpx_eq_u16_e64 0x80, v166
; %bb.4488:                             ;   in Loop: Header=BB2_3931 Depth=3
	s_mov_b32 s15, 0x7f800001
	s_xor_b32 s14, exec_lo, -1
; %bb.4489:                             ;   in Loop: Header=BB2_3931 Depth=3
	s_or_b32 exec_lo, exec_lo, s35
	s_delay_alu instid0(SALU_CYCLE_1)
	s_and_b32 s14, s14, exec_lo
                                        ; implicit-def: $vgpr166
	s_or_saveexec_b32 s34, s34
	v_mov_b32_e32 v165, s15
	s_xor_b32 exec_lo, exec_lo, s34
	s_cbranch_execz .LBB2_4198
.LBB2_4490:                             ;   in Loop: Header=BB2_3931 Depth=3
	v_cmp_ne_u16_e64 vcc_lo, 0, v166
	v_mov_b32_e32 v165, 0
	s_and_not1_b32 s14, s14, exec_lo
	s_delay_alu instid0(VALU_DEP_2) | instskip(NEXT) | instid1(SALU_CYCLE_1)
	s_and_b32 s15, vcc_lo, exec_lo
	s_or_b32 s14, s14, s15
	s_or_b32 exec_lo, exec_lo, s34
	s_and_saveexec_b32 s15, s14
	s_cbranch_execnz .LBB2_4199
	s_branch .LBB2_4200
.LBB2_4491:                             ;   in Loop: Header=BB2_3931 Depth=3
	s_mov_b32 s14, -1
	s_mov_b32 s35, exec_lo
                                        ; implicit-def: $sgpr15
	v_cmpx_eq_u16_e64 0x80, v177
; %bb.4492:                             ;   in Loop: Header=BB2_3931 Depth=3
	s_mov_b32 s15, 0x7f800001
	s_xor_b32 s14, exec_lo, -1
; %bb.4493:                             ;   in Loop: Header=BB2_3931 Depth=3
	s_or_b32 exec_lo, exec_lo, s35
	s_delay_alu instid0(SALU_CYCLE_1)
	s_and_b32 s14, s14, exec_lo
                                        ; implicit-def: $vgpr177
	s_or_saveexec_b32 s34, s34
	v_mov_b32_e32 v166, s15
	s_xor_b32 exec_lo, exec_lo, s34
	s_cbranch_execz .LBB2_4202
.LBB2_4494:                             ;   in Loop: Header=BB2_3931 Depth=3
	v_cmp_ne_u16_e64 vcc_lo, 0, v177
	v_mov_b32_e32 v166, 0
	s_and_not1_b32 s14, s14, exec_lo
	s_delay_alu instid0(VALU_DEP_2) | instskip(NEXT) | instid1(SALU_CYCLE_1)
	s_and_b32 s15, vcc_lo, exec_lo
	s_or_b32 s14, s14, s15
	s_or_b32 exec_lo, exec_lo, s34
	s_and_saveexec_b32 s15, s14
	s_cbranch_execnz .LBB2_4203
	s_branch .LBB2_4204
.LBB2_4495:                             ;   in Loop: Header=BB2_3931 Depth=3
	s_mov_b32 s14, -1
	s_mov_b32 s35, exec_lo
                                        ; implicit-def: $sgpr15
	v_cmpx_eq_u16_e64 0x80, v177
; %bb.4496:                             ;   in Loop: Header=BB2_3931 Depth=3
	s_mov_b32 s15, 0x7f800001
	s_xor_b32 s14, exec_lo, -1
; %bb.4497:                             ;   in Loop: Header=BB2_3931 Depth=3
	s_or_b32 exec_lo, exec_lo, s35
	s_delay_alu instid0(SALU_CYCLE_1)
	s_and_b32 s14, s14, exec_lo
	s_or_saveexec_b32 s34, s34
	v_mov_b32_e32 v166, s15
	s_xor_b32 exec_lo, exec_lo, s34
	s_cbranch_execz .LBB2_4214
.LBB2_4498:                             ;   in Loop: Header=BB2_3931 Depth=3
	v_cmp_ne_u16_e64 vcc_lo, 0, v177
	v_mov_b32_e32 v166, 0
	s_and_not1_b32 s14, s14, exec_lo
	s_delay_alu instid0(VALU_DEP_2) | instskip(NEXT) | instid1(SALU_CYCLE_1)
	s_and_b32 s15, vcc_lo, exec_lo
	s_or_b32 s14, s14, s15
	s_or_b32 exec_lo, exec_lo, s34
	s_and_saveexec_b32 s15, s14
	s_cbranch_execnz .LBB2_4215
	s_branch .LBB2_4216
.LBB2_4499:                             ;   in Loop: Header=BB2_3931 Depth=3
	s_mov_b32 s14, -1
	s_mov_b32 s35, exec_lo
                                        ; implicit-def: $sgpr15
	v_cmpx_eq_u16_e64 0x80, v177
; %bb.4500:                             ;   in Loop: Header=BB2_3931 Depth=3
	s_mov_b32 s15, 0x7f800001
	s_xor_b32 s14, exec_lo, -1
; %bb.4501:                             ;   in Loop: Header=BB2_3931 Depth=3
	s_or_b32 exec_lo, exec_lo, s35
	s_delay_alu instid0(SALU_CYCLE_1)
	s_and_b32 s14, s14, exec_lo
	s_or_saveexec_b32 s34, s34
	v_mov_b32_e32 v178, s15
	s_xor_b32 exec_lo, exec_lo, s34
	s_cbranch_execz .LBB2_4218
.LBB2_4502:                             ;   in Loop: Header=BB2_3931 Depth=3
	v_cmp_ne_u16_e64 vcc_lo, 0, v177
	v_mov_b32_e32 v178, 0
	s_and_not1_b32 s14, s14, exec_lo
	s_delay_alu instid0(VALU_DEP_2) | instskip(NEXT) | instid1(SALU_CYCLE_1)
	s_and_b32 s15, vcc_lo, exec_lo
	s_or_b32 s14, s14, s15
	s_or_b32 exec_lo, exec_lo, s34
	s_and_saveexec_b32 s15, s14
	s_cbranch_execnz .LBB2_4219
	s_branch .LBB2_4220
.LBB2_4503:                             ;   in Loop: Header=BB2_3931 Depth=3
	s_mov_b32 s14, -1
	s_mov_b32 s35, exec_lo
                                        ; implicit-def: $sgpr15
	v_cmpx_eq_u16_e64 0x80, v177
; %bb.4504:                             ;   in Loop: Header=BB2_3931 Depth=3
	s_mov_b32 s15, 0x7f800001
	s_xor_b32 s14, exec_lo, -1
; %bb.4505:                             ;   in Loop: Header=BB2_3931 Depth=3
	s_or_b32 exec_lo, exec_lo, s35
	s_delay_alu instid0(SALU_CYCLE_1)
	s_and_b32 s14, s14, exec_lo
                                        ; implicit-def: $vgpr177
	s_or_saveexec_b32 s34, s34
	v_mov_b32_e32 v164, s15
	s_xor_b32 exec_lo, exec_lo, s34
	s_cbranch_execz .LBB2_4230
.LBB2_4506:                             ;   in Loop: Header=BB2_3931 Depth=3
	v_cmp_ne_u16_e64 vcc_lo, 0, v177
	v_mov_b32_e32 v164, 0
	s_and_not1_b32 s14, s14, exec_lo
	s_delay_alu instid0(VALU_DEP_2) | instskip(NEXT) | instid1(SALU_CYCLE_1)
	s_and_b32 s15, vcc_lo, exec_lo
	s_or_b32 s14, s14, s15
	s_or_b32 exec_lo, exec_lo, s34
	v_lshl_or_b32 v167, v167, 16, v176
	s_and_saveexec_b32 s15, s14
	s_cbranch_execnz .LBB2_4231
	s_branch .LBB2_4232
.LBB2_4507:                             ;   in Loop: Header=BB2_3931 Depth=3
	s_mov_b32 s14, -1
	s_mov_b32 s35, exec_lo
                                        ; implicit-def: $sgpr15
	v_cmpx_eq_u16_e64 0x80, v178
; %bb.4508:                             ;   in Loop: Header=BB2_3931 Depth=3
	s_mov_b32 s15, 0x7f800001
	s_xor_b32 s14, exec_lo, -1
; %bb.4509:                             ;   in Loop: Header=BB2_3931 Depth=3
	s_or_b32 exec_lo, exec_lo, s35
	s_delay_alu instid0(SALU_CYCLE_1)
	s_and_b32 s14, s14, exec_lo
                                        ; implicit-def: $vgpr178
	s_or_saveexec_b32 s34, s34
	v_mov_b32_e32 v177, s15
	s_xor_b32 exec_lo, exec_lo, s34
	s_cbranch_execz .LBB2_4234
.LBB2_4510:                             ;   in Loop: Header=BB2_3931 Depth=3
	v_cmp_ne_u16_e64 vcc_lo, 0, v178
	v_mov_b32_e32 v177, 0
	s_and_not1_b32 s14, s14, exec_lo
	s_delay_alu instid0(VALU_DEP_2) | instskip(NEXT) | instid1(SALU_CYCLE_1)
	s_and_b32 s15, vcc_lo, exec_lo
	s_or_b32 s14, s14, s15
	s_or_b32 exec_lo, exec_lo, s34
	s_and_saveexec_b32 s15, s14
	s_cbranch_execnz .LBB2_4235
	s_branch .LBB2_4236
.LBB2_4511:                             ;   in Loop: Header=BB2_3931 Depth=3
	s_mov_b32 s14, -1
	s_mov_b32 s35, exec_lo
                                        ; implicit-def: $sgpr15
	v_cmpx_eq_u16_e64 0x80, v177
; %bb.4512:                             ;   in Loop: Header=BB2_3931 Depth=3
	s_mov_b32 s15, 0x7f800001
	s_xor_b32 s14, exec_lo, -1
; %bb.4513:                             ;   in Loop: Header=BB2_3931 Depth=3
	s_or_b32 exec_lo, exec_lo, s35
	s_delay_alu instid0(SALU_CYCLE_1)
	s_and_b32 s14, s14, exec_lo
	s_or_saveexec_b32 s34, s34
	v_mov_b32_e32 v176, s15
	s_xor_b32 exec_lo, exec_lo, s34
	s_cbranch_execz .LBB2_4246
.LBB2_4514:                             ;   in Loop: Header=BB2_3931 Depth=3
	v_cmp_ne_u16_e64 vcc_lo, 0, v177
	v_mov_b32_e32 v176, 0
	s_and_not1_b32 s14, s14, exec_lo
	s_delay_alu instid0(VALU_DEP_2) | instskip(NEXT) | instid1(SALU_CYCLE_1)
	s_and_b32 s15, vcc_lo, exec_lo
	s_or_b32 s14, s14, s15
	s_or_b32 exec_lo, exec_lo, s34
	s_and_saveexec_b32 s15, s14
	s_cbranch_execnz .LBB2_4247
	s_branch .LBB2_4248
.LBB2_4515:                             ;   in Loop: Header=BB2_3931 Depth=3
	s_mov_b32 s14, -1
	s_mov_b32 s35, exec_lo
                                        ; implicit-def: $sgpr15
	v_cmpx_eq_u16_e64 0x80, v167
; %bb.4516:                             ;   in Loop: Header=BB2_3931 Depth=3
	s_mov_b32 s15, 0x7f800001
	s_xor_b32 s14, exec_lo, -1
; %bb.4517:                             ;   in Loop: Header=BB2_3931 Depth=3
	s_or_b32 exec_lo, exec_lo, s35
	s_delay_alu instid0(SALU_CYCLE_1)
	s_and_b32 s14, s14, exec_lo
	s_or_saveexec_b32 s34, s34
	v_mov_b32_e32 v177, s15
	s_xor_b32 exec_lo, exec_lo, s34
	s_cbranch_execz .LBB2_4250
.LBB2_4518:                             ;   in Loop: Header=BB2_3931 Depth=3
	v_cmp_ne_u16_e64 vcc_lo, 0, v167
	v_mov_b32_e32 v177, 0
	s_and_not1_b32 s14, s14, exec_lo
	s_delay_alu instid0(VALU_DEP_2) | instskip(NEXT) | instid1(SALU_CYCLE_1)
	s_and_b32 s15, vcc_lo, exec_lo
	s_or_b32 s14, s14, s15
	s_or_b32 exec_lo, exec_lo, s34
	s_and_saveexec_b32 s15, s14
	s_cbranch_execnz .LBB2_4251
	s_branch .LBB2_4252
.LBB2_4519:                             ;   in Loop: Header=BB2_3931 Depth=3
	s_mov_b32 s14, -1
	s_mov_b32 s35, exec_lo
                                        ; implicit-def: $sgpr15
	v_cmpx_eq_u16_e64 0x80, v176
; %bb.4520:                             ;   in Loop: Header=BB2_3931 Depth=3
	s_mov_b32 s15, 0x7f800001
	s_xor_b32 s14, exec_lo, -1
; %bb.4521:                             ;   in Loop: Header=BB2_3931 Depth=3
	s_or_b32 exec_lo, exec_lo, s35
	s_delay_alu instid0(SALU_CYCLE_1)
	s_and_b32 s14, s14, exec_lo
                                        ; implicit-def: $vgpr176
	s_or_saveexec_b32 s34, s34
	v_mov_b32_e32 v167, s15
	s_xor_b32 exec_lo, exec_lo, s34
	s_cbranch_execz .LBB2_4262
.LBB2_4522:                             ;   in Loop: Header=BB2_3931 Depth=3
	v_cmp_ne_u16_e64 vcc_lo, 0, v176
	v_mov_b32_e32 v167, 0
	s_and_not1_b32 s14, s14, exec_lo
	s_delay_alu instid0(VALU_DEP_2) | instskip(NEXT) | instid1(SALU_CYCLE_1)
	s_and_b32 s15, vcc_lo, exec_lo
	s_or_b32 s14, s14, s15
	s_or_b32 exec_lo, exec_lo, s34
	s_and_saveexec_b32 s15, s14
	s_cbranch_execnz .LBB2_4263
	s_branch .LBB2_4264
.LBB2_4523:                             ;   in Loop: Header=BB2_3931 Depth=3
	s_mov_b32 s14, -1
	s_mov_b32 s35, exec_lo
                                        ; implicit-def: $sgpr15
	v_cmpx_eq_u16_e64 0x80, v176
; %bb.4524:                             ;   in Loop: Header=BB2_3931 Depth=3
	s_mov_b32 s15, 0x7f800001
	s_xor_b32 s14, exec_lo, -1
; %bb.4525:                             ;   in Loop: Header=BB2_3931 Depth=3
	s_or_b32 exec_lo, exec_lo, s35
	s_delay_alu instid0(SALU_CYCLE_1)
	s_and_b32 s14, s14, exec_lo
                                        ; implicit-def: $vgpr176
	s_or_saveexec_b32 s34, s34
	v_mov_b32_e32 v162, s15
	s_xor_b32 exec_lo, exec_lo, s34
	s_cbranch_execz .LBB2_4266
.LBB2_4526:                             ;   in Loop: Header=BB2_3931 Depth=3
	v_cmp_ne_u16_e64 vcc_lo, 0, v176
	v_mov_b32_e32 v162, 0
	s_and_not1_b32 s14, s14, exec_lo
	s_delay_alu instid0(VALU_DEP_2) | instskip(NEXT) | instid1(SALU_CYCLE_1)
	s_and_b32 s15, vcc_lo, exec_lo
	s_or_b32 s14, s14, s15
	s_or_b32 exec_lo, exec_lo, s34
	s_and_saveexec_b32 s15, s14
	s_cbranch_execnz .LBB2_4267
	s_branch .LBB2_4268
.LBB2_4527:                             ;   in Loop: Header=BB2_3931 Depth=3
	s_mov_b32 s14, -1
	s_mov_b32 s35, exec_lo
                                        ; implicit-def: $sgpr15
	v_cmpx_eq_u16_e64 0x80, v176
; %bb.4528:                             ;   in Loop: Header=BB2_3931 Depth=3
	s_mov_b32 s15, 0x7f800001
	s_xor_b32 s14, exec_lo, -1
; %bb.4529:                             ;   in Loop: Header=BB2_3931 Depth=3
	s_or_b32 exec_lo, exec_lo, s35
	s_delay_alu instid0(SALU_CYCLE_1)
	s_and_b32 s14, s14, exec_lo
                                        ; implicit-def: $vgpr176
	s_or_saveexec_b32 s34, s34
	v_mov_b32_e32 v167, s15
	s_xor_b32 exec_lo, exec_lo, s34
	s_cbranch_execz .LBB2_4278
.LBB2_4530:                             ;   in Loop: Header=BB2_3931 Depth=3
	v_cmp_ne_u16_e64 vcc_lo, 0, v176
	v_mov_b32_e32 v167, 0
	s_and_not1_b32 s14, s14, exec_lo
	s_delay_alu instid0(VALU_DEP_2) | instskip(NEXT) | instid1(SALU_CYCLE_1)
	s_and_b32 s15, vcc_lo, exec_lo
	s_or_b32 s14, s14, s15
	s_or_b32 exec_lo, exec_lo, s34
	s_and_saveexec_b32 s15, s14
	s_cbranch_execnz .LBB2_4279
	s_branch .LBB2_4280
.LBB2_4531:                             ;   in Loop: Header=BB2_3931 Depth=3
	s_mov_b32 s14, -1
	s_mov_b32 s35, exec_lo
                                        ; implicit-def: $sgpr15
	v_cmpx_eq_u16_e64 0x80, v160
; %bb.4532:                             ;   in Loop: Header=BB2_3931 Depth=3
	s_mov_b32 s15, 0x7f800001
	s_xor_b32 s14, exec_lo, -1
; %bb.4533:                             ;   in Loop: Header=BB2_3931 Depth=3
	s_or_b32 exec_lo, exec_lo, s35
	s_delay_alu instid0(SALU_CYCLE_1)
	s_and_b32 s14, s14, exec_lo
	s_or_saveexec_b32 s34, s34
	v_mov_b32_e32 v176, s15
	s_xor_b32 exec_lo, exec_lo, s34
	s_cbranch_execz .LBB2_4282
.LBB2_4534:                             ;   in Loop: Header=BB2_3931 Depth=3
	v_cmp_ne_u16_e64 vcc_lo, 0, v160
	v_mov_b32_e32 v176, 0
	s_and_not1_b32 s14, s14, exec_lo
	s_delay_alu instid0(VALU_DEP_2) | instskip(NEXT) | instid1(SALU_CYCLE_1)
	s_and_b32 s15, vcc_lo, exec_lo
	s_or_b32 s14, s14, s15
	s_or_b32 exec_lo, exec_lo, s34
	s_and_saveexec_b32 s15, s14
	s_cbranch_execnz .LBB2_4283
	s_branch .LBB2_4284
.LBB2_4535:                             ;   in Loop: Header=BB2_3931 Depth=3
	s_mov_b32 s14, -1
	s_mov_b32 s35, exec_lo
                                        ; implicit-def: $sgpr15
	v_cmpx_eq_u16_e64 0x80, v176
; %bb.4536:                             ;   in Loop: Header=BB2_3931 Depth=3
	s_mov_b32 s15, 0x7f800001
	s_xor_b32 s14, exec_lo, -1
; %bb.4537:                             ;   in Loop: Header=BB2_3931 Depth=3
	s_or_b32 exec_lo, exec_lo, s35
	s_delay_alu instid0(SALU_CYCLE_1)
	s_and_b32 s14, s14, exec_lo
                                        ; implicit-def: $vgpr176
	s_or_saveexec_b32 s34, s34
	v_mov_b32_e32 v167, s15
	s_xor_b32 exec_lo, exec_lo, s34
	s_cbranch_execz .LBB2_4294
.LBB2_4538:                             ;   in Loop: Header=BB2_3931 Depth=3
	v_cmp_ne_u16_e64 vcc_lo, 0, v176
	v_mov_b32_e32 v167, 0
	s_and_not1_b32 s14, s14, exec_lo
	s_delay_alu instid0(VALU_DEP_2) | instskip(NEXT) | instid1(SALU_CYCLE_1)
	s_and_b32 s15, vcc_lo, exec_lo
	s_or_b32 s14, s14, s15
	s_or_b32 exec_lo, exec_lo, s34
	s_and_saveexec_b32 s15, s14
	s_cbranch_execnz .LBB2_4295
	s_branch .LBB2_4296
.LBB2_4539:                             ;   in Loop: Header=BB2_3931 Depth=3
	s_mov_b32 s14, -1
	s_mov_b32 s35, exec_lo
                                        ; implicit-def: $sgpr15
	v_cmpx_eq_u16_e64 0x80, v177
; %bb.4540:                             ;   in Loop: Header=BB2_3931 Depth=3
	s_mov_b32 s15, 0x7f800001
	s_xor_b32 s14, exec_lo, -1
; %bb.4541:                             ;   in Loop: Header=BB2_3931 Depth=3
	s_or_b32 exec_lo, exec_lo, s35
	s_delay_alu instid0(SALU_CYCLE_1)
	s_and_b32 s14, s14, exec_lo
                                        ; implicit-def: $vgpr177
	s_or_saveexec_b32 s34, s34
	v_mov_b32_e32 v176, s15
	s_xor_b32 exec_lo, exec_lo, s34
	s_cbranch_execz .LBB2_4298
.LBB2_4542:                             ;   in Loop: Header=BB2_3931 Depth=3
	v_cmp_ne_u16_e64 vcc_lo, 0, v177
	v_mov_b32_e32 v176, 0
	s_and_not1_b32 s14, s14, exec_lo
	s_delay_alu instid0(VALU_DEP_2) | instskip(NEXT) | instid1(SALU_CYCLE_1)
	s_and_b32 s15, vcc_lo, exec_lo
	s_or_b32 s14, s14, s15
	s_or_b32 exec_lo, exec_lo, s34
	s_and_saveexec_b32 s15, s14
	s_cbranch_execnz .LBB2_4299
	s_branch .LBB2_4300
.LBB2_4543:                             ;   in Loop: Header=BB2_3931 Depth=3
	s_mov_b32 s14, -1
	s_mov_b32 s35, exec_lo
                                        ; implicit-def: $sgpr15
	v_cmpx_eq_u16_e64 0x80, v176
; %bb.4544:                             ;   in Loop: Header=BB2_3931 Depth=3
	s_mov_b32 s15, 0x7f800001
	s_xor_b32 s14, exec_lo, -1
; %bb.4545:                             ;   in Loop: Header=BB2_3931 Depth=3
	s_or_b32 exec_lo, exec_lo, s35
	s_delay_alu instid0(SALU_CYCLE_1)
	s_and_b32 s14, s14, exec_lo
	s_or_saveexec_b32 s34, s34
	v_mov_b32_e32 v167, s15
	s_xor_b32 exec_lo, exec_lo, s34
	s_cbranch_execz .LBB2_4310
.LBB2_4546:                             ;   in Loop: Header=BB2_3931 Depth=3
	v_cmp_ne_u16_e64 vcc_lo, 0, v176
	v_mov_b32_e32 v167, 0
	s_and_not1_b32 s14, s14, exec_lo
	s_delay_alu instid0(VALU_DEP_2) | instskip(NEXT) | instid1(SALU_CYCLE_1)
	s_and_b32 s15, vcc_lo, exec_lo
	s_or_b32 s14, s14, s15
	s_or_b32 exec_lo, exec_lo, s34
	s_and_saveexec_b32 s15, s14
	s_cbranch_execnz .LBB2_4311
	s_branch .LBB2_4312
.LBB2_4547:                             ;   in Loop: Header=BB2_3931 Depth=3
	s_mov_b32 s14, -1
	s_mov_b32 s35, exec_lo
                                        ; implicit-def: $sgpr15
	v_cmpx_eq_u16_e64 0x80, v148
; %bb.4548:                             ;   in Loop: Header=BB2_3931 Depth=3
	s_mov_b32 s15, 0x7f800001
	s_xor_b32 s14, exec_lo, -1
; %bb.4549:                             ;   in Loop: Header=BB2_3931 Depth=3
	s_or_b32 exec_lo, exec_lo, s35
	s_delay_alu instid0(SALU_CYCLE_1)
	s_and_b32 s14, s14, exec_lo
	s_or_saveexec_b32 s34, s34
	v_mov_b32_e32 v176, s15
	s_xor_b32 exec_lo, exec_lo, s34
	s_cbranch_execz .LBB2_4314
.LBB2_4550:                             ;   in Loop: Header=BB2_3931 Depth=3
	v_cmp_ne_u16_e64 vcc_lo, 0, v148
	v_mov_b32_e32 v176, 0
	s_and_not1_b32 s14, s14, exec_lo
	s_delay_alu instid0(VALU_DEP_2) | instskip(NEXT) | instid1(SALU_CYCLE_1)
	s_and_b32 s15, vcc_lo, exec_lo
	s_or_b32 s14, s14, s15
	s_or_b32 exec_lo, exec_lo, s34
	s_and_saveexec_b32 s15, s14
	s_cbranch_execnz .LBB2_4315
	s_branch .LBB2_4316
.LBB2_4551:                             ;   in Loop: Header=BB2_3931 Depth=3
	s_mov_b32 s14, -1
	s_mov_b32 s35, exec_lo
                                        ; implicit-def: $sgpr15
	v_cmpx_eq_u16_e64 0x80, v161
; %bb.4552:                             ;   in Loop: Header=BB2_3931 Depth=3
	s_mov_b32 s15, 0x7f800001
	s_xor_b32 s14, exec_lo, -1
; %bb.4553:                             ;   in Loop: Header=BB2_3931 Depth=3
	s_or_b32 exec_lo, exec_lo, s35
	s_delay_alu instid0(SALU_CYCLE_1)
	s_and_b32 s14, s14, exec_lo
                                        ; implicit-def: $vgpr161
	s_or_saveexec_b32 s34, s34
	v_mov_b32_e32 v147, s15
	s_xor_b32 exec_lo, exec_lo, s34
	s_cbranch_execz .LBB2_4326
.LBB2_4554:                             ;   in Loop: Header=BB2_3931 Depth=3
	v_cmp_ne_u16_e64 vcc_lo, 0, v161
	v_mov_b32_e32 v147, 0
	s_and_not1_b32 s14, s14, exec_lo
	s_delay_alu instid0(VALU_DEP_2) | instskip(NEXT) | instid1(SALU_CYCLE_1)
	s_and_b32 s15, vcc_lo, exec_lo
	s_or_b32 s14, s14, s15
	s_or_b32 exec_lo, exec_lo, s34
	s_and_saveexec_b32 s15, s14
	s_cbranch_execnz .LBB2_4327
	s_branch .LBB2_4328
.LBB2_4555:                             ;   in Loop: Header=BB2_3931 Depth=3
	s_mov_b32 s14, -1
	s_mov_b32 s35, exec_lo
                                        ; implicit-def: $sgpr15
	v_cmpx_eq_u16_e64 0x80, v167
; %bb.4556:                             ;   in Loop: Header=BB2_3931 Depth=3
	s_mov_b32 s15, 0x7f800001
	s_xor_b32 s14, exec_lo, -1
; %bb.4557:                             ;   in Loop: Header=BB2_3931 Depth=3
	s_or_b32 exec_lo, exec_lo, s35
	s_delay_alu instid0(SALU_CYCLE_1)
	s_and_b32 s14, s14, exec_lo
                                        ; implicit-def: $vgpr167
	s_or_saveexec_b32 s34, s34
	v_mov_b32_e32 v161, s15
	s_xor_b32 exec_lo, exec_lo, s34
	s_cbranch_execz .LBB2_4330
.LBB2_4558:                             ;   in Loop: Header=BB2_3931 Depth=3
	v_cmp_ne_u16_e64 vcc_lo, 0, v167
	v_mov_b32_e32 v161, 0
	s_and_not1_b32 s14, s14, exec_lo
	s_delay_alu instid0(VALU_DEP_2) | instskip(NEXT) | instid1(SALU_CYCLE_1)
	s_and_b32 s15, vcc_lo, exec_lo
	s_or_b32 s14, s14, s15
	s_or_b32 exec_lo, exec_lo, s34
	s_and_saveexec_b32 s15, s14
	s_cbranch_execnz .LBB2_4331
	s_branch .LBB2_4332
.LBB2_4559:                             ;   in Loop: Header=BB2_3931 Depth=3
	s_mov_b32 s14, -1
	s_mov_b32 s35, exec_lo
                                        ; implicit-def: $sgpr15
	v_cmpx_eq_u16_e64 0x80, v167
; %bb.4560:                             ;   in Loop: Header=BB2_3931 Depth=3
	s_mov_b32 s15, 0x7f800001
	s_xor_b32 s14, exec_lo, -1
; %bb.4561:                             ;   in Loop: Header=BB2_3931 Depth=3
	s_or_b32 exec_lo, exec_lo, s35
	s_delay_alu instid0(SALU_CYCLE_1)
	s_and_b32 s14, s14, exec_lo
	s_or_saveexec_b32 s34, s34
	v_mov_b32_e32 v161, s15
	s_xor_b32 exec_lo, exec_lo, s34
	s_cbranch_execz .LBB2_4342
.LBB2_4562:                             ;   in Loop: Header=BB2_3931 Depth=3
	v_cmp_ne_u16_e64 vcc_lo, 0, v167
	v_mov_b32_e32 v161, 0
	s_and_not1_b32 s14, s14, exec_lo
	s_delay_alu instid0(VALU_DEP_2) | instskip(NEXT) | instid1(SALU_CYCLE_1)
	s_and_b32 s15, vcc_lo, exec_lo
	s_or_b32 s14, s14, s15
	s_or_b32 exec_lo, exec_lo, s34
	s_and_saveexec_b32 s15, s14
	s_cbranch_execnz .LBB2_4343
	s_branch .LBB2_4344
.LBB2_4563:                             ;   in Loop: Header=BB2_3931 Depth=3
	s_mov_b32 s14, -1
	s_mov_b32 s35, exec_lo
                                        ; implicit-def: $sgpr15
	v_cmpx_eq_u16_e64 0x80, v167
; %bb.4564:                             ;   in Loop: Header=BB2_3931 Depth=3
	s_mov_b32 s15, 0x7f800001
	s_xor_b32 s14, exec_lo, -1
; %bb.4565:                             ;   in Loop: Header=BB2_3931 Depth=3
	s_or_b32 exec_lo, exec_lo, s35
	s_delay_alu instid0(SALU_CYCLE_1)
	s_and_b32 s14, s14, exec_lo
	s_or_saveexec_b32 s34, s34
	v_mov_b32_e32 v176, s15
	s_xor_b32 exec_lo, exec_lo, s34
	s_cbranch_execz .LBB2_4346
.LBB2_4566:                             ;   in Loop: Header=BB2_3931 Depth=3
	v_cmp_ne_u16_e64 vcc_lo, 0, v167
	v_mov_b32_e32 v176, 0
	s_and_not1_b32 s14, s14, exec_lo
	s_delay_alu instid0(VALU_DEP_2) | instskip(NEXT) | instid1(SALU_CYCLE_1)
	s_and_b32 s15, vcc_lo, exec_lo
	s_or_b32 s14, s14, s15
	s_or_b32 exec_lo, exec_lo, s34
	s_and_saveexec_b32 s15, s14
	s_cbranch_execnz .LBB2_4347
	s_branch .LBB2_4348
.LBB2_4567:                             ;   in Loop: Header=BB2_3931 Depth=3
	s_mov_b32 s14, -1
	s_mov_b32 s35, exec_lo
                                        ; implicit-def: $sgpr15
	v_cmpx_eq_u16_e64 0x80, v167
; %bb.4568:                             ;   in Loop: Header=BB2_3931 Depth=3
	s_mov_b32 s15, 0x7f800001
	s_xor_b32 s14, exec_lo, -1
; %bb.4569:                             ;   in Loop: Header=BB2_3931 Depth=3
	s_or_b32 exec_lo, exec_lo, s35
	s_delay_alu instid0(SALU_CYCLE_1)
	s_and_b32 s14, s14, exec_lo
                                        ; implicit-def: $vgpr167
	s_or_saveexec_b32 s34, s34
	v_mov_b32_e32 v146, s15
	s_xor_b32 exec_lo, exec_lo, s34
	s_cbranch_execz .LBB2_4358
.LBB2_4570:                             ;   in Loop: Header=BB2_3931 Depth=3
	v_cmp_ne_u16_e64 vcc_lo, 0, v167
	v_mov_b32_e32 v146, 0
	s_and_not1_b32 s14, s14, exec_lo
	s_delay_alu instid0(VALU_DEP_2) | instskip(NEXT) | instid1(SALU_CYCLE_1)
	s_and_b32 s15, vcc_lo, exec_lo
	s_or_b32 s14, s14, s15
	s_or_b32 exec_lo, exec_lo, s34
	v_lshl_or_b32 v148, v150, 16, v148
	s_and_saveexec_b32 s15, s14
	s_cbranch_execnz .LBB2_4359
	s_branch .LBB2_4360
.LBB2_4571:                             ;   in Loop: Header=BB2_3931 Depth=3
	s_mov_b32 s14, -1
	s_mov_b32 s35, exec_lo
                                        ; implicit-def: $sgpr15
	v_cmpx_eq_u16_e64 0x80, v176
; %bb.4572:                             ;   in Loop: Header=BB2_3931 Depth=3
	s_mov_b32 s15, 0x7f800001
	s_xor_b32 s14, exec_lo, -1
; %bb.4573:                             ;   in Loop: Header=BB2_3931 Depth=3
	s_or_b32 exec_lo, exec_lo, s35
	s_delay_alu instid0(SALU_CYCLE_1)
	s_and_b32 s14, s14, exec_lo
                                        ; implicit-def: $vgpr176
	s_or_saveexec_b32 s34, s34
	v_mov_b32_e32 v167, s15
	s_xor_b32 exec_lo, exec_lo, s34
	s_cbranch_execz .LBB2_4362
.LBB2_4574:                             ;   in Loop: Header=BB2_3931 Depth=3
	v_cmp_ne_u16_e64 vcc_lo, 0, v176
	v_mov_b32_e32 v167, 0
	s_and_not1_b32 s14, s14, exec_lo
	s_delay_alu instid0(VALU_DEP_2) | instskip(NEXT) | instid1(SALU_CYCLE_1)
	s_and_b32 s15, vcc_lo, exec_lo
	s_or_b32 s14, s14, s15
	s_or_b32 exec_lo, exec_lo, s34
	s_and_saveexec_b32 s15, s14
	s_cbranch_execnz .LBB2_4363
	s_branch .LBB2_4364
.LBB2_4575:                             ;   in Loop: Header=BB2_3931 Depth=3
	s_mov_b32 s14, -1
	s_mov_b32 s35, exec_lo
                                        ; implicit-def: $sgpr15
	v_cmpx_eq_u16_e64 0x80, v167
; %bb.4576:                             ;   in Loop: Header=BB2_3931 Depth=3
	s_mov_b32 s15, 0x7f800001
	s_xor_b32 s14, exec_lo, -1
; %bb.4577:                             ;   in Loop: Header=BB2_3931 Depth=3
	s_or_b32 exec_lo, exec_lo, s35
	s_delay_alu instid0(SALU_CYCLE_1)
	s_and_b32 s14, s14, exec_lo
	s_or_saveexec_b32 s34, s34
	v_mov_b32_e32 v150, s15
	s_xor_b32 exec_lo, exec_lo, s34
	s_cbranch_execz .LBB2_4374
.LBB2_4578:                             ;   in Loop: Header=BB2_3931 Depth=3
	v_cmp_ne_u16_e64 vcc_lo, 0, v167
	v_mov_b32_e32 v150, 0
	s_and_not1_b32 s14, s14, exec_lo
	s_delay_alu instid0(VALU_DEP_2) | instskip(NEXT) | instid1(SALU_CYCLE_1)
	s_and_b32 s15, vcc_lo, exec_lo
	s_or_b32 s14, s14, s15
	s_or_b32 exec_lo, exec_lo, s34
	s_and_saveexec_b32 s15, s14
	s_cbranch_execnz .LBB2_4375
	s_branch .LBB2_4376
.LBB2_4579:                             ;   in Loop: Header=BB2_3931 Depth=3
	s_mov_b32 s14, -1
	s_mov_b32 s35, exec_lo
                                        ; implicit-def: $sgpr15
	v_cmpx_eq_u16_e64 0x80, v148
; %bb.4580:                             ;   in Loop: Header=BB2_3931 Depth=3
	s_mov_b32 s15, 0x7f800001
	s_xor_b32 s14, exec_lo, -1
; %bb.4581:                             ;   in Loop: Header=BB2_3931 Depth=3
	s_or_b32 exec_lo, exec_lo, s35
	s_delay_alu instid0(SALU_CYCLE_1)
	s_and_b32 s14, s14, exec_lo
	s_or_saveexec_b32 s34, s34
	v_mov_b32_e32 v167, s15
	s_xor_b32 exec_lo, exec_lo, s34
	s_cbranch_execz .LBB2_4378
.LBB2_4582:                             ;   in Loop: Header=BB2_3931 Depth=3
	v_cmp_ne_u16_e64 vcc_lo, 0, v148
	v_mov_b32_e32 v167, 0
	s_and_not1_b32 s14, s14, exec_lo
	s_delay_alu instid0(VALU_DEP_2) | instskip(NEXT) | instid1(SALU_CYCLE_1)
	s_and_b32 s15, vcc_lo, exec_lo
	s_or_b32 s14, s14, s15
	s_or_b32 exec_lo, exec_lo, s34
	s_and_saveexec_b32 s15, s14
	s_cbranch_execnz .LBB2_4379
	s_branch .LBB2_4380
.LBB2_4583:                             ;   in Loop: Header=BB2_3186 Depth=2
	s_or_b32 exec_lo, exec_lo, s30
.LBB2_4584:                             ;   in Loop: Header=BB2_3186 Depth=2
	s_delay_alu instid0(SALU_CYCLE_1) | instskip(SKIP_3) | instid1(VALU_DEP_1)
	s_or_b32 exec_lo, exec_lo, s17
	v_dual_mov_b32 v66, 0 :: v_dual_and_b32 v9, 15, v130
	s_mov_b32 s14, 0
	s_mov_b32 s15, exec_lo
                                        ; implicit-def: $vgpr135
                                        ; implicit-def: $vgpr8
	v_cndmask_b32_e64 v67, v131, v9, s13
	s_delay_alu instid0(VALU_DEP_1)
	v_cmpx_ne_u32_e32 0, v67
	s_cbranch_execz .LBB2_4586
; %bb.4585:                             ;   in Loop: Header=BB2_3186 Depth=2
	v_cmp_lt_i32_e32 vcc_lo, 0, v134
	v_sub_nc_u32_e32 v9, v131, v9
	s_mov_b32 s14, exec_lo
	v_cndmask_b32_e32 v8, 0, v71, vcc_lo
	s_delay_alu instid0(VALU_DEP_2) | instskip(NEXT) | instid1(VALU_DEP_2)
	v_cndmask_b32_e64 v9, 0, v9, s13
	v_sub_nc_u32_e32 v8, v8, v134
	s_delay_alu instid0(VALU_DEP_2) | instskip(NEXT) | instid1(VALU_DEP_2)
	v_add3_u32 v66, v132, v2, v9
	v_lshl_add_u32 v135, v8, 5, v133
	s_delay_alu instid0(VALU_DEP_1) | instskip(NEXT) | instid1(VALU_DEP_1)
	v_ashrrev_i32_e32 v8, 31, v135
	v_lshrrev_b32_e32 v8, 27, v8
	s_delay_alu instid0(VALU_DEP_1) | instskip(NEXT) | instid1(VALU_DEP_1)
	v_add_nc_u32_e32 v8, v135, v8
	v_ashrrev_i32_e32 v8, 5, v8
.LBB2_4586:                             ;   in Loop: Header=BB2_3186 Depth=2
	s_or_b32 exec_lo, exec_lo, s15
	s_delay_alu instid0(SALU_CYCLE_1)
	s_and_b32 s14, s14, exec_lo
.LBB2_4587:                             ;   in Loop: Header=BB2_3186 Depth=2
	s_or_b32 exec_lo, exec_lo, s16
.LBB2_4588:                             ;   in Loop: Header=BB2_3186 Depth=2
	s_and_saveexec_b32 s15, s14
	s_cbranch_execz .LBB2_4982
; %bb.4589:                             ;   in Loop: Header=BB2_3186 Depth=2
	v_ashrrev_i32_e32 v2, 31, v67
	s_mov_b32 s14, exec_lo
	s_delay_alu instid0(VALU_DEP_1) | instskip(NEXT) | instid1(VALU_DEP_1)
	v_lshrrev_b32_e32 v2, 24, v2
	v_add_nc_u32_e32 v2, v67, v2
	s_delay_alu instid0(VALU_DEP_1) | instskip(NEXT) | instid1(VALU_DEP_1)
	v_ashrrev_i32_e32 v130, 8, v2
	v_sub_nc_u32_e32 v2, v130, v8
	s_delay_alu instid0(VALU_DEP_1)
	v_cmpx_lt_i32_e32 0, v2
	s_cbranch_execz .LBB2_4924
; %bb.4590:                             ;   in Loop: Header=BB2_3186 Depth=2
	s_cbranch_execnz .LBB2_7745
; %bb.4591:                             ;   in Loop: Header=BB2_3186 Depth=2
	v_ashrrev_i32_e32 v9, 31, v135
	ds_load_b128 v[51:54], v0
	v_lshlrev_b32_e32 v8, 8, v8
	s_mov_b32 s16, 0
	v_lshrrev_b32_e32 v9, 27, v9
	s_delay_alu instid0(VALU_DEP_1) | instskip(NEXT) | instid1(VALU_DEP_1)
	v_add_nc_u32_e32 v9, v135, v9
	v_and_b32_e32 v9, 0xffffffe0, v9
	s_delay_alu instid0(VALU_DEP_1) | instskip(NEXT) | instid1(VALU_DEP_1)
	v_sub_nc_u32_e32 v9, v135, v9
	v_add3_u32 v10, v66, v9, v8
	s_delay_alu instid0(VALU_DEP_1) | instskip(SKIP_2) | instid1(VALU_DEP_2)
	v_ashrrev_i32_e32 v11, 31, v10
	s_waitcnt lgkmcnt(0)
	v_add_co_u32 v8, vcc_lo, v51, v10
	v_add_co_ci_u32_e32 v9, vcc_lo, v52, v11, vcc_lo
	v_add_co_u32 v10, vcc_lo, v53, v10
	v_add_co_ci_u32_e32 v11, vcc_lo, v54, v11, vcc_lo
	s_delay_alu instid0(VALU_DEP_3) | instskip(NEXT) | instid1(VALU_DEP_2)
	v_dual_mov_b32 v52, v9 :: v_dual_mov_b32 v51, v8
	v_dual_mov_b32 v54, v11 :: v_dual_mov_b32 v53, v10
.LBB2_4592:                             ;   Parent Loop BB2_51 Depth=1
                                        ;     Parent Loop BB2_3186 Depth=2
                                        ; =>    This Inner Loop Header: Depth=3
	s_cbranch_execnz .LBB2_7747
; %bb.4593:                             ;   in Loop: Header=BB2_4592 Depth=3
	ds_load_b64 v[64:65], v0
	s_waitcnt lgkmcnt(0)
	v_and_b32_e32 v65, 0xff, v64
	v_readfirstlane_b32 s13, v64
	s_delay_alu instid0(VALU_DEP_2)
	v_cmp_gt_i16_e32 vcc_lo, 0x80, v65
	s_cbranch_vccnz .LBB2_4597
; %bb.4594:                             ;   in Loop: Header=BB2_4592 Depth=3
	v_cmp_eq_u16_e32 vcc_lo, 0x80, v65
	s_mov_b32 s17, -1
                                        ; implicit-def: $sgpr30
	s_cbranch_vccz .LBB2_4596
; %bb.4595:                             ;   in Loop: Header=BB2_4592 Depth=3
	s_mov_b32 s17, 0
	s_mov_b32 s30, 0x7f800001
.LBB2_4596:                             ;   in Loop: Header=BB2_4592 Depth=3
	s_mov_b32 vcc_lo, 0
	s_branch .LBB2_4598
.LBB2_4597:                             ;   in Loop: Header=BB2_4592 Depth=3
	s_mov_b32 vcc_lo, -1
	s_mov_b32 s17, 0
                                        ; implicit-def: $sgpr30
.LBB2_4598:                             ;   in Loop: Header=BB2_4592 Depth=3
	s_and_b32 vcc_lo, exec_lo, vcc_lo
	s_cbranch_vccz .LBB2_4600
; %bb.4599:                             ;   in Loop: Header=BB2_4592 Depth=3
	v_cmp_ne_u16_e64 s17, 0, v65
	s_mov_b32 s30, 0
.LBB2_4600:                             ;   in Loop: Header=BB2_4592 Depth=3
	s_delay_alu instid0(SALU_CYCLE_1) | instskip(NEXT) | instid1(VALU_DEP_2)
	v_mov_b32_e32 v65, s30
	s_and_not1_b32 vcc_lo, exec_lo, s17
	s_cbranch_vccnz .LBB2_4602
; %bb.4601:                             ;   in Loop: Header=BB2_4592 Depth=3
	s_and_b32 s17, s13, 3
	s_bfe_u32 s30, s13, 0x50002
	s_clz_i32_u32 vcc_lo, s17
	v_lshlrev_b32_e32 v64, 24, v64
	s_min_u32 vcc_lo, vcc_lo, 32
	s_delay_alu instid0(SALU_CYCLE_1)
	s_sub_i32 s31, vcc_lo, 29
	s_sub_i32 vcc_lo, 30, vcc_lo
	s_lshl_b32 s13, s13, s31
	v_and_b32_e32 v64, 0x80000000, v64
	s_and_b32 s13, s13, 3
	s_cmp_eq_u32 s30, 0
	s_cselect_b32 vcc_lo, vcc_lo, s30
	s_cselect_b32 s13, s13, s17
	s_lshl_b32 s17, vcc_lo, 23
	s_lshl_b32 s13, s13, 21
	s_add_i32 s17, s17, 0x37800000
	s_delay_alu instid0(SALU_CYCLE_1) | instskip(NEXT) | instid1(VALU_DEP_1)
	v_or_b32_e32 v64, s17, v64
	v_or_b32_e32 v65, s13, v64
.LBB2_4602:                             ;   in Loop: Header=BB2_4592 Depth=3
	flat_load_u8 v64, v[8:9] slc dlc
	s_mov_b32 s13, 0
	s_mov_b32 s30, exec_lo
                                        ; implicit-def: $sgpr17
	s_waitcnt vmcnt(0) lgkmcnt(0)
	v_cmpx_lt_i16_e32 0x7f, v64
	s_xor_b32 s30, exec_lo, s30
	s_cbranch_execnz .LBB2_4827
; %bb.4603:                             ;   in Loop: Header=BB2_4592 Depth=3
	s_or_saveexec_b32 s30, s30
	v_mov_b32_e32 v131, s17
	s_xor_b32 exec_lo, exec_lo, s30
	s_cbranch_execnz .LBB2_4830
.LBB2_4604:                             ;   in Loop: Header=BB2_4592 Depth=3
	s_or_b32 exec_lo, exec_lo, s30
	s_and_saveexec_b32 s17, s13
	s_cbranch_execz .LBB2_4606
.LBB2_4605:                             ;   in Loop: Header=BB2_4592 Depth=3
	v_and_b32_e32 v131, 0xffff, v64
	v_lshlrev_b32_e32 v64, 24, v64
	s_delay_alu instid0(VALU_DEP_2) | instskip(NEXT) | instid1(VALU_DEP_2)
	v_and_b32_e32 v132, 3, v131
	v_and_b32_e32 v64, 0x80000000, v64
	s_delay_alu instid0(VALU_DEP_2) | instskip(NEXT) | instid1(VALU_DEP_1)
	v_clz_i32_u32_e32 v133, v132
	v_min_u32_e32 v133, 32, v133
	s_delay_alu instid0(VALU_DEP_1) | instskip(SKIP_1) | instid1(VALU_DEP_2)
	v_subrev_nc_u32_e32 v134, 29, v133
	v_sub_nc_u32_e32 v133, 30, v133
	v_lshlrev_b32_e32 v134, v134, v131
	v_bfe_u32 v131, v131, 2, 5
	s_delay_alu instid0(VALU_DEP_2) | instskip(NEXT) | instid1(VALU_DEP_2)
	v_and_b32_e32 v134, 3, v134
	v_cmp_eq_u32_e32 vcc_lo, 0, v131
	s_delay_alu instid0(VALU_DEP_2) | instskip(NEXT) | instid1(VALU_DEP_1)
	v_dual_cndmask_b32 v131, v131, v133 :: v_dual_cndmask_b32 v132, v132, v134
	v_lshl_add_u32 v131, v131, 23, 0x37800000
	s_delay_alu instid0(VALU_DEP_2) | instskip(NEXT) | instid1(VALU_DEP_1)
	v_lshlrev_b32_e32 v132, 21, v132
	v_or3_b32 v131, v64, v131, v132
.LBB2_4606:                             ;   in Loop: Header=BB2_4592 Depth=3
	s_or_b32 exec_lo, exec_lo, s17
	s_delay_alu instid0(VALU_DEP_1) | instskip(NEXT) | instid1(VALU_DEP_1)
	v_mul_f32_e32 v64, v65, v131
	v_and_b32_e32 v131, 0x7f800000, v64
	s_delay_alu instid0(VALU_DEP_1)
	v_cmp_ne_u32_e32 vcc_lo, 0x7f800000, v131
	v_mov_b32_e32 v131, 0x80
	s_and_saveexec_b32 s17, vcc_lo
	s_cbranch_execz .LBB2_4614
; %bb.4607:                             ;   in Loop: Header=BB2_4592 Depth=3
	v_mov_b32_e32 v131, 0
	s_mov_b32 s30, exec_lo
	v_cmpx_ne_u32_e32 0, v64
	s_cbranch_execz .LBB2_4613
; %bb.4608:                             ;   in Loop: Header=BB2_4592 Depth=3
	v_bfe_u32 v131, v64, 23, 8
	s_delay_alu instid0(VALU_DEP_1) | instskip(SKIP_1) | instid1(VALU_DEP_2)
	v_sub_nc_u32_e32 v133, 0x70, v131
	v_cmp_gt_u32_e32 vcc_lo, 0x71, v131
	v_dual_cndmask_b32 v133, 0, v133 :: v_dual_and_b32 v132, 0x7fffff, v64
	s_delay_alu instid0(VALU_DEP_1) | instskip(SKIP_2) | instid1(VALU_DEP_4)
	v_or_b32_e32 v134, 0x800000, v132
	v_cmp_eq_u32_e32 vcc_lo, 0, v131
	v_add_nc_u32_e32 v131, 0xffffff91, v131
	v_cndmask_b32_e64 v133, v133, 0x6f, vcc_lo
	s_delay_alu instid0(VALU_DEP_4) | instskip(NEXT) | instid1(VALU_DEP_3)
	v_cndmask_b32_e32 v132, v134, v132, vcc_lo
	v_cndmask_b32_e64 v131, v131, 0xffffff92, vcc_lo
	s_delay_alu instid0(VALU_DEP_3) | instskip(NEXT) | instid1(VALU_DEP_3)
	v_lshl_add_u32 v134, 0x200000, v133, -1
	v_lshrrev_b32_e32 v144, v133, v132
	v_lshlrev_b32_e64 v146, v133, 0x100000
	s_delay_alu instid0(VALU_DEP_4) | instskip(NEXT) | instid1(VALU_DEP_4)
	v_add_nc_u32_e32 v133, v133, v131
	v_and_b32_e32 v132, v134, v132
	s_delay_alu instid0(VALU_DEP_4) | instskip(NEXT) | instid1(VALU_DEP_2)
	v_bfe_u32 v145, v144, 21, 1
	v_cmp_eq_u32_e64 s13, v132, v146
	s_delay_alu instid0(VALU_DEP_2) | instskip(NEXT) | instid1(VALU_DEP_1)
	v_add_nc_u32_e32 v134, -1, v145
	v_cndmask_b32_e64 v132, 0, v134, s13
	v_lshrrev_b32_e32 v134, 23, v144
	s_mov_b32 s13, exec_lo
	s_delay_alu instid0(VALU_DEP_2) | instskip(NEXT) | instid1(VALU_DEP_2)
	v_add_nc_u32_e32 v132, v132, v144
	v_xor_b32_e32 v134, 1, v134
	s_delay_alu instid0(VALU_DEP_2) | instskip(NEXT) | instid1(VALU_DEP_1)
	v_and_b32_e32 v131, 0x1fffff, v132
	v_add_nc_u32_e32 v132, v131, v144
                                        ; implicit-def: $vgpr131
	s_delay_alu instid0(VALU_DEP_3)
	v_cmpx_ne_u32_e64 v133, v134
	s_xor_b32 s13, exec_lo, s13
; %bb.4609:                             ;   in Loop: Header=BB2_4592 Depth=3
	s_delay_alu instid0(VALU_DEP_2) | instskip(SKIP_2) | instid1(VALU_DEP_2)
	v_cmp_lt_u32_e32 vcc_lo, 0xffffff, v132
	v_sub_nc_u32_e32 v131, v133, v134
	v_cndmask_b32_e64 v133, 0, 1, vcc_lo
	v_add_co_ci_u32_e32 v131, vcc_lo, 0, v131, vcc_lo
	s_delay_alu instid0(VALU_DEP_2)
	v_lshrrev_b32_e32 v132, v133, v132
; %bb.4610:                             ;   in Loop: Header=BB2_4592 Depth=3
	s_and_not1_saveexec_b32 s13, s13
; %bb.4611:                             ;   in Loop: Header=BB2_4592 Depth=3
	s_delay_alu instid0(VALU_DEP_1)
	v_bfe_u32 v131, v132, 23, 1
; %bb.4612:                             ;   in Loop: Header=BB2_4592 Depth=3
	s_or_b32 exec_lo, exec_lo, s13
	v_lshrrev_b32_e32 v132, 21, v132
	s_delay_alu instid0(VALU_DEP_2) | instskip(SKIP_2) | instid1(VALU_DEP_4)
	v_cmp_gt_i32_e32 vcc_lo, 32, v131
	v_lshrrev_b32_e32 v64, 24, v64
	v_min_i32_e32 v133, 31, v131
	v_cndmask_b32_e32 v132, 3, v132, vcc_lo
	s_delay_alu instid0(VALU_DEP_3) | instskip(NEXT) | instid1(VALU_DEP_3)
	v_and_b32_e32 v64, 0x80, v64
	v_lshlrev_b32_e32 v133, 2, v133
	s_delay_alu instid0(VALU_DEP_3) | instskip(SKIP_1) | instid1(VALU_DEP_2)
	v_and_b32_e32 v134, 3, v132
	v_or_b32_e32 v131, v131, v132
	v_or3_b32 v64, v133, v64, v134
	s_delay_alu instid0(VALU_DEP_2) | instskip(NEXT) | instid1(VALU_DEP_2)
	v_cmp_ne_u32_e32 vcc_lo, 0, v131
	v_cndmask_b32_e32 v131, 0, v64, vcc_lo
.LBB2_4613:                             ;   in Loop: Header=BB2_4592 Depth=3
	s_or_b32 exec_lo, exec_lo, s30
.LBB2_4614:                             ;   in Loop: Header=BB2_4592 Depth=3
	s_delay_alu instid0(SALU_CYCLE_1)
	s_or_b32 exec_lo, exec_lo, s17
	flat_load_u8 v64, v[8:9] offset:32 slc dlc
	s_mov_b32 s13, 0
	s_mov_b32 s30, exec_lo
                                        ; implicit-def: $sgpr17
	s_waitcnt vmcnt(0) lgkmcnt(0)
	v_cmpx_lt_i16_e32 0x7f, v64
	s_xor_b32 s30, exec_lo, s30
	s_cbranch_execnz .LBB2_4831
; %bb.4615:                             ;   in Loop: Header=BB2_4592 Depth=3
	s_or_saveexec_b32 s30, s30
	v_mov_b32_e32 v132, s17
	s_xor_b32 exec_lo, exec_lo, s30
	s_cbranch_execnz .LBB2_4834
.LBB2_4616:                             ;   in Loop: Header=BB2_4592 Depth=3
	s_or_b32 exec_lo, exec_lo, s30
	s_and_saveexec_b32 s17, s13
	s_cbranch_execz .LBB2_4618
.LBB2_4617:                             ;   in Loop: Header=BB2_4592 Depth=3
	v_and_b32_e32 v132, 0xffff, v64
	v_lshlrev_b32_e32 v64, 24, v64
	s_delay_alu instid0(VALU_DEP_2) | instskip(NEXT) | instid1(VALU_DEP_2)
	v_and_b32_e32 v133, 3, v132
	v_and_b32_e32 v64, 0x80000000, v64
	s_delay_alu instid0(VALU_DEP_2) | instskip(NEXT) | instid1(VALU_DEP_1)
	v_clz_i32_u32_e32 v134, v133
	v_min_u32_e32 v134, 32, v134
	s_delay_alu instid0(VALU_DEP_1) | instskip(SKIP_1) | instid1(VALU_DEP_2)
	v_subrev_nc_u32_e32 v144, 29, v134
	v_sub_nc_u32_e32 v134, 30, v134
	v_lshlrev_b32_e32 v144, v144, v132
	v_bfe_u32 v132, v132, 2, 5
	s_delay_alu instid0(VALU_DEP_2) | instskip(NEXT) | instid1(VALU_DEP_2)
	v_and_b32_e32 v144, 3, v144
	v_cmp_eq_u32_e32 vcc_lo, 0, v132
	s_delay_alu instid0(VALU_DEP_2) | instskip(NEXT) | instid1(VALU_DEP_1)
	v_dual_cndmask_b32 v132, v132, v134 :: v_dual_cndmask_b32 v133, v133, v144
	v_lshl_add_u32 v132, v132, 23, 0x37800000
	s_delay_alu instid0(VALU_DEP_2) | instskip(NEXT) | instid1(VALU_DEP_1)
	v_lshlrev_b32_e32 v133, 21, v133
	v_or3_b32 v132, v64, v132, v133
.LBB2_4618:                             ;   in Loop: Header=BB2_4592 Depth=3
	s_or_b32 exec_lo, exec_lo, s17
	s_delay_alu instid0(VALU_DEP_1) | instskip(SKIP_1) | instid1(VALU_DEP_1)
	v_dual_mul_f32 v64, v65, v132 :: v_dual_mov_b32 v145, 0x80
	s_mov_b32 s17, exec_lo
	v_and_b32_e32 v132, 0x7f800000, v64
	s_delay_alu instid0(VALU_DEP_1)
	v_cmpx_ne_u32_e32 0x7f800000, v132
	s_cbranch_execz .LBB2_4626
; %bb.4619:                             ;   in Loop: Header=BB2_4592 Depth=3
	v_mov_b32_e32 v145, 0
	s_mov_b32 s30, exec_lo
	v_cmpx_ne_u32_e32 0, v64
	s_cbranch_execz .LBB2_4625
; %bb.4620:                             ;   in Loop: Header=BB2_4592 Depth=3
	v_bfe_u32 v132, v64, 23, 8
	s_delay_alu instid0(VALU_DEP_1) | instskip(SKIP_1) | instid1(VALU_DEP_2)
	v_sub_nc_u32_e32 v134, 0x70, v132
	v_cmp_gt_u32_e32 vcc_lo, 0x71, v132
	v_dual_cndmask_b32 v134, 0, v134 :: v_dual_and_b32 v133, 0x7fffff, v64
	s_delay_alu instid0(VALU_DEP_1) | instskip(SKIP_2) | instid1(VALU_DEP_4)
	v_or_b32_e32 v144, 0x800000, v133
	v_cmp_eq_u32_e32 vcc_lo, 0, v132
	v_add_nc_u32_e32 v132, 0xffffff91, v132
	v_cndmask_b32_e64 v134, v134, 0x6f, vcc_lo
	s_delay_alu instid0(VALU_DEP_4) | instskip(NEXT) | instid1(VALU_DEP_3)
	v_cndmask_b32_e32 v133, v144, v133, vcc_lo
	v_cndmask_b32_e64 v132, v132, 0xffffff92, vcc_lo
	s_delay_alu instid0(VALU_DEP_3) | instskip(NEXT) | instid1(VALU_DEP_3)
	v_lshl_add_u32 v144, 0x200000, v134, -1
	v_lshrrev_b32_e32 v145, v134, v133
	v_lshlrev_b32_e64 v147, v134, 0x100000
	s_delay_alu instid0(VALU_DEP_4) | instskip(NEXT) | instid1(VALU_DEP_4)
	v_add_nc_u32_e32 v134, v134, v132
	v_and_b32_e32 v133, v144, v133
	s_delay_alu instid0(VALU_DEP_4) | instskip(NEXT) | instid1(VALU_DEP_2)
	v_bfe_u32 v146, v145, 21, 1
	v_cmp_eq_u32_e64 s13, v133, v147
	s_delay_alu instid0(VALU_DEP_2) | instskip(NEXT) | instid1(VALU_DEP_1)
	v_add_nc_u32_e32 v144, -1, v146
	v_cndmask_b32_e64 v133, 0, v144, s13
	v_lshrrev_b32_e32 v144, 23, v145
	s_mov_b32 s13, exec_lo
	s_delay_alu instid0(VALU_DEP_2) | instskip(NEXT) | instid1(VALU_DEP_2)
	v_add_nc_u32_e32 v133, v133, v145
	v_xor_b32_e32 v144, 1, v144
	s_delay_alu instid0(VALU_DEP_2) | instskip(NEXT) | instid1(VALU_DEP_1)
	v_and_b32_e32 v132, 0x1fffff, v133
	v_add_nc_u32_e32 v133, v132, v145
                                        ; implicit-def: $vgpr132
	s_delay_alu instid0(VALU_DEP_3)
	v_cmpx_ne_u32_e64 v134, v144
	s_xor_b32 s13, exec_lo, s13
; %bb.4621:                             ;   in Loop: Header=BB2_4592 Depth=3
	s_delay_alu instid0(VALU_DEP_2) | instskip(SKIP_2) | instid1(VALU_DEP_2)
	v_cmp_lt_u32_e32 vcc_lo, 0xffffff, v133
	v_sub_nc_u32_e32 v132, v134, v144
	v_cndmask_b32_e64 v134, 0, 1, vcc_lo
	v_add_co_ci_u32_e32 v132, vcc_lo, 0, v132, vcc_lo
	s_delay_alu instid0(VALU_DEP_2)
	v_lshrrev_b32_e32 v133, v134, v133
; %bb.4622:                             ;   in Loop: Header=BB2_4592 Depth=3
	s_and_not1_saveexec_b32 s13, s13
; %bb.4623:                             ;   in Loop: Header=BB2_4592 Depth=3
	s_delay_alu instid0(VALU_DEP_1)
	v_bfe_u32 v132, v133, 23, 1
; %bb.4624:                             ;   in Loop: Header=BB2_4592 Depth=3
	s_or_b32 exec_lo, exec_lo, s13
	v_lshrrev_b32_e32 v133, 21, v133
	s_delay_alu instid0(VALU_DEP_2) | instskip(SKIP_2) | instid1(VALU_DEP_2)
	v_cmp_gt_i32_e32 vcc_lo, 32, v132
	v_lshrrev_b32_e32 v64, 24, v64
	v_min_i32_e32 v134, 31, v132
	v_dual_cndmask_b32 v133, 3, v133 :: v_dual_and_b32 v64, 0x80, v64
	s_delay_alu instid0(VALU_DEP_2) | instskip(NEXT) | instid1(VALU_DEP_2)
	v_lshlrev_b32_e32 v134, 2, v134
	v_or_b32_e32 v132, v132, v133
	s_delay_alu instid0(VALU_DEP_1) | instskip(SKIP_1) | instid1(VALU_DEP_1)
	v_cmp_ne_u32_e32 vcc_lo, 0, v132
	v_and_b32_e32 v144, 3, v133
	v_or3_b32 v64, v134, v64, v144
	s_delay_alu instid0(VALU_DEP_1)
	v_cndmask_b32_e32 v145, 0, v64, vcc_lo
.LBB2_4625:                             ;   in Loop: Header=BB2_4592 Depth=3
	s_or_b32 exec_lo, exec_lo, s30
.LBB2_4626:                             ;   in Loop: Header=BB2_4592 Depth=3
	s_delay_alu instid0(SALU_CYCLE_1)
	s_or_b32 exec_lo, exec_lo, s17
	flat_load_u8 v64, v[8:9] offset:64 slc dlc
	s_mov_b32 s13, 0
	s_mov_b32 s30, exec_lo
                                        ; implicit-def: $sgpr17
	s_waitcnt vmcnt(0) lgkmcnt(0)
	v_cmpx_lt_i16_e32 0x7f, v64
	s_xor_b32 s30, exec_lo, s30
	s_cbranch_execnz .LBB2_4835
; %bb.4627:                             ;   in Loop: Header=BB2_4592 Depth=3
	s_or_saveexec_b32 s30, s30
	v_mov_b32_e32 v132, s17
	s_xor_b32 exec_lo, exec_lo, s30
	s_cbranch_execnz .LBB2_4838
.LBB2_4628:                             ;   in Loop: Header=BB2_4592 Depth=3
	s_or_b32 exec_lo, exec_lo, s30
	s_and_saveexec_b32 s17, s13
	s_cbranch_execz .LBB2_4630
.LBB2_4629:                             ;   in Loop: Header=BB2_4592 Depth=3
	v_and_b32_e32 v132, 0xffff, v64
	v_lshlrev_b32_e32 v64, 24, v64
	s_delay_alu instid0(VALU_DEP_2) | instskip(NEXT) | instid1(VALU_DEP_2)
	v_and_b32_e32 v133, 3, v132
	v_and_b32_e32 v64, 0x80000000, v64
	s_delay_alu instid0(VALU_DEP_2) | instskip(NEXT) | instid1(VALU_DEP_1)
	v_clz_i32_u32_e32 v134, v133
	v_min_u32_e32 v134, 32, v134
	s_delay_alu instid0(VALU_DEP_1) | instskip(SKIP_1) | instid1(VALU_DEP_2)
	v_subrev_nc_u32_e32 v144, 29, v134
	v_sub_nc_u32_e32 v134, 30, v134
	v_lshlrev_b32_e32 v144, v144, v132
	v_bfe_u32 v132, v132, 2, 5
	s_delay_alu instid0(VALU_DEP_2) | instskip(NEXT) | instid1(VALU_DEP_2)
	v_and_b32_e32 v144, 3, v144
	v_cmp_eq_u32_e32 vcc_lo, 0, v132
	s_delay_alu instid0(VALU_DEP_2) | instskip(NEXT) | instid1(VALU_DEP_1)
	v_dual_cndmask_b32 v132, v132, v134 :: v_dual_cndmask_b32 v133, v133, v144
	v_lshl_add_u32 v132, v132, 23, 0x37800000
	s_delay_alu instid0(VALU_DEP_2) | instskip(NEXT) | instid1(VALU_DEP_1)
	v_lshlrev_b32_e32 v133, 21, v133
	v_or3_b32 v132, v64, v132, v133
.LBB2_4630:                             ;   in Loop: Header=BB2_4592 Depth=3
	s_or_b32 exec_lo, exec_lo, s17
	s_delay_alu instid0(VALU_DEP_1) | instskip(SKIP_1) | instid1(VALU_DEP_1)
	v_dual_mul_f32 v64, v65, v132 :: v_dual_mov_b32 v147, 0x80
	s_mov_b32 s17, exec_lo
	v_and_b32_e32 v132, 0x7f800000, v64
	s_delay_alu instid0(VALU_DEP_1)
	v_cmpx_ne_u32_e32 0x7f800000, v132
	s_cbranch_execz .LBB2_4638
; %bb.4631:                             ;   in Loop: Header=BB2_4592 Depth=3
	v_mov_b32_e32 v147, 0
	s_mov_b32 s30, exec_lo
	v_cmpx_ne_u32_e32 0, v64
	s_cbranch_execz .LBB2_4637
; %bb.4632:                             ;   in Loop: Header=BB2_4592 Depth=3
	v_bfe_u32 v132, v64, 23, 8
	s_delay_alu instid0(VALU_DEP_1) | instskip(SKIP_1) | instid1(VALU_DEP_2)
	v_sub_nc_u32_e32 v134, 0x70, v132
	v_cmp_gt_u32_e32 vcc_lo, 0x71, v132
	v_dual_cndmask_b32 v134, 0, v134 :: v_dual_and_b32 v133, 0x7fffff, v64
	s_delay_alu instid0(VALU_DEP_1) | instskip(SKIP_2) | instid1(VALU_DEP_4)
	v_or_b32_e32 v144, 0x800000, v133
	v_cmp_eq_u32_e32 vcc_lo, 0, v132
	v_add_nc_u32_e32 v132, 0xffffff91, v132
	v_cndmask_b32_e64 v134, v134, 0x6f, vcc_lo
	s_delay_alu instid0(VALU_DEP_4) | instskip(NEXT) | instid1(VALU_DEP_3)
	v_cndmask_b32_e32 v133, v144, v133, vcc_lo
	v_cndmask_b32_e64 v132, v132, 0xffffff92, vcc_lo
	s_delay_alu instid0(VALU_DEP_3) | instskip(NEXT) | instid1(VALU_DEP_3)
	v_lshl_add_u32 v144, 0x200000, v134, -1
	v_lshrrev_b32_e32 v146, v134, v133
	v_lshlrev_b32_e64 v148, v134, 0x100000
	s_delay_alu instid0(VALU_DEP_4) | instskip(NEXT) | instid1(VALU_DEP_4)
	v_add_nc_u32_e32 v134, v134, v132
	v_and_b32_e32 v133, v144, v133
	s_delay_alu instid0(VALU_DEP_4) | instskip(NEXT) | instid1(VALU_DEP_2)
	v_bfe_u32 v147, v146, 21, 1
	v_cmp_eq_u32_e64 s13, v133, v148
	s_delay_alu instid0(VALU_DEP_2) | instskip(NEXT) | instid1(VALU_DEP_1)
	v_add_nc_u32_e32 v144, -1, v147
	v_cndmask_b32_e64 v133, 0, v144, s13
	v_lshrrev_b32_e32 v144, 23, v146
	s_mov_b32 s13, exec_lo
	s_delay_alu instid0(VALU_DEP_2) | instskip(NEXT) | instid1(VALU_DEP_2)
	v_add_nc_u32_e32 v133, v133, v146
	v_xor_b32_e32 v144, 1, v144
	s_delay_alu instid0(VALU_DEP_2) | instskip(NEXT) | instid1(VALU_DEP_1)
	v_and_b32_e32 v132, 0x1fffff, v133
	v_add_nc_u32_e32 v133, v132, v146
                                        ; implicit-def: $vgpr132
	s_delay_alu instid0(VALU_DEP_3)
	v_cmpx_ne_u32_e64 v134, v144
	s_xor_b32 s13, exec_lo, s13
; %bb.4633:                             ;   in Loop: Header=BB2_4592 Depth=3
	s_delay_alu instid0(VALU_DEP_2) | instskip(SKIP_2) | instid1(VALU_DEP_2)
	v_cmp_lt_u32_e32 vcc_lo, 0xffffff, v133
	v_sub_nc_u32_e32 v132, v134, v144
	v_cndmask_b32_e64 v134, 0, 1, vcc_lo
	v_add_co_ci_u32_e32 v132, vcc_lo, 0, v132, vcc_lo
	s_delay_alu instid0(VALU_DEP_2)
	v_lshrrev_b32_e32 v133, v134, v133
; %bb.4634:                             ;   in Loop: Header=BB2_4592 Depth=3
	s_and_not1_saveexec_b32 s13, s13
; %bb.4635:                             ;   in Loop: Header=BB2_4592 Depth=3
	s_delay_alu instid0(VALU_DEP_1)
	v_bfe_u32 v132, v133, 23, 1
; %bb.4636:                             ;   in Loop: Header=BB2_4592 Depth=3
	s_or_b32 exec_lo, exec_lo, s13
	v_lshrrev_b32_e32 v133, 21, v133
	s_delay_alu instid0(VALU_DEP_2) | instskip(SKIP_2) | instid1(VALU_DEP_2)
	v_cmp_gt_i32_e32 vcc_lo, 32, v132
	v_lshrrev_b32_e32 v64, 24, v64
	v_min_i32_e32 v134, 31, v132
	v_dual_cndmask_b32 v133, 3, v133 :: v_dual_and_b32 v64, 0x80, v64
	s_delay_alu instid0(VALU_DEP_2) | instskip(NEXT) | instid1(VALU_DEP_2)
	v_lshlrev_b32_e32 v134, 2, v134
	v_or_b32_e32 v132, v132, v133
	s_delay_alu instid0(VALU_DEP_1) | instskip(SKIP_1) | instid1(VALU_DEP_1)
	v_cmp_ne_u32_e32 vcc_lo, 0, v132
	v_and_b32_e32 v144, 3, v133
	v_or3_b32 v64, v134, v64, v144
	s_delay_alu instid0(VALU_DEP_1)
	v_cndmask_b32_e32 v147, 0, v64, vcc_lo
.LBB2_4637:                             ;   in Loop: Header=BB2_4592 Depth=3
	s_or_b32 exec_lo, exec_lo, s30
.LBB2_4638:                             ;   in Loop: Header=BB2_4592 Depth=3
	s_delay_alu instid0(SALU_CYCLE_1)
	s_or_b32 exec_lo, exec_lo, s17
	flat_load_u8 v64, v[8:9] offset:96 slc dlc
	s_mov_b32 s13, 0
	s_mov_b32 s30, exec_lo
                                        ; implicit-def: $sgpr17
	s_waitcnt vmcnt(0) lgkmcnt(0)
	v_cmpx_lt_i16_e32 0x7f, v64
	s_xor_b32 s30, exec_lo, s30
	s_cbranch_execnz .LBB2_4839
; %bb.4639:                             ;   in Loop: Header=BB2_4592 Depth=3
	s_or_saveexec_b32 s30, s30
	v_mov_b32_e32 v132, s17
	s_xor_b32 exec_lo, exec_lo, s30
	s_cbranch_execnz .LBB2_4842
.LBB2_4640:                             ;   in Loop: Header=BB2_4592 Depth=3
	s_or_b32 exec_lo, exec_lo, s30
	s_and_saveexec_b32 s17, s13
	s_cbranch_execz .LBB2_4642
.LBB2_4641:                             ;   in Loop: Header=BB2_4592 Depth=3
	v_and_b32_e32 v132, 0xffff, v64
	v_lshlrev_b32_e32 v64, 24, v64
	s_delay_alu instid0(VALU_DEP_2) | instskip(NEXT) | instid1(VALU_DEP_2)
	v_and_b32_e32 v133, 3, v132
	v_and_b32_e32 v64, 0x80000000, v64
	s_delay_alu instid0(VALU_DEP_2) | instskip(NEXT) | instid1(VALU_DEP_1)
	v_clz_i32_u32_e32 v134, v133
	v_min_u32_e32 v134, 32, v134
	s_delay_alu instid0(VALU_DEP_1) | instskip(SKIP_1) | instid1(VALU_DEP_2)
	v_subrev_nc_u32_e32 v144, 29, v134
	v_sub_nc_u32_e32 v134, 30, v134
	v_lshlrev_b32_e32 v144, v144, v132
	v_bfe_u32 v132, v132, 2, 5
	s_delay_alu instid0(VALU_DEP_2) | instskip(NEXT) | instid1(VALU_DEP_2)
	v_and_b32_e32 v144, 3, v144
	v_cmp_eq_u32_e32 vcc_lo, 0, v132
	s_delay_alu instid0(VALU_DEP_2) | instskip(NEXT) | instid1(VALU_DEP_1)
	v_dual_cndmask_b32 v132, v132, v134 :: v_dual_cndmask_b32 v133, v133, v144
	v_lshl_add_u32 v132, v132, 23, 0x37800000
	s_delay_alu instid0(VALU_DEP_2) | instskip(NEXT) | instid1(VALU_DEP_1)
	v_lshlrev_b32_e32 v133, 21, v133
	v_or3_b32 v132, v64, v132, v133
.LBB2_4642:                             ;   in Loop: Header=BB2_4592 Depth=3
	s_or_b32 exec_lo, exec_lo, s17
	s_delay_alu instid0(VALU_DEP_1) | instskip(SKIP_2) | instid1(VALU_DEP_2)
	v_mul_f32_e32 v64, v65, v132
	v_mov_b32_e32 v146, 0x80
	s_mov_b32 s17, exec_lo
	v_and_b32_e32 v132, 0x7f800000, v64
	s_delay_alu instid0(VALU_DEP_1)
	v_cmpx_ne_u32_e32 0x7f800000, v132
	s_cbranch_execz .LBB2_4650
; %bb.4643:                             ;   in Loop: Header=BB2_4592 Depth=3
	v_mov_b32_e32 v146, 0
	s_mov_b32 s30, exec_lo
	v_cmpx_ne_u32_e32 0, v64
	s_cbranch_execz .LBB2_4649
; %bb.4644:                             ;   in Loop: Header=BB2_4592 Depth=3
	v_bfe_u32 v132, v64, 23, 8
	s_delay_alu instid0(VALU_DEP_1) | instskip(SKIP_1) | instid1(VALU_DEP_2)
	v_sub_nc_u32_e32 v134, 0x70, v132
	v_cmp_gt_u32_e32 vcc_lo, 0x71, v132
	v_dual_cndmask_b32 v134, 0, v134 :: v_dual_and_b32 v133, 0x7fffff, v64
	s_delay_alu instid0(VALU_DEP_1) | instskip(SKIP_2) | instid1(VALU_DEP_4)
	v_or_b32_e32 v144, 0x800000, v133
	v_cmp_eq_u32_e32 vcc_lo, 0, v132
	v_add_nc_u32_e32 v132, 0xffffff91, v132
	v_cndmask_b32_e64 v134, v134, 0x6f, vcc_lo
	s_delay_alu instid0(VALU_DEP_4) | instskip(NEXT) | instid1(VALU_DEP_3)
	v_cndmask_b32_e32 v133, v144, v133, vcc_lo
	v_cndmask_b32_e64 v132, v132, 0xffffff92, vcc_lo
	s_delay_alu instid0(VALU_DEP_3) | instskip(NEXT) | instid1(VALU_DEP_3)
	v_lshl_add_u32 v144, 0x200000, v134, -1
	v_lshrrev_b32_e32 v146, v134, v133
	v_lshlrev_b32_e64 v149, v134, 0x100000
	s_delay_alu instid0(VALU_DEP_4) | instskip(NEXT) | instid1(VALU_DEP_4)
	v_add_nc_u32_e32 v134, v134, v132
	v_and_b32_e32 v133, v144, v133
	s_delay_alu instid0(VALU_DEP_4) | instskip(NEXT) | instid1(VALU_DEP_2)
	v_bfe_u32 v148, v146, 21, 1
	v_cmp_eq_u32_e64 s13, v133, v149
	s_delay_alu instid0(VALU_DEP_2) | instskip(NEXT) | instid1(VALU_DEP_1)
	v_add_nc_u32_e32 v144, -1, v148
	v_cndmask_b32_e64 v133, 0, v144, s13
	v_lshrrev_b32_e32 v144, 23, v146
	s_mov_b32 s13, exec_lo
	s_delay_alu instid0(VALU_DEP_2) | instskip(NEXT) | instid1(VALU_DEP_2)
	v_add_nc_u32_e32 v133, v133, v146
	v_xor_b32_e32 v144, 1, v144
	s_delay_alu instid0(VALU_DEP_2) | instskip(NEXT) | instid1(VALU_DEP_1)
	v_and_b32_e32 v132, 0x1fffff, v133
	v_add_nc_u32_e32 v133, v132, v146
                                        ; implicit-def: $vgpr132
	s_delay_alu instid0(VALU_DEP_3)
	v_cmpx_ne_u32_e64 v134, v144
	s_xor_b32 s13, exec_lo, s13
; %bb.4645:                             ;   in Loop: Header=BB2_4592 Depth=3
	s_delay_alu instid0(VALU_DEP_2) | instskip(SKIP_2) | instid1(VALU_DEP_2)
	v_cmp_lt_u32_e32 vcc_lo, 0xffffff, v133
	v_sub_nc_u32_e32 v132, v134, v144
	v_cndmask_b32_e64 v134, 0, 1, vcc_lo
	v_add_co_ci_u32_e32 v132, vcc_lo, 0, v132, vcc_lo
	s_delay_alu instid0(VALU_DEP_2)
	v_lshrrev_b32_e32 v133, v134, v133
; %bb.4646:                             ;   in Loop: Header=BB2_4592 Depth=3
	s_and_not1_saveexec_b32 s13, s13
; %bb.4647:                             ;   in Loop: Header=BB2_4592 Depth=3
	s_delay_alu instid0(VALU_DEP_1)
	v_bfe_u32 v132, v133, 23, 1
; %bb.4648:                             ;   in Loop: Header=BB2_4592 Depth=3
	s_or_b32 exec_lo, exec_lo, s13
	v_lshrrev_b32_e32 v133, 21, v133
	s_delay_alu instid0(VALU_DEP_2) | instskip(SKIP_2) | instid1(VALU_DEP_2)
	v_cmp_gt_i32_e32 vcc_lo, 32, v132
	v_lshrrev_b32_e32 v64, 24, v64
	v_min_i32_e32 v134, 31, v132
	v_dual_cndmask_b32 v133, 3, v133 :: v_dual_and_b32 v64, 0x80, v64
	s_delay_alu instid0(VALU_DEP_2) | instskip(NEXT) | instid1(VALU_DEP_2)
	v_lshlrev_b32_e32 v134, 2, v134
	v_and_b32_e32 v144, 3, v133
	v_or_b32_e32 v132, v132, v133
	s_delay_alu instid0(VALU_DEP_2) | instskip(NEXT) | instid1(VALU_DEP_2)
	v_or3_b32 v64, v134, v64, v144
	v_cmp_ne_u32_e32 vcc_lo, 0, v132
	s_delay_alu instid0(VALU_DEP_2)
	v_cndmask_b32_e32 v146, 0, v64, vcc_lo
.LBB2_4649:                             ;   in Loop: Header=BB2_4592 Depth=3
	s_or_b32 exec_lo, exec_lo, s30
.LBB2_4650:                             ;   in Loop: Header=BB2_4592 Depth=3
	s_delay_alu instid0(SALU_CYCLE_1)
	s_or_b32 exec_lo, exec_lo, s17
	flat_load_u8 v64, v[8:9] offset:128 slc dlc
	s_mov_b32 s13, 0
	s_mov_b32 s30, exec_lo
                                        ; implicit-def: $sgpr17
	s_waitcnt vmcnt(0) lgkmcnt(0)
	v_cmpx_lt_i16_e32 0x7f, v64
	s_xor_b32 s30, exec_lo, s30
	s_cbranch_execnz .LBB2_4843
; %bb.4651:                             ;   in Loop: Header=BB2_4592 Depth=3
	s_or_saveexec_b32 s30, s30
	v_mov_b32_e32 v132, s17
	s_xor_b32 exec_lo, exec_lo, s30
	s_cbranch_execnz .LBB2_4846
.LBB2_4652:                             ;   in Loop: Header=BB2_4592 Depth=3
	s_or_b32 exec_lo, exec_lo, s30
	s_and_saveexec_b32 s17, s13
	s_cbranch_execz .LBB2_4654
.LBB2_4653:                             ;   in Loop: Header=BB2_4592 Depth=3
	v_and_b32_e32 v132, 0xffff, v64
	v_lshlrev_b32_e32 v64, 24, v64
	s_delay_alu instid0(VALU_DEP_2) | instskip(NEXT) | instid1(VALU_DEP_2)
	v_and_b32_e32 v133, 3, v132
	v_and_b32_e32 v64, 0x80000000, v64
	s_delay_alu instid0(VALU_DEP_2) | instskip(NEXT) | instid1(VALU_DEP_1)
	v_clz_i32_u32_e32 v134, v133
	v_min_u32_e32 v134, 32, v134
	s_delay_alu instid0(VALU_DEP_1) | instskip(SKIP_1) | instid1(VALU_DEP_2)
	v_subrev_nc_u32_e32 v144, 29, v134
	v_sub_nc_u32_e32 v134, 30, v134
	v_lshlrev_b32_e32 v144, v144, v132
	v_bfe_u32 v132, v132, 2, 5
	s_delay_alu instid0(VALU_DEP_2) | instskip(NEXT) | instid1(VALU_DEP_2)
	v_and_b32_e32 v144, 3, v144
	v_cmp_eq_u32_e32 vcc_lo, 0, v132
	s_delay_alu instid0(VALU_DEP_2) | instskip(NEXT) | instid1(VALU_DEP_1)
	v_dual_cndmask_b32 v132, v132, v134 :: v_dual_cndmask_b32 v133, v133, v144
	v_lshl_add_u32 v132, v132, 23, 0x37800000
	s_delay_alu instid0(VALU_DEP_2) | instskip(NEXT) | instid1(VALU_DEP_1)
	v_lshlrev_b32_e32 v133, 21, v133
	v_or3_b32 v132, v64, v132, v133
.LBB2_4654:                             ;   in Loop: Header=BB2_4592 Depth=3
	s_or_b32 exec_lo, exec_lo, s17
	s_delay_alu instid0(VALU_DEP_1) | instskip(SKIP_2) | instid1(VALU_DEP_2)
	v_mul_f32_e32 v64, v65, v132
	v_mov_b32_e32 v144, 0x80
	s_mov_b32 s17, exec_lo
	v_and_b32_e32 v132, 0x7f800000, v64
	s_delay_alu instid0(VALU_DEP_1)
	v_cmpx_ne_u32_e32 0x7f800000, v132
	s_cbranch_execz .LBB2_4662
; %bb.4655:                             ;   in Loop: Header=BB2_4592 Depth=3
	v_mov_b32_e32 v144, 0
	s_mov_b32 s30, exec_lo
	v_cmpx_ne_u32_e32 0, v64
	s_cbranch_execz .LBB2_4661
; %bb.4656:                             ;   in Loop: Header=BB2_4592 Depth=3
	v_bfe_u32 v132, v64, 23, 8
	s_delay_alu instid0(VALU_DEP_1) | instskip(SKIP_1) | instid1(VALU_DEP_2)
	v_sub_nc_u32_e32 v134, 0x70, v132
	v_cmp_gt_u32_e32 vcc_lo, 0x71, v132
	v_dual_cndmask_b32 v134, 0, v134 :: v_dual_and_b32 v133, 0x7fffff, v64
	s_delay_alu instid0(VALU_DEP_1) | instskip(SKIP_2) | instid1(VALU_DEP_4)
	v_or_b32_e32 v144, 0x800000, v133
	v_cmp_eq_u32_e32 vcc_lo, 0, v132
	v_add_nc_u32_e32 v132, 0xffffff91, v132
	v_cndmask_b32_e64 v134, v134, 0x6f, vcc_lo
	s_delay_alu instid0(VALU_DEP_4) | instskip(NEXT) | instid1(VALU_DEP_3)
	v_cndmask_b32_e32 v133, v144, v133, vcc_lo
	v_cndmask_b32_e64 v132, v132, 0xffffff92, vcc_lo
	s_delay_alu instid0(VALU_DEP_3) | instskip(NEXT) | instid1(VALU_DEP_3)
	v_lshl_add_u32 v144, 0x200000, v134, -1
	v_lshrrev_b32_e32 v148, v134, v133
	v_lshlrev_b32_e64 v150, v134, 0x100000
	s_delay_alu instid0(VALU_DEP_4) | instskip(NEXT) | instid1(VALU_DEP_4)
	v_add_nc_u32_e32 v134, v134, v132
	v_and_b32_e32 v133, v144, v133
	s_delay_alu instid0(VALU_DEP_4) | instskip(NEXT) | instid1(VALU_DEP_2)
	v_bfe_u32 v149, v148, 21, 1
	v_cmp_eq_u32_e64 s13, v133, v150
	s_delay_alu instid0(VALU_DEP_2) | instskip(NEXT) | instid1(VALU_DEP_1)
	v_add_nc_u32_e32 v144, -1, v149
	v_cndmask_b32_e64 v133, 0, v144, s13
	v_lshrrev_b32_e32 v144, 23, v148
	s_mov_b32 s13, exec_lo
	s_delay_alu instid0(VALU_DEP_2) | instskip(NEXT) | instid1(VALU_DEP_2)
	v_add_nc_u32_e32 v133, v133, v148
	v_xor_b32_e32 v144, 1, v144
	s_delay_alu instid0(VALU_DEP_2) | instskip(NEXT) | instid1(VALU_DEP_1)
	v_and_b32_e32 v132, 0x1fffff, v133
	v_add_nc_u32_e32 v133, v132, v148
                                        ; implicit-def: $vgpr132
	s_delay_alu instid0(VALU_DEP_3)
	v_cmpx_ne_u32_e64 v134, v144
	s_xor_b32 s13, exec_lo, s13
; %bb.4657:                             ;   in Loop: Header=BB2_4592 Depth=3
	s_delay_alu instid0(VALU_DEP_2) | instskip(SKIP_2) | instid1(VALU_DEP_2)
	v_cmp_lt_u32_e32 vcc_lo, 0xffffff, v133
	v_sub_nc_u32_e32 v132, v134, v144
	v_cndmask_b32_e64 v134, 0, 1, vcc_lo
	v_add_co_ci_u32_e32 v132, vcc_lo, 0, v132, vcc_lo
	s_delay_alu instid0(VALU_DEP_2)
	v_lshrrev_b32_e32 v133, v134, v133
; %bb.4658:                             ;   in Loop: Header=BB2_4592 Depth=3
	s_and_not1_saveexec_b32 s13, s13
; %bb.4659:                             ;   in Loop: Header=BB2_4592 Depth=3
	s_delay_alu instid0(VALU_DEP_1)
	v_bfe_u32 v132, v133, 23, 1
; %bb.4660:                             ;   in Loop: Header=BB2_4592 Depth=3
	s_or_b32 exec_lo, exec_lo, s13
	v_lshrrev_b32_e32 v133, 21, v133
	s_delay_alu instid0(VALU_DEP_2) | instskip(SKIP_2) | instid1(VALU_DEP_2)
	v_cmp_gt_i32_e32 vcc_lo, 32, v132
	v_lshrrev_b32_e32 v64, 24, v64
	v_min_i32_e32 v134, 31, v132
	v_dual_cndmask_b32 v133, 3, v133 :: v_dual_and_b32 v64, 0x80, v64
	s_delay_alu instid0(VALU_DEP_2) | instskip(NEXT) | instid1(VALU_DEP_2)
	v_lshlrev_b32_e32 v134, 2, v134
	v_and_b32_e32 v144, 3, v133
	v_or_b32_e32 v132, v132, v133
	s_delay_alu instid0(VALU_DEP_2) | instskip(NEXT) | instid1(VALU_DEP_2)
	v_or3_b32 v64, v134, v64, v144
	v_cmp_ne_u32_e32 vcc_lo, 0, v132
	s_delay_alu instid0(VALU_DEP_2)
	v_cndmask_b32_e32 v144, 0, v64, vcc_lo
.LBB2_4661:                             ;   in Loop: Header=BB2_4592 Depth=3
	s_or_b32 exec_lo, exec_lo, s30
.LBB2_4662:                             ;   in Loop: Header=BB2_4592 Depth=3
	s_delay_alu instid0(SALU_CYCLE_1)
	s_or_b32 exec_lo, exec_lo, s17
	flat_load_u8 v64, v[8:9] offset:160 slc dlc
	s_mov_b32 s13, 0
	s_mov_b32 s30, exec_lo
                                        ; implicit-def: $sgpr17
	s_waitcnt vmcnt(0) lgkmcnt(0)
	v_cmpx_lt_i16_e32 0x7f, v64
	s_xor_b32 s30, exec_lo, s30
	s_cbranch_execnz .LBB2_4847
; %bb.4663:                             ;   in Loop: Header=BB2_4592 Depth=3
	s_or_saveexec_b32 s30, s30
	v_mov_b32_e32 v132, s17
	s_xor_b32 exec_lo, exec_lo, s30
	s_cbranch_execnz .LBB2_4850
.LBB2_4664:                             ;   in Loop: Header=BB2_4592 Depth=3
	s_or_b32 exec_lo, exec_lo, s30
	s_and_saveexec_b32 s17, s13
	s_cbranch_execz .LBB2_4666
.LBB2_4665:                             ;   in Loop: Header=BB2_4592 Depth=3
	v_and_b32_e32 v132, 0xffff, v64
	v_lshlrev_b32_e32 v64, 24, v64
	s_delay_alu instid0(VALU_DEP_2) | instskip(NEXT) | instid1(VALU_DEP_2)
	v_and_b32_e32 v133, 3, v132
	v_and_b32_e32 v64, 0x80000000, v64
	s_delay_alu instid0(VALU_DEP_2) | instskip(NEXT) | instid1(VALU_DEP_1)
	v_clz_i32_u32_e32 v134, v133
	v_min_u32_e32 v134, 32, v134
	s_delay_alu instid0(VALU_DEP_1) | instskip(SKIP_1) | instid1(VALU_DEP_2)
	v_subrev_nc_u32_e32 v148, 29, v134
	v_sub_nc_u32_e32 v134, 30, v134
	v_lshlrev_b32_e32 v148, v148, v132
	v_bfe_u32 v132, v132, 2, 5
	s_delay_alu instid0(VALU_DEP_2) | instskip(NEXT) | instid1(VALU_DEP_2)
	v_and_b32_e32 v148, 3, v148
	v_cmp_eq_u32_e32 vcc_lo, 0, v132
	s_delay_alu instid0(VALU_DEP_2) | instskip(NEXT) | instid1(VALU_DEP_1)
	v_dual_cndmask_b32 v132, v132, v134 :: v_dual_cndmask_b32 v133, v133, v148
	v_lshl_add_u32 v132, v132, 23, 0x37800000
	s_delay_alu instid0(VALU_DEP_2) | instskip(NEXT) | instid1(VALU_DEP_1)
	v_lshlrev_b32_e32 v133, 21, v133
	v_or3_b32 v132, v64, v132, v133
.LBB2_4666:                             ;   in Loop: Header=BB2_4592 Depth=3
	s_or_b32 exec_lo, exec_lo, s17
	s_delay_alu instid0(VALU_DEP_1) | instskip(SKIP_1) | instid1(VALU_DEP_1)
	v_dual_mul_f32 v64, v65, v132 :: v_dual_mov_b32 v133, 0x80
	s_mov_b32 s17, exec_lo
	v_and_b32_e32 v132, 0x7f800000, v64
	s_delay_alu instid0(VALU_DEP_1)
	v_cmpx_ne_u32_e32 0x7f800000, v132
	s_cbranch_execz .LBB2_4674
; %bb.4667:                             ;   in Loop: Header=BB2_4592 Depth=3
	v_mov_b32_e32 v133, 0
	s_mov_b32 s30, exec_lo
	v_cmpx_ne_u32_e32 0, v64
	s_cbranch_execz .LBB2_4673
; %bb.4668:                             ;   in Loop: Header=BB2_4592 Depth=3
	v_bfe_u32 v132, v64, 23, 8
	s_delay_alu instid0(VALU_DEP_1) | instskip(SKIP_1) | instid1(VALU_DEP_2)
	v_sub_nc_u32_e32 v134, 0x70, v132
	v_cmp_gt_u32_e32 vcc_lo, 0x71, v132
	v_dual_cndmask_b32 v134, 0, v134 :: v_dual_and_b32 v133, 0x7fffff, v64
	s_delay_alu instid0(VALU_DEP_1) | instskip(SKIP_2) | instid1(VALU_DEP_4)
	v_or_b32_e32 v148, 0x800000, v133
	v_cmp_eq_u32_e32 vcc_lo, 0, v132
	v_add_nc_u32_e32 v132, 0xffffff91, v132
	v_cndmask_b32_e64 v134, v134, 0x6f, vcc_lo
	s_delay_alu instid0(VALU_DEP_4) | instskip(NEXT) | instid1(VALU_DEP_3)
	v_cndmask_b32_e32 v133, v148, v133, vcc_lo
	v_cndmask_b32_e64 v132, v132, 0xffffff92, vcc_lo
	s_delay_alu instid0(VALU_DEP_3) | instskip(NEXT) | instid1(VALU_DEP_3)
	v_lshl_add_u32 v148, 0x200000, v134, -1
	v_lshrrev_b32_e32 v149, v134, v133
	v_lshlrev_b32_e64 v151, v134, 0x100000
	s_delay_alu instid0(VALU_DEP_4) | instskip(NEXT) | instid1(VALU_DEP_4)
	v_add_nc_u32_e32 v134, v134, v132
	v_and_b32_e32 v133, v148, v133
	s_delay_alu instid0(VALU_DEP_4) | instskip(NEXT) | instid1(VALU_DEP_2)
	v_bfe_u32 v150, v149, 21, 1
	v_cmp_eq_u32_e64 s13, v133, v151
	s_delay_alu instid0(VALU_DEP_2) | instskip(NEXT) | instid1(VALU_DEP_1)
	v_add_nc_u32_e32 v148, -1, v150
	v_cndmask_b32_e64 v133, 0, v148, s13
	v_lshrrev_b32_e32 v148, 23, v149
	s_mov_b32 s13, exec_lo
	s_delay_alu instid0(VALU_DEP_2) | instskip(NEXT) | instid1(VALU_DEP_2)
	v_add_nc_u32_e32 v133, v133, v149
	v_xor_b32_e32 v148, 1, v148
	s_delay_alu instid0(VALU_DEP_2) | instskip(NEXT) | instid1(VALU_DEP_1)
	v_and_b32_e32 v132, 0x1fffff, v133
	v_add_nc_u32_e32 v133, v132, v149
                                        ; implicit-def: $vgpr132
	s_delay_alu instid0(VALU_DEP_3)
	v_cmpx_ne_u32_e64 v134, v148
	s_xor_b32 s13, exec_lo, s13
; %bb.4669:                             ;   in Loop: Header=BB2_4592 Depth=3
	s_delay_alu instid0(VALU_DEP_2) | instskip(SKIP_2) | instid1(VALU_DEP_2)
	v_cmp_lt_u32_e32 vcc_lo, 0xffffff, v133
	v_sub_nc_u32_e32 v132, v134, v148
	v_cndmask_b32_e64 v134, 0, 1, vcc_lo
	v_add_co_ci_u32_e32 v132, vcc_lo, 0, v132, vcc_lo
	s_delay_alu instid0(VALU_DEP_2)
	v_lshrrev_b32_e32 v133, v134, v133
; %bb.4670:                             ;   in Loop: Header=BB2_4592 Depth=3
	s_and_not1_saveexec_b32 s13, s13
; %bb.4671:                             ;   in Loop: Header=BB2_4592 Depth=3
	s_delay_alu instid0(VALU_DEP_1)
	v_bfe_u32 v132, v133, 23, 1
; %bb.4672:                             ;   in Loop: Header=BB2_4592 Depth=3
	s_or_b32 exec_lo, exec_lo, s13
	v_lshrrev_b32_e32 v133, 21, v133
	s_delay_alu instid0(VALU_DEP_2) | instskip(SKIP_2) | instid1(VALU_DEP_2)
	v_cmp_gt_i32_e32 vcc_lo, 32, v132
	v_lshrrev_b32_e32 v64, 24, v64
	v_min_i32_e32 v134, 31, v132
	v_dual_cndmask_b32 v133, 3, v133 :: v_dual_and_b32 v64, 0x80, v64
	s_delay_alu instid0(VALU_DEP_2) | instskip(NEXT) | instid1(VALU_DEP_2)
	v_lshlrev_b32_e32 v134, 2, v134
	v_or_b32_e32 v132, v132, v133
	s_delay_alu instid0(VALU_DEP_1) | instskip(SKIP_1) | instid1(VALU_DEP_1)
	v_cmp_ne_u32_e32 vcc_lo, 0, v132
	v_and_b32_e32 v148, 3, v133
	v_or3_b32 v64, v134, v64, v148
	s_delay_alu instid0(VALU_DEP_1)
	v_cndmask_b32_e32 v133, 0, v64, vcc_lo
.LBB2_4673:                             ;   in Loop: Header=BB2_4592 Depth=3
	s_or_b32 exec_lo, exec_lo, s30
.LBB2_4674:                             ;   in Loop: Header=BB2_4592 Depth=3
	s_delay_alu instid0(SALU_CYCLE_1)
	s_or_b32 exec_lo, exec_lo, s17
	flat_load_u8 v64, v[8:9] offset:192 slc dlc
	s_mov_b32 s13, 0
	s_mov_b32 s30, exec_lo
                                        ; implicit-def: $sgpr17
	s_waitcnt vmcnt(0) lgkmcnt(0)
	v_cmpx_lt_i16_e32 0x7f, v64
	s_xor_b32 s30, exec_lo, s30
	s_cbranch_execnz .LBB2_4851
; %bb.4675:                             ;   in Loop: Header=BB2_4592 Depth=3
	s_or_saveexec_b32 s30, s30
	v_mov_b32_e32 v132, s17
	s_xor_b32 exec_lo, exec_lo, s30
	s_cbranch_execnz .LBB2_4854
.LBB2_4676:                             ;   in Loop: Header=BB2_4592 Depth=3
	s_or_b32 exec_lo, exec_lo, s30
	s_and_saveexec_b32 s17, s13
	s_cbranch_execz .LBB2_4678
.LBB2_4677:                             ;   in Loop: Header=BB2_4592 Depth=3
	v_and_b32_e32 v132, 0xffff, v64
	v_lshlrev_b32_e32 v64, 24, v64
	s_delay_alu instid0(VALU_DEP_2) | instskip(NEXT) | instid1(VALU_DEP_2)
	v_and_b32_e32 v134, 3, v132
	v_and_b32_e32 v64, 0x80000000, v64
	s_delay_alu instid0(VALU_DEP_2) | instskip(NEXT) | instid1(VALU_DEP_1)
	v_clz_i32_u32_e32 v148, v134
	v_min_u32_e32 v148, 32, v148
	s_delay_alu instid0(VALU_DEP_1) | instskip(SKIP_1) | instid1(VALU_DEP_2)
	v_subrev_nc_u32_e32 v149, 29, v148
	v_sub_nc_u32_e32 v148, 30, v148
	v_lshlrev_b32_e32 v149, v149, v132
	v_bfe_u32 v132, v132, 2, 5
	s_delay_alu instid0(VALU_DEP_1) | instskip(NEXT) | instid1(VALU_DEP_3)
	v_cmp_eq_u32_e32 vcc_lo, 0, v132
	v_dual_cndmask_b32 v132, v132, v148 :: v_dual_and_b32 v149, 3, v149
	s_delay_alu instid0(VALU_DEP_1) | instskip(NEXT) | instid1(VALU_DEP_2)
	v_cndmask_b32_e32 v134, v134, v149, vcc_lo
	v_lshl_add_u32 v132, v132, 23, 0x37800000
	s_delay_alu instid0(VALU_DEP_2) | instskip(NEXT) | instid1(VALU_DEP_1)
	v_lshlrev_b32_e32 v134, 21, v134
	v_or3_b32 v132, v64, v132, v134
.LBB2_4678:                             ;   in Loop: Header=BB2_4592 Depth=3
	s_or_b32 exec_lo, exec_lo, s17
	s_delay_alu instid0(VALU_DEP_1) | instskip(NEXT) | instid1(VALU_DEP_1)
	v_mul_f32_e32 v64, v65, v132
	v_and_b32_e32 v132, 0x7f800000, v64
	s_delay_alu instid0(VALU_DEP_1)
	v_cmp_ne_u32_e32 vcc_lo, 0x7f800000, v132
	v_mov_b32_e32 v132, 0x80
	s_and_saveexec_b32 s17, vcc_lo
	s_cbranch_execz .LBB2_4686
; %bb.4679:                             ;   in Loop: Header=BB2_4592 Depth=3
	v_mov_b32_e32 v132, 0
	s_mov_b32 s30, exec_lo
	v_cmpx_ne_u32_e32 0, v64
	s_cbranch_execz .LBB2_4685
; %bb.4680:                             ;   in Loop: Header=BB2_4592 Depth=3
	v_bfe_u32 v132, v64, 23, 8
	v_and_b32_e32 v134, 0x7fffff, v64
	s_delay_alu instid0(VALU_DEP_2) | instskip(SKIP_1) | instid1(VALU_DEP_3)
	v_sub_nc_u32_e32 v148, 0x70, v132
	v_cmp_gt_u32_e32 vcc_lo, 0x71, v132
	v_or_b32_e32 v149, 0x800000, v134
	s_delay_alu instid0(VALU_DEP_3) | instskip(SKIP_2) | instid1(VALU_DEP_3)
	v_cndmask_b32_e32 v148, 0, v148, vcc_lo
	v_cmp_eq_u32_e32 vcc_lo, 0, v132
	v_add_nc_u32_e32 v132, 0xffffff91, v132
	v_cndmask_b32_e64 v148, v148, 0x6f, vcc_lo
	v_cndmask_b32_e32 v134, v149, v134, vcc_lo
	s_delay_alu instid0(VALU_DEP_3) | instskip(NEXT) | instid1(VALU_DEP_3)
	v_cndmask_b32_e64 v132, v132, 0xffffff92, vcc_lo
	v_lshl_add_u32 v149, 0x200000, v148, -1
	s_delay_alu instid0(VALU_DEP_3) | instskip(SKIP_1) | instid1(VALU_DEP_4)
	v_lshrrev_b32_e32 v150, v148, v134
	v_lshlrev_b32_e64 v160, v148, 0x100000
	v_add_nc_u32_e32 v148, v148, v132
	s_delay_alu instid0(VALU_DEP_4) | instskip(NEXT) | instid1(VALU_DEP_4)
	v_and_b32_e32 v134, v149, v134
	v_bfe_u32 v151, v150, 21, 1
	s_delay_alu instid0(VALU_DEP_2) | instskip(NEXT) | instid1(VALU_DEP_2)
	v_cmp_eq_u32_e64 s13, v134, v160
	v_add_nc_u32_e32 v149, -1, v151
	s_delay_alu instid0(VALU_DEP_1) | instskip(SKIP_2) | instid1(VALU_DEP_2)
	v_cndmask_b32_e64 v134, 0, v149, s13
	v_lshrrev_b32_e32 v149, 23, v150
	s_mov_b32 s13, exec_lo
	v_add_nc_u32_e32 v134, v134, v150
	s_delay_alu instid0(VALU_DEP_2) | instskip(NEXT) | instid1(VALU_DEP_2)
	v_xor_b32_e32 v149, 1, v149
	v_and_b32_e32 v132, 0x1fffff, v134
	s_delay_alu instid0(VALU_DEP_1) | instskip(NEXT) | instid1(VALU_DEP_3)
	v_add_nc_u32_e32 v134, v132, v150
                                        ; implicit-def: $vgpr132
	v_cmpx_ne_u32_e64 v148, v149
	s_xor_b32 s13, exec_lo, s13
; %bb.4681:                             ;   in Loop: Header=BB2_4592 Depth=3
	s_delay_alu instid0(VALU_DEP_2) | instskip(SKIP_2) | instid1(VALU_DEP_2)
	v_cmp_lt_u32_e32 vcc_lo, 0xffffff, v134
	v_sub_nc_u32_e32 v132, v148, v149
	v_cndmask_b32_e64 v148, 0, 1, vcc_lo
	v_add_co_ci_u32_e32 v132, vcc_lo, 0, v132, vcc_lo
	s_delay_alu instid0(VALU_DEP_2)
	v_lshrrev_b32_e32 v134, v148, v134
; %bb.4682:                             ;   in Loop: Header=BB2_4592 Depth=3
	s_and_not1_saveexec_b32 s13, s13
; %bb.4683:                             ;   in Loop: Header=BB2_4592 Depth=3
	s_delay_alu instid0(VALU_DEP_1)
	v_bfe_u32 v132, v134, 23, 1
; %bb.4684:                             ;   in Loop: Header=BB2_4592 Depth=3
	s_or_b32 exec_lo, exec_lo, s13
	v_lshrrev_b32_e32 v134, 21, v134
	s_delay_alu instid0(VALU_DEP_2) | instskip(SKIP_2) | instid1(VALU_DEP_4)
	v_cmp_gt_i32_e32 vcc_lo, 32, v132
	v_lshrrev_b32_e32 v64, 24, v64
	v_min_i32_e32 v148, 31, v132
	v_cndmask_b32_e32 v134, 3, v134, vcc_lo
	s_delay_alu instid0(VALU_DEP_3) | instskip(NEXT) | instid1(VALU_DEP_3)
	v_and_b32_e32 v64, 0x80, v64
	v_lshlrev_b32_e32 v148, 2, v148
	s_delay_alu instid0(VALU_DEP_3) | instskip(NEXT) | instid1(VALU_DEP_1)
	v_or_b32_e32 v132, v132, v134
	v_cmp_ne_u32_e32 vcc_lo, 0, v132
	v_and_b32_e32 v149, 3, v134
	s_delay_alu instid0(VALU_DEP_1) | instskip(NEXT) | instid1(VALU_DEP_1)
	v_or3_b32 v64, v148, v64, v149
	v_cndmask_b32_e32 v132, 0, v64, vcc_lo
.LBB2_4685:                             ;   in Loop: Header=BB2_4592 Depth=3
	s_or_b32 exec_lo, exec_lo, s30
.LBB2_4686:                             ;   in Loop: Header=BB2_4592 Depth=3
	s_delay_alu instid0(SALU_CYCLE_1)
	s_or_b32 exec_lo, exec_lo, s17
	flat_load_u8 v64, v[8:9] offset:224 slc dlc
	s_mov_b32 s13, 0
	s_mov_b32 s30, exec_lo
                                        ; implicit-def: $sgpr17
	s_waitcnt vmcnt(0) lgkmcnt(0)
	v_cmpx_lt_i16_e32 0x7f, v64
	s_xor_b32 s30, exec_lo, s30
	s_cbranch_execnz .LBB2_4855
; %bb.4687:                             ;   in Loop: Header=BB2_4592 Depth=3
	s_or_saveexec_b32 s30, s30
	v_mov_b32_e32 v134, s17
	s_xor_b32 exec_lo, exec_lo, s30
	s_cbranch_execnz .LBB2_4858
.LBB2_4688:                             ;   in Loop: Header=BB2_4592 Depth=3
	s_or_b32 exec_lo, exec_lo, s30
	s_and_saveexec_b32 s17, s13
	s_cbranch_execz .LBB2_4690
.LBB2_4689:                             ;   in Loop: Header=BB2_4592 Depth=3
	v_and_b32_e32 v134, 0xffff, v64
	v_lshlrev_b32_e32 v64, 24, v64
	s_delay_alu instid0(VALU_DEP_2) | instskip(NEXT) | instid1(VALU_DEP_2)
	v_and_b32_e32 v148, 3, v134
	v_and_b32_e32 v64, 0x80000000, v64
	s_delay_alu instid0(VALU_DEP_2) | instskip(NEXT) | instid1(VALU_DEP_1)
	v_clz_i32_u32_e32 v149, v148
	v_min_u32_e32 v149, 32, v149
	s_delay_alu instid0(VALU_DEP_1) | instskip(SKIP_1) | instid1(VALU_DEP_2)
	v_subrev_nc_u32_e32 v150, 29, v149
	v_sub_nc_u32_e32 v149, 30, v149
	v_lshlrev_b32_e32 v150, v150, v134
	v_bfe_u32 v134, v134, 2, 5
	s_delay_alu instid0(VALU_DEP_2) | instskip(NEXT) | instid1(VALU_DEP_2)
	v_and_b32_e32 v150, 3, v150
	v_cmp_eq_u32_e32 vcc_lo, 0, v134
	v_cndmask_b32_e32 v134, v134, v149, vcc_lo
	s_delay_alu instid0(VALU_DEP_3) | instskip(NEXT) | instid1(VALU_DEP_2)
	v_cndmask_b32_e32 v148, v148, v150, vcc_lo
	v_lshl_add_u32 v134, v134, 23, 0x37800000
	s_delay_alu instid0(VALU_DEP_2) | instskip(NEXT) | instid1(VALU_DEP_1)
	v_lshlrev_b32_e32 v148, 21, v148
	v_or3_b32 v134, v64, v134, v148
.LBB2_4690:                             ;   in Loop: Header=BB2_4592 Depth=3
	s_or_b32 exec_lo, exec_lo, s17
	s_delay_alu instid0(VALU_DEP_1) | instskip(NEXT) | instid1(VALU_DEP_1)
	v_mul_f32_e32 v64, v65, v134
	v_and_b32_e32 v65, 0x7f800000, v64
	s_delay_alu instid0(VALU_DEP_1)
	v_cmp_ne_u32_e32 vcc_lo, 0x7f800000, v65
	v_mov_b32_e32 v65, 0x80
	s_and_saveexec_b32 s17, vcc_lo
	s_cbranch_execz .LBB2_4698
; %bb.4691:                             ;   in Loop: Header=BB2_4592 Depth=3
	v_mov_b32_e32 v65, 0
	s_mov_b32 s30, exec_lo
	v_cmpx_ne_u32_e32 0, v64
	s_cbranch_execz .LBB2_4697
; %bb.4692:                             ;   in Loop: Header=BB2_4592 Depth=3
	v_bfe_u32 v65, v64, 23, 8
	v_and_b32_e32 v134, 0x7fffff, v64
	s_delay_alu instid0(VALU_DEP_2) | instskip(SKIP_1) | instid1(VALU_DEP_3)
	v_sub_nc_u32_e32 v148, 0x70, v65
	v_cmp_gt_u32_e32 vcc_lo, 0x71, v65
	v_or_b32_e32 v149, 0x800000, v134
	s_delay_alu instid0(VALU_DEP_3) | instskip(SKIP_2) | instid1(VALU_DEP_3)
	v_cndmask_b32_e32 v148, 0, v148, vcc_lo
	v_cmp_eq_u32_e32 vcc_lo, 0, v65
	v_add_nc_u32_e32 v65, 0xffffff91, v65
	v_cndmask_b32_e64 v148, v148, 0x6f, vcc_lo
	v_cndmask_b32_e32 v134, v149, v134, vcc_lo
	s_delay_alu instid0(VALU_DEP_3) | instskip(NEXT) | instid1(VALU_DEP_3)
	v_cndmask_b32_e64 v65, v65, 0xffffff92, vcc_lo
	v_lshl_add_u32 v149, 0x200000, v148, -1
	s_delay_alu instid0(VALU_DEP_3) | instskip(SKIP_1) | instid1(VALU_DEP_4)
	v_lshrrev_b32_e32 v150, v148, v134
	v_lshlrev_b32_e64 v160, v148, 0x100000
	v_add_nc_u32_e32 v148, v148, v65
	s_delay_alu instid0(VALU_DEP_4) | instskip(NEXT) | instid1(VALU_DEP_4)
	v_and_b32_e32 v134, v149, v134
	v_bfe_u32 v151, v150, 21, 1
	s_delay_alu instid0(VALU_DEP_2) | instskip(NEXT) | instid1(VALU_DEP_2)
	v_cmp_eq_u32_e64 s13, v134, v160
	v_add_nc_u32_e32 v149, -1, v151
	s_delay_alu instid0(VALU_DEP_1) | instskip(SKIP_2) | instid1(VALU_DEP_2)
	v_cndmask_b32_e64 v134, 0, v149, s13
	v_lshrrev_b32_e32 v149, 23, v150
	s_mov_b32 s13, exec_lo
	v_add_nc_u32_e32 v134, v134, v150
	s_delay_alu instid0(VALU_DEP_2) | instskip(NEXT) | instid1(VALU_DEP_2)
	v_xor_b32_e32 v149, 1, v149
	v_and_b32_e32 v65, 0x1fffff, v134
	s_delay_alu instid0(VALU_DEP_1) | instskip(NEXT) | instid1(VALU_DEP_3)
	v_add_nc_u32_e32 v134, v65, v150
                                        ; implicit-def: $vgpr65
	v_cmpx_ne_u32_e64 v148, v149
	s_xor_b32 s13, exec_lo, s13
; %bb.4693:                             ;   in Loop: Header=BB2_4592 Depth=3
	s_delay_alu instid0(VALU_DEP_2) | instskip(SKIP_2) | instid1(VALU_DEP_2)
	v_cmp_lt_u32_e32 vcc_lo, 0xffffff, v134
	v_sub_nc_u32_e32 v65, v148, v149
	v_cndmask_b32_e64 v148, 0, 1, vcc_lo
	v_add_co_ci_u32_e32 v65, vcc_lo, 0, v65, vcc_lo
	s_delay_alu instid0(VALU_DEP_2)
	v_lshrrev_b32_e32 v134, v148, v134
; %bb.4694:                             ;   in Loop: Header=BB2_4592 Depth=3
	s_and_not1_saveexec_b32 s13, s13
; %bb.4695:                             ;   in Loop: Header=BB2_4592 Depth=3
	s_delay_alu instid0(VALU_DEP_1)
	v_bfe_u32 v65, v134, 23, 1
; %bb.4696:                             ;   in Loop: Header=BB2_4592 Depth=3
	s_or_b32 exec_lo, exec_lo, s13
	v_lshrrev_b32_e32 v134, 21, v134
	s_delay_alu instid0(VALU_DEP_2) | instskip(SKIP_2) | instid1(VALU_DEP_4)
	v_cmp_gt_i32_e32 vcc_lo, 32, v65
	v_lshrrev_b32_e32 v64, 24, v64
	v_min_i32_e32 v148, 31, v65
	v_cndmask_b32_e32 v134, 3, v134, vcc_lo
	s_delay_alu instid0(VALU_DEP_3) | instskip(NEXT) | instid1(VALU_DEP_3)
	v_and_b32_e32 v64, 0x80, v64
	v_lshlrev_b32_e32 v148, 2, v148
	s_delay_alu instid0(VALU_DEP_3) | instskip(SKIP_1) | instid1(VALU_DEP_2)
	v_and_b32_e32 v149, 3, v134
	v_or_b32_e32 v65, v65, v134
	v_or3_b32 v64, v148, v64, v149
	s_delay_alu instid0(VALU_DEP_2) | instskip(NEXT) | instid1(VALU_DEP_2)
	v_cmp_ne_u32_e32 vcc_lo, 0, v65
	v_cndmask_b32_e32 v65, 0, v64, vcc_lo
.LBB2_4697:                             ;   in Loop: Header=BB2_4592 Depth=3
	s_or_b32 exec_lo, exec_lo, s30
.LBB2_4698:                             ;   in Loop: Header=BB2_4592 Depth=3
	s_delay_alu instid0(SALU_CYCLE_1)
	s_or_b32 exec_lo, exec_lo, s17
	s_clause 0x7
	flat_load_u8 v161, v[10:11] slc dlc
	flat_load_u8 v160, v[10:11] offset:32 slc dlc
	flat_load_u8 v151, v[10:11] offset:64 slc dlc
	;; [unrolled: 1-line block ×7, first 2 shown]
	v_and_b32_e32 v163, 0xff, v131
	s_mov_b32 s13, 0
	s_mov_b32 s30, exec_lo
                                        ; implicit-def: $sgpr17
	s_delay_alu instid0(VALU_DEP_1)
	v_cmpx_lt_i16_e64 0x7f, v163
	s_xor_b32 s30, exec_lo, s30
	s_cbranch_execnz .LBB2_4859
; %bb.4699:                             ;   in Loop: Header=BB2_4592 Depth=3
	s_or_saveexec_b32 s30, s30
	v_mov_b32_e32 v162, s17
	s_xor_b32 exec_lo, exec_lo, s30
	s_cbranch_execnz .LBB2_4862
.LBB2_4700:                             ;   in Loop: Header=BB2_4592 Depth=3
	s_or_b32 exec_lo, exec_lo, s30
	s_and_saveexec_b32 s17, s13
	s_cbranch_execz .LBB2_4702
.LBB2_4701:                             ;   in Loop: Header=BB2_4592 Depth=3
	v_and_b32_e32 v162, 3, v131
	v_lshrrev_b16 v165, 2, v131
	s_delay_alu instid0(VALU_DEP_2) | instskip(NEXT) | instid1(VALU_DEP_1)
	v_clz_i32_u32_e32 v163, v162
	v_min_u32_e32 v163, 32, v163
	s_delay_alu instid0(VALU_DEP_1) | instskip(SKIP_1) | instid1(VALU_DEP_2)
	v_subrev_nc_u32_e32 v164, 29, v163
	v_sub_nc_u32_e32 v163, 30, v163
	v_lshlrev_b32_e32 v164, v164, v131
	v_lshlrev_b32_e32 v131, 24, v131
	s_delay_alu instid0(VALU_DEP_2) | instskip(SKIP_1) | instid1(VALU_DEP_3)
	v_and_b32_e32 v164, 3, v164
	v_and_b32_e32 v165, 31, v165
	;; [unrolled: 1-line block ×3, first 2 shown]
	s_delay_alu instid0(VALU_DEP_2) | instskip(NEXT) | instid1(VALU_DEP_4)
	v_cmp_eq_u32_e32 vcc_lo, 0, v165
	v_dual_cndmask_b32 v162, v162, v164 :: v_dual_cndmask_b32 v163, v165, v163
	s_delay_alu instid0(VALU_DEP_1) | instskip(NEXT) | instid1(VALU_DEP_2)
	v_lshlrev_b32_e32 v162, 21, v162
	v_lshl_add_u32 v163, v163, 23, 0x37800000
	s_delay_alu instid0(VALU_DEP_1)
	v_or3_b32 v162, v131, v163, v162
.LBB2_4702:                             ;   in Loop: Header=BB2_4592 Depth=3
	s_or_b32 exec_lo, exec_lo, s17
	s_waitcnt vmcnt(7) lgkmcnt(7)
	v_and_b32_e32 v163, 0xff, v161
	s_mov_b32 s13, 0
	s_mov_b32 s30, exec_lo
                                        ; implicit-def: $sgpr17
	s_delay_alu instid0(VALU_DEP_1)
	v_cmpx_lt_i16_e64 0x7f, v163
	s_xor_b32 s30, exec_lo, s30
	s_cbranch_execnz .LBB2_4863
; %bb.4703:                             ;   in Loop: Header=BB2_4592 Depth=3
	s_or_saveexec_b32 s30, s30
	v_mov_b32_e32 v131, s17
	s_xor_b32 exec_lo, exec_lo, s30
	s_cbranch_execnz .LBB2_4866
.LBB2_4704:                             ;   in Loop: Header=BB2_4592 Depth=3
	s_or_b32 exec_lo, exec_lo, s30
	s_and_saveexec_b32 s17, s13
	s_cbranch_execz .LBB2_4706
.LBB2_4705:                             ;   in Loop: Header=BB2_4592 Depth=3
	v_and_b32_e32 v131, 3, v161
	v_lshrrev_b16 v165, 2, v161
	s_delay_alu instid0(VALU_DEP_2) | instskip(NEXT) | instid1(VALU_DEP_2)
	v_clz_i32_u32_e32 v163, v131
	v_and_b32_e32 v165, 31, v165
	s_delay_alu instid0(VALU_DEP_2) | instskip(NEXT) | instid1(VALU_DEP_2)
	v_min_u32_e32 v163, 32, v163
	v_cmp_eq_u32_e32 vcc_lo, 0, v165
	s_delay_alu instid0(VALU_DEP_2) | instskip(SKIP_1) | instid1(VALU_DEP_1)
	v_subrev_nc_u32_e32 v164, 29, v163
	v_sub_nc_u32_e32 v163, 30, v163
	v_dual_cndmask_b32 v163, v165, v163 :: v_dual_lshlrev_b32 v164, v164, v161
	v_lshlrev_b32_e32 v161, 24, v161
	s_delay_alu instid0(VALU_DEP_2) | instskip(NEXT) | instid1(VALU_DEP_3)
	v_and_b32_e32 v164, 3, v164
	v_lshl_add_u32 v163, v163, 23, 0x37800000
	s_delay_alu instid0(VALU_DEP_3) | instskip(NEXT) | instid1(VALU_DEP_3)
	v_and_b32_e32 v161, 0x80000000, v161
	v_cndmask_b32_e32 v131, v131, v164, vcc_lo
	s_delay_alu instid0(VALU_DEP_1) | instskip(NEXT) | instid1(VALU_DEP_1)
	v_lshlrev_b32_e32 v131, 21, v131
	v_or3_b32 v131, v161, v163, v131
.LBB2_4706:                             ;   in Loop: Header=BB2_4592 Depth=3
	s_or_b32 exec_lo, exec_lo, s17
	s_delay_alu instid0(VALU_DEP_1) | instskip(NEXT) | instid1(VALU_DEP_1)
	v_add_f32_e32 v161, v162, v131
	v_and_b32_e32 v131, 0x7f800000, v161
	s_delay_alu instid0(VALU_DEP_1)
	v_cmp_ne_u32_e32 vcc_lo, 0x7f800000, v131
	v_mov_b32_e32 v131, 0x80
	s_and_saveexec_b32 s17, vcc_lo
	s_cbranch_execz .LBB2_4714
; %bb.4707:                             ;   in Loop: Header=BB2_4592 Depth=3
	v_mov_b32_e32 v131, 0
	s_mov_b32 s30, exec_lo
	v_cmpx_ne_u32_e32 0, v161
	s_cbranch_execz .LBB2_4713
; %bb.4708:                             ;   in Loop: Header=BB2_4592 Depth=3
	v_bfe_u32 v131, v161, 23, 8
	s_delay_alu instid0(VALU_DEP_1) | instskip(SKIP_1) | instid1(VALU_DEP_2)
	v_sub_nc_u32_e32 v163, 0x70, v131
	v_cmp_gt_u32_e32 vcc_lo, 0x71, v131
	v_dual_cndmask_b32 v163, 0, v163 :: v_dual_and_b32 v162, 0x7fffff, v161
	s_delay_alu instid0(VALU_DEP_1) | instskip(SKIP_2) | instid1(VALU_DEP_4)
	v_or_b32_e32 v164, 0x800000, v162
	v_cmp_eq_u32_e32 vcc_lo, 0, v131
	v_add_nc_u32_e32 v131, 0xffffff91, v131
	v_cndmask_b32_e64 v163, v163, 0x6f, vcc_lo
	s_delay_alu instid0(VALU_DEP_4) | instskip(NEXT) | instid1(VALU_DEP_3)
	v_cndmask_b32_e32 v162, v164, v162, vcc_lo
	v_cndmask_b32_e64 v131, v131, 0xffffff92, vcc_lo
	s_delay_alu instid0(VALU_DEP_3) | instskip(NEXT) | instid1(VALU_DEP_3)
	v_lshl_add_u32 v164, 0x200000, v163, -1
	v_lshrrev_b32_e32 v165, v163, v162
	v_lshlrev_b32_e64 v167, v163, 0x100000
	s_delay_alu instid0(VALU_DEP_4) | instskip(NEXT) | instid1(VALU_DEP_4)
	v_add_nc_u32_e32 v163, v163, v131
	v_and_b32_e32 v162, v164, v162
	s_delay_alu instid0(VALU_DEP_4) | instskip(NEXT) | instid1(VALU_DEP_2)
	v_bfe_u32 v166, v165, 21, 1
	v_cmp_eq_u32_e64 s13, v162, v167
	s_delay_alu instid0(VALU_DEP_2) | instskip(NEXT) | instid1(VALU_DEP_1)
	v_add_nc_u32_e32 v164, -1, v166
	v_cndmask_b32_e64 v162, 0, v164, s13
	v_lshrrev_b32_e32 v164, 23, v165
	s_mov_b32 s13, exec_lo
	s_delay_alu instid0(VALU_DEP_2) | instskip(NEXT) | instid1(VALU_DEP_2)
	v_add_nc_u32_e32 v162, v162, v165
	v_xor_b32_e32 v164, 1, v164
	s_delay_alu instid0(VALU_DEP_2) | instskip(NEXT) | instid1(VALU_DEP_1)
	v_and_b32_e32 v131, 0x1fffff, v162
	v_add_nc_u32_e32 v162, v131, v165
                                        ; implicit-def: $vgpr131
	s_delay_alu instid0(VALU_DEP_3)
	v_cmpx_ne_u32_e64 v163, v164
	s_xor_b32 s13, exec_lo, s13
; %bb.4709:                             ;   in Loop: Header=BB2_4592 Depth=3
	s_delay_alu instid0(VALU_DEP_2) | instskip(SKIP_2) | instid1(VALU_DEP_2)
	v_cmp_lt_u32_e32 vcc_lo, 0xffffff, v162
	v_sub_nc_u32_e32 v131, v163, v164
	v_cndmask_b32_e64 v163, 0, 1, vcc_lo
	v_add_co_ci_u32_e32 v131, vcc_lo, 0, v131, vcc_lo
	s_delay_alu instid0(VALU_DEP_2)
	v_lshrrev_b32_e32 v162, v163, v162
; %bb.4710:                             ;   in Loop: Header=BB2_4592 Depth=3
	s_and_not1_saveexec_b32 s13, s13
; %bb.4711:                             ;   in Loop: Header=BB2_4592 Depth=3
	s_delay_alu instid0(VALU_DEP_1)
	v_bfe_u32 v131, v162, 23, 1
; %bb.4712:                             ;   in Loop: Header=BB2_4592 Depth=3
	s_or_b32 exec_lo, exec_lo, s13
	v_lshrrev_b32_e32 v162, 21, v162
	s_delay_alu instid0(VALU_DEP_2) | instskip(SKIP_2) | instid1(VALU_DEP_2)
	v_cmp_gt_i32_e32 vcc_lo, 32, v131
	v_lshrrev_b32_e32 v161, 24, v161
	v_min_i32_e32 v163, 31, v131
	v_dual_cndmask_b32 v162, 3, v162 :: v_dual_and_b32 v161, 0x80, v161
	s_delay_alu instid0(VALU_DEP_2) | instskip(NEXT) | instid1(VALU_DEP_2)
	v_lshlrev_b32_e32 v163, 2, v163
	v_or_b32_e32 v131, v131, v162
	s_delay_alu instid0(VALU_DEP_1) | instskip(SKIP_1) | instid1(VALU_DEP_1)
	v_cmp_ne_u32_e32 vcc_lo, 0, v131
	v_and_b32_e32 v164, 3, v162
	v_or3_b32 v161, v163, v161, v164
	s_delay_alu instid0(VALU_DEP_1)
	v_cndmask_b32_e32 v131, 0, v161, vcc_lo
.LBB2_4713:                             ;   in Loop: Header=BB2_4592 Depth=3
	s_or_b32 exec_lo, exec_lo, s30
.LBB2_4714:                             ;   in Loop: Header=BB2_4592 Depth=3
	s_delay_alu instid0(SALU_CYCLE_1) | instskip(SKIP_3) | instid1(VALU_DEP_1)
	s_or_b32 exec_lo, exec_lo, s17
	v_and_b32_e32 v162, 0xff, v145
	s_mov_b32 s13, 0
	s_mov_b32 s30, exec_lo
                                        ; implicit-def: $sgpr17
	v_cmpx_lt_i16_e64 0x7f, v162
	s_xor_b32 s30, exec_lo, s30
	s_cbranch_execnz .LBB2_4867
; %bb.4715:                             ;   in Loop: Header=BB2_4592 Depth=3
	s_or_saveexec_b32 s30, s30
	v_mov_b32_e32 v161, s17
	s_xor_b32 exec_lo, exec_lo, s30
	s_cbranch_execnz .LBB2_4870
.LBB2_4716:                             ;   in Loop: Header=BB2_4592 Depth=3
	s_or_b32 exec_lo, exec_lo, s30
	s_and_saveexec_b32 s17, s13
	s_cbranch_execz .LBB2_4718
.LBB2_4717:                             ;   in Loop: Header=BB2_4592 Depth=3
	v_lshrrev_b16 v164, 2, v145
	s_delay_alu instid0(VALU_DEP_1) | instskip(NEXT) | instid1(VALU_DEP_1)
	v_and_b32_e32 v164, 31, v164
	v_cmp_eq_u32_e32 vcc_lo, 0, v164
	v_and_b32_e32 v161, 3, v145
	s_delay_alu instid0(VALU_DEP_1) | instskip(NEXT) | instid1(VALU_DEP_1)
	v_clz_i32_u32_e32 v162, v161
	v_min_u32_e32 v162, 32, v162
	s_delay_alu instid0(VALU_DEP_1) | instskip(SKIP_1) | instid1(VALU_DEP_1)
	v_subrev_nc_u32_e32 v163, 29, v162
	v_sub_nc_u32_e32 v162, 30, v162
	v_dual_cndmask_b32 v162, v164, v162 :: v_dual_lshlrev_b32 v163, v163, v145
	v_lshlrev_b32_e32 v145, 24, v145
	s_delay_alu instid0(VALU_DEP_2) | instskip(NEXT) | instid1(VALU_DEP_3)
	v_and_b32_e32 v163, 3, v163
	v_lshl_add_u32 v162, v162, 23, 0x37800000
	s_delay_alu instid0(VALU_DEP_3) | instskip(NEXT) | instid1(VALU_DEP_3)
	v_and_b32_e32 v145, 0x80000000, v145
	v_cndmask_b32_e32 v161, v161, v163, vcc_lo
	s_delay_alu instid0(VALU_DEP_1) | instskip(NEXT) | instid1(VALU_DEP_1)
	v_lshlrev_b32_e32 v161, 21, v161
	v_or3_b32 v161, v145, v162, v161
.LBB2_4718:                             ;   in Loop: Header=BB2_4592 Depth=3
	s_or_b32 exec_lo, exec_lo, s17
	s_waitcnt vmcnt(6) lgkmcnt(6)
	v_and_b32_e32 v162, 0xff, v160
	s_mov_b32 s13, 0
	s_mov_b32 s30, exec_lo
                                        ; implicit-def: $sgpr17
	s_delay_alu instid0(VALU_DEP_1)
	v_cmpx_lt_i16_e64 0x7f, v162
	s_xor_b32 s30, exec_lo, s30
	s_cbranch_execnz .LBB2_4871
; %bb.4719:                             ;   in Loop: Header=BB2_4592 Depth=3
	s_or_saveexec_b32 s30, s30
	v_mov_b32_e32 v145, s17
	s_xor_b32 exec_lo, exec_lo, s30
	s_cbranch_execnz .LBB2_4874
.LBB2_4720:                             ;   in Loop: Header=BB2_4592 Depth=3
	s_or_b32 exec_lo, exec_lo, s30
	s_and_saveexec_b32 s17, s13
	s_cbranch_execz .LBB2_4722
.LBB2_4721:                             ;   in Loop: Header=BB2_4592 Depth=3
	v_lshrrev_b16 v164, 2, v160
	s_delay_alu instid0(VALU_DEP_1) | instskip(NEXT) | instid1(VALU_DEP_1)
	v_and_b32_e32 v164, 31, v164
	v_cmp_eq_u32_e32 vcc_lo, 0, v164
	v_and_b32_e32 v145, 3, v160
	s_delay_alu instid0(VALU_DEP_1) | instskip(NEXT) | instid1(VALU_DEP_1)
	v_clz_i32_u32_e32 v162, v145
	v_min_u32_e32 v162, 32, v162
	s_delay_alu instid0(VALU_DEP_1) | instskip(SKIP_1) | instid1(VALU_DEP_1)
	v_subrev_nc_u32_e32 v163, 29, v162
	v_sub_nc_u32_e32 v162, 30, v162
	v_dual_cndmask_b32 v162, v164, v162 :: v_dual_lshlrev_b32 v163, v163, v160
	v_lshlrev_b32_e32 v160, 24, v160
	s_delay_alu instid0(VALU_DEP_2) | instskip(NEXT) | instid1(VALU_DEP_3)
	v_and_b32_e32 v163, 3, v163
	v_lshl_add_u32 v162, v162, 23, 0x37800000
	s_delay_alu instid0(VALU_DEP_2) | instskip(NEXT) | instid1(VALU_DEP_1)
	v_dual_cndmask_b32 v145, v145, v163 :: v_dual_and_b32 v160, 0x80000000, v160
	v_lshlrev_b32_e32 v145, 21, v145
	s_delay_alu instid0(VALU_DEP_1)
	v_or3_b32 v145, v160, v162, v145
.LBB2_4722:                             ;   in Loop: Header=BB2_4592 Depth=3
	s_or_b32 exec_lo, exec_lo, s17
	s_delay_alu instid0(VALU_DEP_1) | instskip(NEXT) | instid1(VALU_DEP_1)
	v_add_f32_e32 v160, v161, v145
	v_and_b32_e32 v145, 0x7f800000, v160
	s_delay_alu instid0(VALU_DEP_1)
	v_cmp_ne_u32_e32 vcc_lo, 0x7f800000, v145
	v_mov_b32_e32 v145, 0x80
	s_and_saveexec_b32 s17, vcc_lo
	s_cbranch_execz .LBB2_4730
; %bb.4723:                             ;   in Loop: Header=BB2_4592 Depth=3
	v_mov_b32_e32 v145, 0
	s_mov_b32 s30, exec_lo
	v_cmpx_ne_u32_e32 0, v160
	s_cbranch_execz .LBB2_4729
; %bb.4724:                             ;   in Loop: Header=BB2_4592 Depth=3
	v_bfe_u32 v145, v160, 23, 8
	s_delay_alu instid0(VALU_DEP_1) | instskip(SKIP_1) | instid1(VALU_DEP_2)
	v_sub_nc_u32_e32 v162, 0x70, v145
	v_cmp_gt_u32_e32 vcc_lo, 0x71, v145
	v_dual_cndmask_b32 v162, 0, v162 :: v_dual_and_b32 v161, 0x7fffff, v160
	s_delay_alu instid0(VALU_DEP_1) | instskip(SKIP_2) | instid1(VALU_DEP_4)
	v_or_b32_e32 v163, 0x800000, v161
	v_cmp_eq_u32_e32 vcc_lo, 0, v145
	v_add_nc_u32_e32 v145, 0xffffff91, v145
	v_cndmask_b32_e64 v162, v162, 0x6f, vcc_lo
	s_delay_alu instid0(VALU_DEP_4) | instskip(NEXT) | instid1(VALU_DEP_3)
	v_cndmask_b32_e32 v161, v163, v161, vcc_lo
	v_cndmask_b32_e64 v145, v145, 0xffffff92, vcc_lo
	s_delay_alu instid0(VALU_DEP_3) | instskip(NEXT) | instid1(VALU_DEP_3)
	v_lshl_add_u32 v163, 0x200000, v162, -1
	v_lshrrev_b32_e32 v164, v162, v161
	v_lshlrev_b32_e64 v166, v162, 0x100000
	s_delay_alu instid0(VALU_DEP_4) | instskip(NEXT) | instid1(VALU_DEP_4)
	v_add_nc_u32_e32 v162, v162, v145
	v_and_b32_e32 v161, v163, v161
	s_delay_alu instid0(VALU_DEP_4) | instskip(NEXT) | instid1(VALU_DEP_2)
	v_bfe_u32 v165, v164, 21, 1
	v_cmp_eq_u32_e64 s13, v161, v166
	s_delay_alu instid0(VALU_DEP_2) | instskip(NEXT) | instid1(VALU_DEP_1)
	v_add_nc_u32_e32 v163, -1, v165
	v_cndmask_b32_e64 v161, 0, v163, s13
	v_lshrrev_b32_e32 v163, 23, v164
	s_mov_b32 s13, exec_lo
	s_delay_alu instid0(VALU_DEP_2) | instskip(NEXT) | instid1(VALU_DEP_2)
	v_add_nc_u32_e32 v161, v161, v164
	v_xor_b32_e32 v163, 1, v163
	s_delay_alu instid0(VALU_DEP_2) | instskip(NEXT) | instid1(VALU_DEP_1)
	v_and_b32_e32 v145, 0x1fffff, v161
	v_add_nc_u32_e32 v161, v145, v164
                                        ; implicit-def: $vgpr145
	s_delay_alu instid0(VALU_DEP_3)
	v_cmpx_ne_u32_e64 v162, v163
	s_xor_b32 s13, exec_lo, s13
; %bb.4725:                             ;   in Loop: Header=BB2_4592 Depth=3
	s_delay_alu instid0(VALU_DEP_2) | instskip(SKIP_2) | instid1(VALU_DEP_2)
	v_cmp_lt_u32_e32 vcc_lo, 0xffffff, v161
	v_sub_nc_u32_e32 v145, v162, v163
	v_cndmask_b32_e64 v162, 0, 1, vcc_lo
	v_add_co_ci_u32_e32 v145, vcc_lo, 0, v145, vcc_lo
	s_delay_alu instid0(VALU_DEP_2)
	v_lshrrev_b32_e32 v161, v162, v161
; %bb.4726:                             ;   in Loop: Header=BB2_4592 Depth=3
	s_and_not1_saveexec_b32 s13, s13
; %bb.4727:                             ;   in Loop: Header=BB2_4592 Depth=3
	s_delay_alu instid0(VALU_DEP_1)
	v_bfe_u32 v145, v161, 23, 1
; %bb.4728:                             ;   in Loop: Header=BB2_4592 Depth=3
	s_or_b32 exec_lo, exec_lo, s13
	v_lshrrev_b32_e32 v161, 21, v161
	s_delay_alu instid0(VALU_DEP_2) | instskip(SKIP_2) | instid1(VALU_DEP_2)
	v_cmp_gt_i32_e32 vcc_lo, 32, v145
	v_lshrrev_b32_e32 v160, 24, v160
	v_min_i32_e32 v162, 31, v145
	v_dual_cndmask_b32 v161, 3, v161 :: v_dual_and_b32 v160, 0x80, v160
	s_delay_alu instid0(VALU_DEP_1) | instskip(SKIP_1) | instid1(VALU_DEP_2)
	v_or_b32_e32 v145, v145, v161
	v_and_b32_e32 v163, 3, v161
	v_cmp_ne_u32_e32 vcc_lo, 0, v145
	v_lshlrev_b32_e32 v162, 2, v162
	s_delay_alu instid0(VALU_DEP_1) | instskip(NEXT) | instid1(VALU_DEP_1)
	v_or3_b32 v160, v162, v160, v163
	v_cndmask_b32_e32 v145, 0, v160, vcc_lo
.LBB2_4729:                             ;   in Loop: Header=BB2_4592 Depth=3
	s_or_b32 exec_lo, exec_lo, s30
.LBB2_4730:                             ;   in Loop: Header=BB2_4592 Depth=3
	s_delay_alu instid0(SALU_CYCLE_1) | instskip(SKIP_3) | instid1(VALU_DEP_1)
	s_or_b32 exec_lo, exec_lo, s17
	v_and_b32_e32 v161, 0xff, v147
	s_mov_b32 s13, 0
	s_mov_b32 s30, exec_lo
                                        ; implicit-def: $sgpr17
	v_cmpx_lt_i16_e64 0x7f, v161
	s_xor_b32 s30, exec_lo, s30
	s_cbranch_execnz .LBB2_4875
; %bb.4731:                             ;   in Loop: Header=BB2_4592 Depth=3
	s_or_saveexec_b32 s30, s30
	v_mov_b32_e32 v160, s17
	s_xor_b32 exec_lo, exec_lo, s30
	s_cbranch_execnz .LBB2_4878
.LBB2_4732:                             ;   in Loop: Header=BB2_4592 Depth=3
	s_or_b32 exec_lo, exec_lo, s30
	s_and_saveexec_b32 s17, s13
	s_cbranch_execz .LBB2_4734
.LBB2_4733:                             ;   in Loop: Header=BB2_4592 Depth=3
	v_lshrrev_b16 v163, 2, v147
	s_delay_alu instid0(VALU_DEP_1) | instskip(NEXT) | instid1(VALU_DEP_1)
	v_and_b32_e32 v163, 31, v163
	v_cmp_eq_u32_e32 vcc_lo, 0, v163
	v_and_b32_e32 v160, 3, v147
	s_delay_alu instid0(VALU_DEP_1) | instskip(NEXT) | instid1(VALU_DEP_1)
	v_clz_i32_u32_e32 v161, v160
	v_min_u32_e32 v161, 32, v161
	s_delay_alu instid0(VALU_DEP_1) | instskip(SKIP_1) | instid1(VALU_DEP_1)
	v_subrev_nc_u32_e32 v162, 29, v161
	v_sub_nc_u32_e32 v161, 30, v161
	v_dual_cndmask_b32 v161, v163, v161 :: v_dual_lshlrev_b32 v162, v162, v147
	v_lshlrev_b32_e32 v147, 24, v147
	s_delay_alu instid0(VALU_DEP_2) | instskip(NEXT) | instid1(VALU_DEP_3)
	v_and_b32_e32 v162, 3, v162
	v_lshl_add_u32 v161, v161, 23, 0x37800000
	s_delay_alu instid0(VALU_DEP_2) | instskip(NEXT) | instid1(VALU_DEP_1)
	v_dual_cndmask_b32 v160, v160, v162 :: v_dual_and_b32 v147, 0x80000000, v147
	v_lshlrev_b32_e32 v160, 21, v160
	s_delay_alu instid0(VALU_DEP_1)
	v_or3_b32 v160, v147, v161, v160
.LBB2_4734:                             ;   in Loop: Header=BB2_4592 Depth=3
	s_or_b32 exec_lo, exec_lo, s17
	s_waitcnt vmcnt(5) lgkmcnt(5)
	v_and_b32_e32 v161, 0xff, v151
	s_mov_b32 s13, 0
	s_mov_b32 s30, exec_lo
                                        ; implicit-def: $sgpr17
	s_delay_alu instid0(VALU_DEP_1)
	v_cmpx_lt_i16_e64 0x7f, v161
	s_xor_b32 s30, exec_lo, s30
	s_cbranch_execnz .LBB2_4879
; %bb.4735:                             ;   in Loop: Header=BB2_4592 Depth=3
	s_or_saveexec_b32 s30, s30
	v_mov_b32_e32 v147, s17
	s_xor_b32 exec_lo, exec_lo, s30
	s_cbranch_execnz .LBB2_4882
.LBB2_4736:                             ;   in Loop: Header=BB2_4592 Depth=3
	s_or_b32 exec_lo, exec_lo, s30
	s_and_saveexec_b32 s17, s13
	s_cbranch_execz .LBB2_4738
.LBB2_4737:                             ;   in Loop: Header=BB2_4592 Depth=3
	v_and_b32_e32 v147, 3, v151
	v_lshrrev_b16 v163, 2, v151
	s_delay_alu instid0(VALU_DEP_2) | instskip(NEXT) | instid1(VALU_DEP_2)
	v_clz_i32_u32_e32 v161, v147
	v_and_b32_e32 v163, 31, v163
	s_delay_alu instid0(VALU_DEP_2) | instskip(NEXT) | instid1(VALU_DEP_2)
	v_min_u32_e32 v161, 32, v161
	v_cmp_eq_u32_e32 vcc_lo, 0, v163
	s_delay_alu instid0(VALU_DEP_2) | instskip(SKIP_1) | instid1(VALU_DEP_1)
	v_subrev_nc_u32_e32 v162, 29, v161
	v_sub_nc_u32_e32 v161, 30, v161
	v_dual_cndmask_b32 v161, v163, v161 :: v_dual_lshlrev_b32 v162, v162, v151
	v_lshlrev_b32_e32 v151, 24, v151
	s_delay_alu instid0(VALU_DEP_2) | instskip(NEXT) | instid1(VALU_DEP_3)
	v_and_b32_e32 v162, 3, v162
	v_lshl_add_u32 v161, v161, 23, 0x37800000
	s_delay_alu instid0(VALU_DEP_3) | instskip(NEXT) | instid1(VALU_DEP_3)
	v_and_b32_e32 v151, 0x80000000, v151
	v_cndmask_b32_e32 v147, v147, v162, vcc_lo
	s_delay_alu instid0(VALU_DEP_1) | instskip(NEXT) | instid1(VALU_DEP_1)
	v_lshlrev_b32_e32 v147, 21, v147
	v_or3_b32 v147, v151, v161, v147
.LBB2_4738:                             ;   in Loop: Header=BB2_4592 Depth=3
	s_or_b32 exec_lo, exec_lo, s17
	s_delay_alu instid0(VALU_DEP_1) | instskip(NEXT) | instid1(VALU_DEP_1)
	v_add_f32_e32 v151, v160, v147
	v_and_b32_e32 v147, 0x7f800000, v151
	s_delay_alu instid0(VALU_DEP_1)
	v_cmp_ne_u32_e32 vcc_lo, 0x7f800000, v147
	v_mov_b32_e32 v147, 0x80
	s_and_saveexec_b32 s17, vcc_lo
	s_cbranch_execz .LBB2_4746
; %bb.4739:                             ;   in Loop: Header=BB2_4592 Depth=3
	v_mov_b32_e32 v147, 0
	s_mov_b32 s30, exec_lo
	v_cmpx_ne_u32_e32 0, v151
	s_cbranch_execz .LBB2_4745
; %bb.4740:                             ;   in Loop: Header=BB2_4592 Depth=3
	v_bfe_u32 v147, v151, 23, 8
	s_delay_alu instid0(VALU_DEP_1) | instskip(SKIP_1) | instid1(VALU_DEP_2)
	v_sub_nc_u32_e32 v161, 0x70, v147
	v_cmp_gt_u32_e32 vcc_lo, 0x71, v147
	v_dual_cndmask_b32 v161, 0, v161 :: v_dual_and_b32 v160, 0x7fffff, v151
	s_delay_alu instid0(VALU_DEP_1) | instskip(SKIP_2) | instid1(VALU_DEP_4)
	v_or_b32_e32 v162, 0x800000, v160
	v_cmp_eq_u32_e32 vcc_lo, 0, v147
	v_add_nc_u32_e32 v147, 0xffffff91, v147
	v_cndmask_b32_e64 v161, v161, 0x6f, vcc_lo
	s_delay_alu instid0(VALU_DEP_4) | instskip(NEXT) | instid1(VALU_DEP_3)
	v_cndmask_b32_e32 v160, v162, v160, vcc_lo
	v_cndmask_b32_e64 v147, v147, 0xffffff92, vcc_lo
	s_delay_alu instid0(VALU_DEP_3) | instskip(NEXT) | instid1(VALU_DEP_3)
	v_lshl_add_u32 v162, 0x200000, v161, -1
	v_lshrrev_b32_e32 v163, v161, v160
	v_lshlrev_b32_e64 v165, v161, 0x100000
	s_delay_alu instid0(VALU_DEP_4) | instskip(NEXT) | instid1(VALU_DEP_4)
	v_add_nc_u32_e32 v161, v161, v147
	v_and_b32_e32 v160, v162, v160
	s_delay_alu instid0(VALU_DEP_4) | instskip(NEXT) | instid1(VALU_DEP_2)
	v_bfe_u32 v164, v163, 21, 1
	v_cmp_eq_u32_e64 s13, v160, v165
	s_delay_alu instid0(VALU_DEP_2) | instskip(NEXT) | instid1(VALU_DEP_1)
	v_add_nc_u32_e32 v162, -1, v164
	v_cndmask_b32_e64 v160, 0, v162, s13
	v_lshrrev_b32_e32 v162, 23, v163
	s_mov_b32 s13, exec_lo
	s_delay_alu instid0(VALU_DEP_2) | instskip(NEXT) | instid1(VALU_DEP_2)
	v_add_nc_u32_e32 v160, v160, v163
	v_xor_b32_e32 v162, 1, v162
	s_delay_alu instid0(VALU_DEP_2) | instskip(NEXT) | instid1(VALU_DEP_1)
	v_and_b32_e32 v147, 0x1fffff, v160
	v_add_nc_u32_e32 v160, v147, v163
                                        ; implicit-def: $vgpr147
	s_delay_alu instid0(VALU_DEP_3)
	v_cmpx_ne_u32_e64 v161, v162
	s_xor_b32 s13, exec_lo, s13
; %bb.4741:                             ;   in Loop: Header=BB2_4592 Depth=3
	s_delay_alu instid0(VALU_DEP_2) | instskip(SKIP_2) | instid1(VALU_DEP_2)
	v_cmp_lt_u32_e32 vcc_lo, 0xffffff, v160
	v_sub_nc_u32_e32 v147, v161, v162
	v_cndmask_b32_e64 v161, 0, 1, vcc_lo
	v_add_co_ci_u32_e32 v147, vcc_lo, 0, v147, vcc_lo
	s_delay_alu instid0(VALU_DEP_2)
	v_lshrrev_b32_e32 v160, v161, v160
; %bb.4742:                             ;   in Loop: Header=BB2_4592 Depth=3
	s_and_not1_saveexec_b32 s13, s13
; %bb.4743:                             ;   in Loop: Header=BB2_4592 Depth=3
	s_delay_alu instid0(VALU_DEP_1)
	v_bfe_u32 v147, v160, 23, 1
; %bb.4744:                             ;   in Loop: Header=BB2_4592 Depth=3
	s_or_b32 exec_lo, exec_lo, s13
	v_lshrrev_b32_e32 v160, 21, v160
	s_delay_alu instid0(VALU_DEP_2) | instskip(SKIP_2) | instid1(VALU_DEP_2)
	v_cmp_gt_i32_e32 vcc_lo, 32, v147
	v_lshrrev_b32_e32 v151, 24, v151
	v_min_i32_e32 v161, 31, v147
	v_dual_cndmask_b32 v160, 3, v160 :: v_dual_and_b32 v151, 0x80, v151
	s_delay_alu instid0(VALU_DEP_2) | instskip(NEXT) | instid1(VALU_DEP_2)
	v_lshlrev_b32_e32 v161, 2, v161
	v_or_b32_e32 v147, v147, v160
	s_delay_alu instid0(VALU_DEP_1) | instskip(SKIP_1) | instid1(VALU_DEP_1)
	v_cmp_ne_u32_e32 vcc_lo, 0, v147
	v_and_b32_e32 v162, 3, v160
	v_or3_b32 v151, v161, v151, v162
	s_delay_alu instid0(VALU_DEP_1)
	v_cndmask_b32_e32 v147, 0, v151, vcc_lo
.LBB2_4745:                             ;   in Loop: Header=BB2_4592 Depth=3
	s_or_b32 exec_lo, exec_lo, s30
.LBB2_4746:                             ;   in Loop: Header=BB2_4592 Depth=3
	s_delay_alu instid0(SALU_CYCLE_1) | instskip(SKIP_3) | instid1(VALU_DEP_1)
	s_or_b32 exec_lo, exec_lo, s17
	v_and_b32_e32 v160, 0xff, v146
	s_mov_b32 s13, 0
	s_mov_b32 s30, exec_lo
                                        ; implicit-def: $sgpr17
	v_cmpx_lt_i16_e64 0x7f, v160
	s_xor_b32 s30, exec_lo, s30
	s_cbranch_execnz .LBB2_4883
; %bb.4747:                             ;   in Loop: Header=BB2_4592 Depth=3
	s_or_saveexec_b32 s30, s30
	v_mov_b32_e32 v151, s17
	s_xor_b32 exec_lo, exec_lo, s30
	s_cbranch_execnz .LBB2_4886
.LBB2_4748:                             ;   in Loop: Header=BB2_4592 Depth=3
	s_or_b32 exec_lo, exec_lo, s30
	s_and_saveexec_b32 s17, s13
	s_cbranch_execz .LBB2_4750
.LBB2_4749:                             ;   in Loop: Header=BB2_4592 Depth=3
	v_lshrrev_b16 v162, 2, v146
	s_delay_alu instid0(VALU_DEP_1) | instskip(NEXT) | instid1(VALU_DEP_1)
	v_and_b32_e32 v162, 31, v162
	v_cmp_eq_u32_e32 vcc_lo, 0, v162
	v_and_b32_e32 v151, 3, v146
	s_delay_alu instid0(VALU_DEP_1) | instskip(NEXT) | instid1(VALU_DEP_1)
	v_clz_i32_u32_e32 v160, v151
	v_min_u32_e32 v160, 32, v160
	s_delay_alu instid0(VALU_DEP_1) | instskip(SKIP_1) | instid1(VALU_DEP_1)
	v_subrev_nc_u32_e32 v161, 29, v160
	v_sub_nc_u32_e32 v160, 30, v160
	v_dual_cndmask_b32 v160, v162, v160 :: v_dual_lshlrev_b32 v161, v161, v146
	v_lshlrev_b32_e32 v146, 24, v146
	s_delay_alu instid0(VALU_DEP_2) | instskip(NEXT) | instid1(VALU_DEP_3)
	v_and_b32_e32 v161, 3, v161
	v_lshl_add_u32 v160, v160, 23, 0x37800000
	s_delay_alu instid0(VALU_DEP_2) | instskip(NEXT) | instid1(VALU_DEP_1)
	v_dual_cndmask_b32 v151, v151, v161 :: v_dual_and_b32 v146, 0x80000000, v146
	v_lshlrev_b32_e32 v151, 21, v151
	s_delay_alu instid0(VALU_DEP_1)
	v_or3_b32 v151, v146, v160, v151
.LBB2_4750:                             ;   in Loop: Header=BB2_4592 Depth=3
	s_or_b32 exec_lo, exec_lo, s17
	s_waitcnt vmcnt(4) lgkmcnt(4)
	v_and_b32_e32 v160, 0xff, v150
	s_mov_b32 s13, 0
	s_mov_b32 s30, exec_lo
                                        ; implicit-def: $sgpr17
	s_delay_alu instid0(VALU_DEP_1)
	v_cmpx_lt_i16_e64 0x7f, v160
	s_xor_b32 s30, exec_lo, s30
	s_cbranch_execnz .LBB2_4887
; %bb.4751:                             ;   in Loop: Header=BB2_4592 Depth=3
	s_or_saveexec_b32 s30, s30
	v_mov_b32_e32 v146, s17
	s_xor_b32 exec_lo, exec_lo, s30
	s_cbranch_execnz .LBB2_4890
.LBB2_4752:                             ;   in Loop: Header=BB2_4592 Depth=3
	s_or_b32 exec_lo, exec_lo, s30
	s_and_saveexec_b32 s17, s13
	s_cbranch_execz .LBB2_4754
.LBB2_4753:                             ;   in Loop: Header=BB2_4592 Depth=3
	v_and_b32_e32 v146, 3, v150
	v_lshrrev_b16 v162, 2, v150
	s_delay_alu instid0(VALU_DEP_2) | instskip(NEXT) | instid1(VALU_DEP_2)
	v_clz_i32_u32_e32 v160, v146
	v_and_b32_e32 v162, 31, v162
	s_delay_alu instid0(VALU_DEP_2) | instskip(NEXT) | instid1(VALU_DEP_2)
	v_min_u32_e32 v160, 32, v160
	v_cmp_eq_u32_e32 vcc_lo, 0, v162
	s_delay_alu instid0(VALU_DEP_2) | instskip(SKIP_1) | instid1(VALU_DEP_1)
	v_subrev_nc_u32_e32 v161, 29, v160
	v_sub_nc_u32_e32 v160, 30, v160
	v_dual_cndmask_b32 v160, v162, v160 :: v_dual_lshlrev_b32 v161, v161, v150
	v_lshlrev_b32_e32 v150, 24, v150
	s_delay_alu instid0(VALU_DEP_2) | instskip(NEXT) | instid1(VALU_DEP_3)
	v_and_b32_e32 v161, 3, v161
	v_lshl_add_u32 v160, v160, 23, 0x37800000
	s_delay_alu instid0(VALU_DEP_3) | instskip(NEXT) | instid1(VALU_DEP_3)
	v_and_b32_e32 v150, 0x80000000, v150
	v_cndmask_b32_e32 v146, v146, v161, vcc_lo
	s_delay_alu instid0(VALU_DEP_1) | instskip(NEXT) | instid1(VALU_DEP_1)
	v_lshlrev_b32_e32 v146, 21, v146
	v_or3_b32 v146, v150, v160, v146
.LBB2_4754:                             ;   in Loop: Header=BB2_4592 Depth=3
	s_or_b32 exec_lo, exec_lo, s17
	s_delay_alu instid0(VALU_DEP_1) | instskip(NEXT) | instid1(VALU_DEP_1)
	v_add_f32_e32 v150, v151, v146
	v_and_b32_e32 v146, 0x7f800000, v150
	s_delay_alu instid0(VALU_DEP_1)
	v_cmp_ne_u32_e32 vcc_lo, 0x7f800000, v146
	v_mov_b32_e32 v146, 0x80
	s_and_saveexec_b32 s17, vcc_lo
	s_cbranch_execz .LBB2_4762
; %bb.4755:                             ;   in Loop: Header=BB2_4592 Depth=3
	v_mov_b32_e32 v146, 0
	s_mov_b32 s30, exec_lo
	v_cmpx_ne_u32_e32 0, v150
	s_cbranch_execz .LBB2_4761
; %bb.4756:                             ;   in Loop: Header=BB2_4592 Depth=3
	v_bfe_u32 v146, v150, 23, 8
	s_delay_alu instid0(VALU_DEP_1) | instskip(SKIP_1) | instid1(VALU_DEP_2)
	v_sub_nc_u32_e32 v160, 0x70, v146
	v_cmp_gt_u32_e32 vcc_lo, 0x71, v146
	v_dual_cndmask_b32 v160, 0, v160 :: v_dual_and_b32 v151, 0x7fffff, v150
	s_delay_alu instid0(VALU_DEP_1) | instskip(SKIP_2) | instid1(VALU_DEP_4)
	v_or_b32_e32 v161, 0x800000, v151
	v_cmp_eq_u32_e32 vcc_lo, 0, v146
	v_add_nc_u32_e32 v146, 0xffffff91, v146
	v_cndmask_b32_e64 v160, v160, 0x6f, vcc_lo
	s_delay_alu instid0(VALU_DEP_4) | instskip(NEXT) | instid1(VALU_DEP_3)
	v_cndmask_b32_e32 v151, v161, v151, vcc_lo
	v_cndmask_b32_e64 v146, v146, 0xffffff92, vcc_lo
	s_delay_alu instid0(VALU_DEP_3) | instskip(NEXT) | instid1(VALU_DEP_3)
	v_lshl_add_u32 v161, 0x200000, v160, -1
	v_lshrrev_b32_e32 v162, v160, v151
	v_lshlrev_b32_e64 v164, v160, 0x100000
	s_delay_alu instid0(VALU_DEP_4) | instskip(NEXT) | instid1(VALU_DEP_4)
	v_add_nc_u32_e32 v160, v160, v146
	v_and_b32_e32 v151, v161, v151
	s_delay_alu instid0(VALU_DEP_4) | instskip(NEXT) | instid1(VALU_DEP_2)
	v_bfe_u32 v163, v162, 21, 1
	v_cmp_eq_u32_e64 s13, v151, v164
	s_delay_alu instid0(VALU_DEP_2) | instskip(NEXT) | instid1(VALU_DEP_1)
	v_add_nc_u32_e32 v161, -1, v163
	v_cndmask_b32_e64 v151, 0, v161, s13
	v_lshrrev_b32_e32 v161, 23, v162
	s_mov_b32 s13, exec_lo
	s_delay_alu instid0(VALU_DEP_2) | instskip(NEXT) | instid1(VALU_DEP_2)
	v_add_nc_u32_e32 v151, v151, v162
	v_xor_b32_e32 v161, 1, v161
	s_delay_alu instid0(VALU_DEP_2) | instskip(NEXT) | instid1(VALU_DEP_1)
	v_and_b32_e32 v146, 0x1fffff, v151
	v_add_nc_u32_e32 v151, v146, v162
                                        ; implicit-def: $vgpr146
	s_delay_alu instid0(VALU_DEP_3)
	v_cmpx_ne_u32_e64 v160, v161
	s_xor_b32 s13, exec_lo, s13
; %bb.4757:                             ;   in Loop: Header=BB2_4592 Depth=3
	s_delay_alu instid0(VALU_DEP_2) | instskip(SKIP_2) | instid1(VALU_DEP_2)
	v_cmp_lt_u32_e32 vcc_lo, 0xffffff, v151
	v_sub_nc_u32_e32 v146, v160, v161
	v_cndmask_b32_e64 v160, 0, 1, vcc_lo
	v_add_co_ci_u32_e32 v146, vcc_lo, 0, v146, vcc_lo
	s_delay_alu instid0(VALU_DEP_2)
	v_lshrrev_b32_e32 v151, v160, v151
; %bb.4758:                             ;   in Loop: Header=BB2_4592 Depth=3
	s_and_not1_saveexec_b32 s13, s13
; %bb.4759:                             ;   in Loop: Header=BB2_4592 Depth=3
	s_delay_alu instid0(VALU_DEP_1)
	v_bfe_u32 v146, v151, 23, 1
; %bb.4760:                             ;   in Loop: Header=BB2_4592 Depth=3
	s_or_b32 exec_lo, exec_lo, s13
	v_lshrrev_b32_e32 v151, 21, v151
	s_delay_alu instid0(VALU_DEP_2) | instskip(SKIP_2) | instid1(VALU_DEP_2)
	v_cmp_gt_i32_e32 vcc_lo, 32, v146
	v_lshrrev_b32_e32 v150, 24, v150
	v_min_i32_e32 v160, 31, v146
	v_dual_cndmask_b32 v151, 3, v151 :: v_dual_and_b32 v150, 0x80, v150
	s_delay_alu instid0(VALU_DEP_2) | instskip(NEXT) | instid1(VALU_DEP_2)
	v_lshlrev_b32_e32 v160, 2, v160
	v_or_b32_e32 v146, v146, v151
	s_delay_alu instid0(VALU_DEP_1) | instskip(SKIP_1) | instid1(VALU_DEP_1)
	v_cmp_ne_u32_e32 vcc_lo, 0, v146
	v_and_b32_e32 v161, 3, v151
	v_or3_b32 v150, v160, v150, v161
	s_delay_alu instid0(VALU_DEP_1)
	v_cndmask_b32_e32 v146, 0, v150, vcc_lo
.LBB2_4761:                             ;   in Loop: Header=BB2_4592 Depth=3
	s_or_b32 exec_lo, exec_lo, s30
.LBB2_4762:                             ;   in Loop: Header=BB2_4592 Depth=3
	s_delay_alu instid0(SALU_CYCLE_1) | instskip(SKIP_3) | instid1(VALU_DEP_1)
	s_or_b32 exec_lo, exec_lo, s17
	v_and_b32_e32 v151, 0xff, v144
	s_mov_b32 s13, 0
	s_mov_b32 s30, exec_lo
                                        ; implicit-def: $sgpr17
	v_cmpx_lt_i16_e64 0x7f, v151
	s_xor_b32 s30, exec_lo, s30
	s_cbranch_execnz .LBB2_4891
; %bb.4763:                             ;   in Loop: Header=BB2_4592 Depth=3
	s_or_saveexec_b32 s30, s30
	v_mov_b32_e32 v150, s17
	s_xor_b32 exec_lo, exec_lo, s30
	s_cbranch_execnz .LBB2_4894
.LBB2_4764:                             ;   in Loop: Header=BB2_4592 Depth=3
	s_or_b32 exec_lo, exec_lo, s30
	s_and_saveexec_b32 s17, s13
	s_cbranch_execz .LBB2_4766
.LBB2_4765:                             ;   in Loop: Header=BB2_4592 Depth=3
	v_lshrrev_b16 v161, 2, v144
	s_delay_alu instid0(VALU_DEP_1) | instskip(NEXT) | instid1(VALU_DEP_1)
	v_and_b32_e32 v161, 31, v161
	v_cmp_eq_u32_e32 vcc_lo, 0, v161
	v_and_b32_e32 v150, 3, v144
	s_delay_alu instid0(VALU_DEP_1) | instskip(NEXT) | instid1(VALU_DEP_1)
	v_clz_i32_u32_e32 v151, v150
	v_min_u32_e32 v151, 32, v151
	s_delay_alu instid0(VALU_DEP_1) | instskip(SKIP_1) | instid1(VALU_DEP_1)
	v_subrev_nc_u32_e32 v160, 29, v151
	v_sub_nc_u32_e32 v151, 30, v151
	v_dual_cndmask_b32 v151, v161, v151 :: v_dual_lshlrev_b32 v160, v160, v144
	v_lshlrev_b32_e32 v144, 24, v144
	s_delay_alu instid0(VALU_DEP_2) | instskip(NEXT) | instid1(VALU_DEP_3)
	v_and_b32_e32 v160, 3, v160
	v_lshl_add_u32 v151, v151, 23, 0x37800000
	s_delay_alu instid0(VALU_DEP_3) | instskip(NEXT) | instid1(VALU_DEP_3)
	v_and_b32_e32 v144, 0x80000000, v144
	v_cndmask_b32_e32 v150, v150, v160, vcc_lo
	s_delay_alu instid0(VALU_DEP_1) | instskip(NEXT) | instid1(VALU_DEP_1)
	v_lshlrev_b32_e32 v150, 21, v150
	v_or3_b32 v150, v144, v151, v150
.LBB2_4766:                             ;   in Loop: Header=BB2_4592 Depth=3
	s_or_b32 exec_lo, exec_lo, s17
	s_waitcnt vmcnt(3) lgkmcnt(3)
	v_and_b32_e32 v151, 0xff, v149
	s_mov_b32 s13, 0
	s_mov_b32 s30, exec_lo
                                        ; implicit-def: $sgpr17
	s_delay_alu instid0(VALU_DEP_1)
	v_cmpx_lt_i16_e64 0x7f, v151
	s_xor_b32 s30, exec_lo, s30
	s_cbranch_execnz .LBB2_4895
; %bb.4767:                             ;   in Loop: Header=BB2_4592 Depth=3
	s_or_saveexec_b32 s30, s30
	v_mov_b32_e32 v144, s17
	s_xor_b32 exec_lo, exec_lo, s30
	s_cbranch_execnz .LBB2_4898
.LBB2_4768:                             ;   in Loop: Header=BB2_4592 Depth=3
	s_or_b32 exec_lo, exec_lo, s30
	s_and_saveexec_b32 s17, s13
	s_cbranch_execz .LBB2_4770
.LBB2_4769:                             ;   in Loop: Header=BB2_4592 Depth=3
	v_lshrrev_b16 v161, 2, v149
	s_delay_alu instid0(VALU_DEP_1) | instskip(NEXT) | instid1(VALU_DEP_1)
	v_and_b32_e32 v161, 31, v161
	v_cmp_eq_u32_e32 vcc_lo, 0, v161
	v_and_b32_e32 v144, 3, v149
	s_delay_alu instid0(VALU_DEP_1) | instskip(NEXT) | instid1(VALU_DEP_1)
	v_clz_i32_u32_e32 v151, v144
	v_min_u32_e32 v151, 32, v151
	s_delay_alu instid0(VALU_DEP_1) | instskip(SKIP_1) | instid1(VALU_DEP_1)
	v_subrev_nc_u32_e32 v160, 29, v151
	v_sub_nc_u32_e32 v151, 30, v151
	v_dual_cndmask_b32 v151, v161, v151 :: v_dual_lshlrev_b32 v160, v160, v149
	v_lshlrev_b32_e32 v149, 24, v149
	s_delay_alu instid0(VALU_DEP_2) | instskip(NEXT) | instid1(VALU_DEP_3)
	v_and_b32_e32 v160, 3, v160
	v_lshl_add_u32 v151, v151, 23, 0x37800000
	s_delay_alu instid0(VALU_DEP_2) | instskip(NEXT) | instid1(VALU_DEP_1)
	v_dual_cndmask_b32 v144, v144, v160 :: v_dual_and_b32 v149, 0x80000000, v149
	v_lshlrev_b32_e32 v144, 21, v144
	s_delay_alu instid0(VALU_DEP_1)
	v_or3_b32 v144, v149, v151, v144
.LBB2_4770:                             ;   in Loop: Header=BB2_4592 Depth=3
	s_or_b32 exec_lo, exec_lo, s17
	s_delay_alu instid0(VALU_DEP_1) | instskip(NEXT) | instid1(VALU_DEP_1)
	v_add_f32_e32 v149, v150, v144
	v_and_b32_e32 v144, 0x7f800000, v149
	s_delay_alu instid0(VALU_DEP_1)
	v_cmp_ne_u32_e32 vcc_lo, 0x7f800000, v144
	v_mov_b32_e32 v144, 0x80
	s_and_saveexec_b32 s17, vcc_lo
	s_cbranch_execz .LBB2_4778
; %bb.4771:                             ;   in Loop: Header=BB2_4592 Depth=3
	v_mov_b32_e32 v144, 0
	s_mov_b32 s30, exec_lo
	v_cmpx_ne_u32_e32 0, v149
	s_cbranch_execz .LBB2_4777
; %bb.4772:                             ;   in Loop: Header=BB2_4592 Depth=3
	v_bfe_u32 v144, v149, 23, 8
	s_delay_alu instid0(VALU_DEP_1) | instskip(SKIP_1) | instid1(VALU_DEP_2)
	v_sub_nc_u32_e32 v151, 0x70, v144
	v_cmp_gt_u32_e32 vcc_lo, 0x71, v144
	v_dual_cndmask_b32 v151, 0, v151 :: v_dual_and_b32 v150, 0x7fffff, v149
	s_delay_alu instid0(VALU_DEP_1) | instskip(SKIP_2) | instid1(VALU_DEP_4)
	v_or_b32_e32 v160, 0x800000, v150
	v_cmp_eq_u32_e32 vcc_lo, 0, v144
	v_add_nc_u32_e32 v144, 0xffffff91, v144
	v_cndmask_b32_e64 v151, v151, 0x6f, vcc_lo
	s_delay_alu instid0(VALU_DEP_2) | instskip(SKIP_1) | instid1(VALU_DEP_3)
	v_cndmask_b32_e64 v144, v144, 0xffffff92, vcc_lo
	v_cndmask_b32_e32 v150, v160, v150, vcc_lo
	v_lshl_add_u32 v160, 0x200000, v151, -1
	v_lshlrev_b32_e64 v163, v151, 0x100000
	s_delay_alu instid0(VALU_DEP_3) | instskip(SKIP_1) | instid1(VALU_DEP_4)
	v_lshrrev_b32_e32 v161, v151, v150
	v_add_nc_u32_e32 v151, v151, v144
	v_and_b32_e32 v150, v160, v150
	s_delay_alu instid0(VALU_DEP_3) | instskip(NEXT) | instid1(VALU_DEP_2)
	v_bfe_u32 v162, v161, 21, 1
	v_cmp_eq_u32_e64 s13, v150, v163
	s_delay_alu instid0(VALU_DEP_2) | instskip(NEXT) | instid1(VALU_DEP_1)
	v_add_nc_u32_e32 v160, -1, v162
	v_cndmask_b32_e64 v150, 0, v160, s13
	v_lshrrev_b32_e32 v160, 23, v161
	s_mov_b32 s13, exec_lo
	s_delay_alu instid0(VALU_DEP_2) | instskip(NEXT) | instid1(VALU_DEP_2)
	v_add_nc_u32_e32 v150, v150, v161
	v_xor_b32_e32 v160, 1, v160
	s_delay_alu instid0(VALU_DEP_2) | instskip(NEXT) | instid1(VALU_DEP_1)
	v_and_b32_e32 v144, 0x1fffff, v150
	v_add_nc_u32_e32 v150, v144, v161
                                        ; implicit-def: $vgpr144
	s_delay_alu instid0(VALU_DEP_3)
	v_cmpx_ne_u32_e64 v151, v160
	s_xor_b32 s13, exec_lo, s13
; %bb.4773:                             ;   in Loop: Header=BB2_4592 Depth=3
	s_delay_alu instid0(VALU_DEP_2) | instskip(SKIP_2) | instid1(VALU_DEP_2)
	v_cmp_lt_u32_e32 vcc_lo, 0xffffff, v150
	v_sub_nc_u32_e32 v144, v151, v160
	v_cndmask_b32_e64 v151, 0, 1, vcc_lo
	v_add_co_ci_u32_e32 v144, vcc_lo, 0, v144, vcc_lo
	s_delay_alu instid0(VALU_DEP_2)
	v_lshrrev_b32_e32 v150, v151, v150
; %bb.4774:                             ;   in Loop: Header=BB2_4592 Depth=3
	s_and_not1_saveexec_b32 s13, s13
; %bb.4775:                             ;   in Loop: Header=BB2_4592 Depth=3
	s_delay_alu instid0(VALU_DEP_1)
	v_bfe_u32 v144, v150, 23, 1
; %bb.4776:                             ;   in Loop: Header=BB2_4592 Depth=3
	s_or_b32 exec_lo, exec_lo, s13
	v_lshrrev_b32_e32 v150, 21, v150
	s_delay_alu instid0(VALU_DEP_2) | instskip(SKIP_2) | instid1(VALU_DEP_2)
	v_cmp_gt_i32_e32 vcc_lo, 32, v144
	v_lshrrev_b32_e32 v149, 24, v149
	v_min_i32_e32 v151, 31, v144
	v_dual_cndmask_b32 v150, 3, v150 :: v_dual_and_b32 v149, 0x80, v149
	s_delay_alu instid0(VALU_DEP_1) | instskip(SKIP_1) | instid1(VALU_DEP_2)
	v_or_b32_e32 v144, v144, v150
	v_and_b32_e32 v160, 3, v150
	v_cmp_ne_u32_e32 vcc_lo, 0, v144
	v_lshlrev_b32_e32 v151, 2, v151
	s_delay_alu instid0(VALU_DEP_1) | instskip(NEXT) | instid1(VALU_DEP_1)
	v_or3_b32 v149, v151, v149, v160
	v_cndmask_b32_e32 v144, 0, v149, vcc_lo
.LBB2_4777:                             ;   in Loop: Header=BB2_4592 Depth=3
	s_or_b32 exec_lo, exec_lo, s30
.LBB2_4778:                             ;   in Loop: Header=BB2_4592 Depth=3
	s_delay_alu instid0(SALU_CYCLE_1) | instskip(SKIP_3) | instid1(VALU_DEP_1)
	s_or_b32 exec_lo, exec_lo, s17
	v_and_b32_e32 v150, 0xff, v133
	s_mov_b32 s13, 0
	s_mov_b32 s30, exec_lo
                                        ; implicit-def: $sgpr17
	v_cmpx_lt_i16_e64 0x7f, v150
	s_xor_b32 s30, exec_lo, s30
	s_cbranch_execnz .LBB2_4899
; %bb.4779:                             ;   in Loop: Header=BB2_4592 Depth=3
	s_or_saveexec_b32 s30, s30
	v_mov_b32_e32 v149, s17
	s_xor_b32 exec_lo, exec_lo, s30
	s_cbranch_execnz .LBB2_4902
.LBB2_4780:                             ;   in Loop: Header=BB2_4592 Depth=3
	s_or_b32 exec_lo, exec_lo, s30
	s_and_saveexec_b32 s17, s13
	s_cbranch_execz .LBB2_4782
.LBB2_4781:                             ;   in Loop: Header=BB2_4592 Depth=3
	v_lshrrev_b16 v160, 2, v133
	s_delay_alu instid0(VALU_DEP_1) | instskip(NEXT) | instid1(VALU_DEP_1)
	v_and_b32_e32 v160, 31, v160
	v_cmp_eq_u32_e32 vcc_lo, 0, v160
	v_and_b32_e32 v149, 3, v133
	s_delay_alu instid0(VALU_DEP_1) | instskip(NEXT) | instid1(VALU_DEP_1)
	v_clz_i32_u32_e32 v150, v149
	v_min_u32_e32 v150, 32, v150
	s_delay_alu instid0(VALU_DEP_1) | instskip(SKIP_1) | instid1(VALU_DEP_1)
	v_subrev_nc_u32_e32 v151, 29, v150
	v_sub_nc_u32_e32 v150, 30, v150
	v_dual_cndmask_b32 v150, v160, v150 :: v_dual_lshlrev_b32 v151, v151, v133
	v_lshlrev_b32_e32 v133, 24, v133
	s_delay_alu instid0(VALU_DEP_2) | instskip(NEXT) | instid1(VALU_DEP_3)
	v_and_b32_e32 v151, 3, v151
	v_lshl_add_u32 v150, v150, 23, 0x37800000
	s_delay_alu instid0(VALU_DEP_3) | instskip(NEXT) | instid1(VALU_DEP_3)
	v_and_b32_e32 v133, 0x80000000, v133
	v_cndmask_b32_e32 v149, v149, v151, vcc_lo
	s_delay_alu instid0(VALU_DEP_1) | instskip(NEXT) | instid1(VALU_DEP_1)
	v_lshlrev_b32_e32 v149, 21, v149
	v_or3_b32 v149, v133, v150, v149
.LBB2_4782:                             ;   in Loop: Header=BB2_4592 Depth=3
	s_or_b32 exec_lo, exec_lo, s17
	s_waitcnt vmcnt(2) lgkmcnt(2)
	v_and_b32_e32 v150, 0xff, v148
	s_mov_b32 s13, 0
	s_mov_b32 s30, exec_lo
                                        ; implicit-def: $sgpr17
	s_delay_alu instid0(VALU_DEP_1)
	v_cmpx_lt_i16_e64 0x7f, v150
	s_xor_b32 s30, exec_lo, s30
	s_cbranch_execnz .LBB2_4903
; %bb.4783:                             ;   in Loop: Header=BB2_4592 Depth=3
	s_or_saveexec_b32 s30, s30
	v_mov_b32_e32 v133, s17
	s_xor_b32 exec_lo, exec_lo, s30
	s_cbranch_execnz .LBB2_4906
.LBB2_4784:                             ;   in Loop: Header=BB2_4592 Depth=3
	s_or_b32 exec_lo, exec_lo, s30
	s_and_saveexec_b32 s17, s13
	s_cbranch_execz .LBB2_4786
.LBB2_4785:                             ;   in Loop: Header=BB2_4592 Depth=3
	v_lshrrev_b16 v160, 2, v148
	s_delay_alu instid0(VALU_DEP_1) | instskip(NEXT) | instid1(VALU_DEP_1)
	v_and_b32_e32 v160, 31, v160
	v_cmp_eq_u32_e32 vcc_lo, 0, v160
	v_and_b32_e32 v133, 3, v148
	s_delay_alu instid0(VALU_DEP_1) | instskip(NEXT) | instid1(VALU_DEP_1)
	v_clz_i32_u32_e32 v150, v133
	v_min_u32_e32 v150, 32, v150
	s_delay_alu instid0(VALU_DEP_1) | instskip(SKIP_1) | instid1(VALU_DEP_1)
	v_subrev_nc_u32_e32 v151, 29, v150
	v_sub_nc_u32_e32 v150, 30, v150
	v_dual_cndmask_b32 v150, v160, v150 :: v_dual_lshlrev_b32 v151, v151, v148
	v_lshlrev_b32_e32 v148, 24, v148
	s_delay_alu instid0(VALU_DEP_2) | instskip(NEXT) | instid1(VALU_DEP_3)
	v_and_b32_e32 v151, 3, v151
	v_lshl_add_u32 v150, v150, 23, 0x37800000
	s_delay_alu instid0(VALU_DEP_2) | instskip(NEXT) | instid1(VALU_DEP_1)
	v_dual_cndmask_b32 v133, v133, v151 :: v_dual_and_b32 v148, 0x80000000, v148
	v_lshlrev_b32_e32 v133, 21, v133
	s_delay_alu instid0(VALU_DEP_1)
	v_or3_b32 v133, v148, v150, v133
.LBB2_4786:                             ;   in Loop: Header=BB2_4592 Depth=3
	s_or_b32 exec_lo, exec_lo, s17
	s_delay_alu instid0(VALU_DEP_1) | instskip(NEXT) | instid1(VALU_DEP_1)
	v_add_f32_e32 v148, v149, v133
	v_and_b32_e32 v133, 0x7f800000, v148
	s_delay_alu instid0(VALU_DEP_1)
	v_cmp_ne_u32_e32 vcc_lo, 0x7f800000, v133
	v_mov_b32_e32 v133, 0x80
	s_and_saveexec_b32 s17, vcc_lo
	s_cbranch_execz .LBB2_4794
; %bb.4787:                             ;   in Loop: Header=BB2_4592 Depth=3
	v_mov_b32_e32 v133, 0
	s_mov_b32 s30, exec_lo
	v_cmpx_ne_u32_e32 0, v148
	s_cbranch_execz .LBB2_4793
; %bb.4788:                             ;   in Loop: Header=BB2_4592 Depth=3
	v_bfe_u32 v133, v148, 23, 8
	s_delay_alu instid0(VALU_DEP_1) | instskip(SKIP_1) | instid1(VALU_DEP_2)
	v_sub_nc_u32_e32 v150, 0x70, v133
	v_cmp_gt_u32_e32 vcc_lo, 0x71, v133
	v_dual_cndmask_b32 v150, 0, v150 :: v_dual_and_b32 v149, 0x7fffff, v148
	s_delay_alu instid0(VALU_DEP_1) | instskip(SKIP_2) | instid1(VALU_DEP_4)
	v_or_b32_e32 v151, 0x800000, v149
	v_cmp_eq_u32_e32 vcc_lo, 0, v133
	v_add_nc_u32_e32 v133, 0xffffff91, v133
	v_cndmask_b32_e64 v150, v150, 0x6f, vcc_lo
	s_delay_alu instid0(VALU_DEP_4) | instskip(NEXT) | instid1(VALU_DEP_3)
	v_cndmask_b32_e32 v149, v151, v149, vcc_lo
	v_cndmask_b32_e64 v133, v133, 0xffffff92, vcc_lo
	s_delay_alu instid0(VALU_DEP_3) | instskip(NEXT) | instid1(VALU_DEP_3)
	v_lshl_add_u32 v151, 0x200000, v150, -1
	v_lshrrev_b32_e32 v160, v150, v149
	v_lshlrev_b32_e64 v162, v150, 0x100000
	s_delay_alu instid0(VALU_DEP_4) | instskip(NEXT) | instid1(VALU_DEP_4)
	v_add_nc_u32_e32 v150, v150, v133
	v_and_b32_e32 v149, v151, v149
	s_delay_alu instid0(VALU_DEP_4) | instskip(NEXT) | instid1(VALU_DEP_2)
	v_bfe_u32 v161, v160, 21, 1
	v_cmp_eq_u32_e64 s13, v149, v162
	s_delay_alu instid0(VALU_DEP_2) | instskip(NEXT) | instid1(VALU_DEP_1)
	v_add_nc_u32_e32 v151, -1, v161
	v_cndmask_b32_e64 v149, 0, v151, s13
	v_lshrrev_b32_e32 v151, 23, v160
	s_mov_b32 s13, exec_lo
	s_delay_alu instid0(VALU_DEP_2) | instskip(NEXT) | instid1(VALU_DEP_2)
	v_add_nc_u32_e32 v149, v149, v160
	v_xor_b32_e32 v151, 1, v151
	s_delay_alu instid0(VALU_DEP_2) | instskip(NEXT) | instid1(VALU_DEP_1)
	v_and_b32_e32 v133, 0x1fffff, v149
	v_add_nc_u32_e32 v149, v133, v160
                                        ; implicit-def: $vgpr133
	s_delay_alu instid0(VALU_DEP_3)
	v_cmpx_ne_u32_e64 v150, v151
	s_xor_b32 s13, exec_lo, s13
; %bb.4789:                             ;   in Loop: Header=BB2_4592 Depth=3
	s_delay_alu instid0(VALU_DEP_2) | instskip(SKIP_2) | instid1(VALU_DEP_2)
	v_cmp_lt_u32_e32 vcc_lo, 0xffffff, v149
	v_sub_nc_u32_e32 v133, v150, v151
	v_cndmask_b32_e64 v150, 0, 1, vcc_lo
	v_add_co_ci_u32_e32 v133, vcc_lo, 0, v133, vcc_lo
	s_delay_alu instid0(VALU_DEP_2)
	v_lshrrev_b32_e32 v149, v150, v149
; %bb.4790:                             ;   in Loop: Header=BB2_4592 Depth=3
	s_and_not1_saveexec_b32 s13, s13
; %bb.4791:                             ;   in Loop: Header=BB2_4592 Depth=3
	s_delay_alu instid0(VALU_DEP_1)
	v_bfe_u32 v133, v149, 23, 1
; %bb.4792:                             ;   in Loop: Header=BB2_4592 Depth=3
	s_or_b32 exec_lo, exec_lo, s13
	v_lshrrev_b32_e32 v149, 21, v149
	s_delay_alu instid0(VALU_DEP_2) | instskip(SKIP_2) | instid1(VALU_DEP_2)
	v_cmp_gt_i32_e32 vcc_lo, 32, v133
	v_lshrrev_b32_e32 v148, 24, v148
	v_min_i32_e32 v150, 31, v133
	v_dual_cndmask_b32 v149, 3, v149 :: v_dual_and_b32 v148, 0x80, v148
	s_delay_alu instid0(VALU_DEP_1) | instskip(SKIP_1) | instid1(VALU_DEP_2)
	v_or_b32_e32 v133, v133, v149
	v_and_b32_e32 v151, 3, v149
	v_cmp_ne_u32_e32 vcc_lo, 0, v133
	v_lshlrev_b32_e32 v150, 2, v150
	s_delay_alu instid0(VALU_DEP_1) | instskip(NEXT) | instid1(VALU_DEP_1)
	v_or3_b32 v148, v150, v148, v151
	v_cndmask_b32_e32 v133, 0, v148, vcc_lo
.LBB2_4793:                             ;   in Loop: Header=BB2_4592 Depth=3
	s_or_b32 exec_lo, exec_lo, s30
.LBB2_4794:                             ;   in Loop: Header=BB2_4592 Depth=3
	s_delay_alu instid0(SALU_CYCLE_1) | instskip(SKIP_3) | instid1(VALU_DEP_1)
	s_or_b32 exec_lo, exec_lo, s17
	v_and_b32_e32 v149, 0xff, v132
	s_mov_b32 s13, 0
	s_mov_b32 s30, exec_lo
                                        ; implicit-def: $sgpr17
	v_cmpx_lt_i16_e64 0x7f, v149
	s_xor_b32 s30, exec_lo, s30
	s_cbranch_execnz .LBB2_4907
; %bb.4795:                             ;   in Loop: Header=BB2_4592 Depth=3
	s_or_saveexec_b32 s30, s30
	v_mov_b32_e32 v148, s17
	s_xor_b32 exec_lo, exec_lo, s30
	s_cbranch_execnz .LBB2_4910
.LBB2_4796:                             ;   in Loop: Header=BB2_4592 Depth=3
	s_or_b32 exec_lo, exec_lo, s30
	s_and_saveexec_b32 s17, s13
	s_cbranch_execz .LBB2_4798
.LBB2_4797:                             ;   in Loop: Header=BB2_4592 Depth=3
	v_lshrrev_b16 v151, 2, v132
	s_delay_alu instid0(VALU_DEP_1) | instskip(NEXT) | instid1(VALU_DEP_1)
	v_and_b32_e32 v151, 31, v151
	v_cmp_eq_u32_e32 vcc_lo, 0, v151
	v_and_b32_e32 v148, 3, v132
	s_delay_alu instid0(VALU_DEP_1) | instskip(NEXT) | instid1(VALU_DEP_1)
	v_clz_i32_u32_e32 v149, v148
	v_min_u32_e32 v149, 32, v149
	s_delay_alu instid0(VALU_DEP_1) | instskip(SKIP_1) | instid1(VALU_DEP_1)
	v_subrev_nc_u32_e32 v150, 29, v149
	v_sub_nc_u32_e32 v149, 30, v149
	v_dual_cndmask_b32 v149, v151, v149 :: v_dual_lshlrev_b32 v150, v150, v132
	v_lshlrev_b32_e32 v132, 24, v132
	s_delay_alu instid0(VALU_DEP_2) | instskip(NEXT) | instid1(VALU_DEP_3)
	v_and_b32_e32 v150, 3, v150
	v_lshl_add_u32 v149, v149, 23, 0x37800000
	s_delay_alu instid0(VALU_DEP_3) | instskip(NEXT) | instid1(VALU_DEP_3)
	v_and_b32_e32 v132, 0x80000000, v132
	v_cndmask_b32_e32 v148, v148, v150, vcc_lo
	s_delay_alu instid0(VALU_DEP_1) | instskip(NEXT) | instid1(VALU_DEP_1)
	v_lshlrev_b32_e32 v148, 21, v148
	v_or3_b32 v148, v132, v149, v148
.LBB2_4798:                             ;   in Loop: Header=BB2_4592 Depth=3
	s_or_b32 exec_lo, exec_lo, s17
	s_waitcnt vmcnt(1) lgkmcnt(1)
	v_and_b32_e32 v149, 0xff, v134
	s_mov_b32 s13, 0
	s_mov_b32 s30, exec_lo
                                        ; implicit-def: $sgpr17
	s_delay_alu instid0(VALU_DEP_1)
	v_cmpx_lt_i16_e64 0x7f, v149
	s_xor_b32 s30, exec_lo, s30
	s_cbranch_execnz .LBB2_4911
; %bb.4799:                             ;   in Loop: Header=BB2_4592 Depth=3
	s_or_saveexec_b32 s30, s30
	v_mov_b32_e32 v132, s17
	s_xor_b32 exec_lo, exec_lo, s30
	s_cbranch_execnz .LBB2_4914
.LBB2_4800:                             ;   in Loop: Header=BB2_4592 Depth=3
	s_or_b32 exec_lo, exec_lo, s30
	s_and_saveexec_b32 s17, s13
	s_cbranch_execz .LBB2_4802
.LBB2_4801:                             ;   in Loop: Header=BB2_4592 Depth=3
	v_lshrrev_b16 v151, 2, v134
	s_delay_alu instid0(VALU_DEP_1) | instskip(NEXT) | instid1(VALU_DEP_1)
	v_and_b32_e32 v151, 31, v151
	v_cmp_eq_u32_e32 vcc_lo, 0, v151
	v_and_b32_e32 v132, 3, v134
	s_delay_alu instid0(VALU_DEP_1) | instskip(NEXT) | instid1(VALU_DEP_1)
	v_clz_i32_u32_e32 v149, v132
	v_min_u32_e32 v149, 32, v149
	s_delay_alu instid0(VALU_DEP_1) | instskip(SKIP_1) | instid1(VALU_DEP_1)
	v_subrev_nc_u32_e32 v150, 29, v149
	v_sub_nc_u32_e32 v149, 30, v149
	v_dual_cndmask_b32 v149, v151, v149 :: v_dual_lshlrev_b32 v150, v150, v134
	v_lshlrev_b32_e32 v134, 24, v134
	s_delay_alu instid0(VALU_DEP_2) | instskip(NEXT) | instid1(VALU_DEP_3)
	v_and_b32_e32 v150, 3, v150
	v_lshl_add_u32 v149, v149, 23, 0x37800000
	s_delay_alu instid0(VALU_DEP_3) | instskip(NEXT) | instid1(VALU_DEP_3)
	v_and_b32_e32 v134, 0x80000000, v134
	v_cndmask_b32_e32 v132, v132, v150, vcc_lo
	s_delay_alu instid0(VALU_DEP_1) | instskip(NEXT) | instid1(VALU_DEP_1)
	v_lshlrev_b32_e32 v132, 21, v132
	v_or3_b32 v132, v134, v149, v132
.LBB2_4802:                             ;   in Loop: Header=BB2_4592 Depth=3
	s_or_b32 exec_lo, exec_lo, s17
	s_delay_alu instid0(VALU_DEP_1) | instskip(NEXT) | instid1(VALU_DEP_1)
	v_add_f32_e32 v134, v148, v132
	v_and_b32_e32 v132, 0x7f800000, v134
	s_delay_alu instid0(VALU_DEP_1)
	v_cmp_ne_u32_e32 vcc_lo, 0x7f800000, v132
	v_mov_b32_e32 v132, 0x80
	s_and_saveexec_b32 s17, vcc_lo
	s_cbranch_execz .LBB2_4810
; %bb.4803:                             ;   in Loop: Header=BB2_4592 Depth=3
	v_mov_b32_e32 v132, 0
	s_mov_b32 s30, exec_lo
	v_cmpx_ne_u32_e32 0, v134
	s_cbranch_execz .LBB2_4809
; %bb.4804:                             ;   in Loop: Header=BB2_4592 Depth=3
	v_bfe_u32 v132, v134, 23, 8
	s_delay_alu instid0(VALU_DEP_1) | instskip(SKIP_1) | instid1(VALU_DEP_2)
	v_sub_nc_u32_e32 v149, 0x70, v132
	v_cmp_gt_u32_e32 vcc_lo, 0x71, v132
	v_dual_cndmask_b32 v149, 0, v149 :: v_dual_and_b32 v148, 0x7fffff, v134
	s_delay_alu instid0(VALU_DEP_1) | instskip(SKIP_2) | instid1(VALU_DEP_4)
	v_or_b32_e32 v150, 0x800000, v148
	v_cmp_eq_u32_e32 vcc_lo, 0, v132
	v_add_nc_u32_e32 v132, 0xffffff91, v132
	v_cndmask_b32_e64 v149, v149, 0x6f, vcc_lo
	s_delay_alu instid0(VALU_DEP_4) | instskip(NEXT) | instid1(VALU_DEP_3)
	v_cndmask_b32_e32 v148, v150, v148, vcc_lo
	v_cndmask_b32_e64 v132, v132, 0xffffff92, vcc_lo
	s_delay_alu instid0(VALU_DEP_3) | instskip(NEXT) | instid1(VALU_DEP_3)
	v_lshl_add_u32 v150, 0x200000, v149, -1
	v_lshrrev_b32_e32 v151, v149, v148
	v_lshlrev_b32_e64 v161, v149, 0x100000
	s_delay_alu instid0(VALU_DEP_4) | instskip(NEXT) | instid1(VALU_DEP_4)
	v_add_nc_u32_e32 v149, v149, v132
	v_and_b32_e32 v148, v150, v148
	s_delay_alu instid0(VALU_DEP_4) | instskip(NEXT) | instid1(VALU_DEP_2)
	v_bfe_u32 v160, v151, 21, 1
	v_cmp_eq_u32_e64 s13, v148, v161
	s_delay_alu instid0(VALU_DEP_2) | instskip(NEXT) | instid1(VALU_DEP_1)
	v_add_nc_u32_e32 v150, -1, v160
	v_cndmask_b32_e64 v148, 0, v150, s13
	v_lshrrev_b32_e32 v150, 23, v151
	s_mov_b32 s13, exec_lo
	s_delay_alu instid0(VALU_DEP_2) | instskip(NEXT) | instid1(VALU_DEP_2)
	v_add_nc_u32_e32 v148, v148, v151
	v_xor_b32_e32 v150, 1, v150
	s_delay_alu instid0(VALU_DEP_2) | instskip(NEXT) | instid1(VALU_DEP_1)
	v_and_b32_e32 v132, 0x1fffff, v148
	v_add_nc_u32_e32 v148, v132, v151
                                        ; implicit-def: $vgpr132
	s_delay_alu instid0(VALU_DEP_3)
	v_cmpx_ne_u32_e64 v149, v150
	s_xor_b32 s13, exec_lo, s13
; %bb.4805:                             ;   in Loop: Header=BB2_4592 Depth=3
	s_delay_alu instid0(VALU_DEP_2) | instskip(SKIP_2) | instid1(VALU_DEP_2)
	v_cmp_lt_u32_e32 vcc_lo, 0xffffff, v148
	v_sub_nc_u32_e32 v132, v149, v150
	v_cndmask_b32_e64 v149, 0, 1, vcc_lo
	v_add_co_ci_u32_e32 v132, vcc_lo, 0, v132, vcc_lo
	s_delay_alu instid0(VALU_DEP_2)
	v_lshrrev_b32_e32 v148, v149, v148
; %bb.4806:                             ;   in Loop: Header=BB2_4592 Depth=3
	s_and_not1_saveexec_b32 s13, s13
; %bb.4807:                             ;   in Loop: Header=BB2_4592 Depth=3
	s_delay_alu instid0(VALU_DEP_1)
	v_bfe_u32 v132, v148, 23, 1
; %bb.4808:                             ;   in Loop: Header=BB2_4592 Depth=3
	s_or_b32 exec_lo, exec_lo, s13
	v_lshrrev_b32_e32 v148, 21, v148
	s_delay_alu instid0(VALU_DEP_2) | instskip(SKIP_2) | instid1(VALU_DEP_4)
	v_cmp_gt_i32_e32 vcc_lo, 32, v132
	v_lshrrev_b32_e32 v134, 24, v134
	v_min_i32_e32 v149, 31, v132
	v_cndmask_b32_e32 v148, 3, v148, vcc_lo
	s_delay_alu instid0(VALU_DEP_3) | instskip(NEXT) | instid1(VALU_DEP_3)
	v_and_b32_e32 v134, 0x80, v134
	v_lshlrev_b32_e32 v149, 2, v149
	s_delay_alu instid0(VALU_DEP_3) | instskip(SKIP_1) | instid1(VALU_DEP_2)
	v_and_b32_e32 v150, 3, v148
	v_or_b32_e32 v132, v132, v148
	v_or3_b32 v134, v149, v134, v150
	s_delay_alu instid0(VALU_DEP_2) | instskip(NEXT) | instid1(VALU_DEP_2)
	v_cmp_ne_u32_e32 vcc_lo, 0, v132
	v_cndmask_b32_e32 v132, 0, v134, vcc_lo
.LBB2_4809:                             ;   in Loop: Header=BB2_4592 Depth=3
	s_or_b32 exec_lo, exec_lo, s30
.LBB2_4810:                             ;   in Loop: Header=BB2_4592 Depth=3
	s_delay_alu instid0(SALU_CYCLE_1) | instskip(SKIP_3) | instid1(VALU_DEP_1)
	s_or_b32 exec_lo, exec_lo, s17
	v_and_b32_e32 v148, 0xff, v65
	s_mov_b32 s13, 0
	s_mov_b32 s30, exec_lo
                                        ; implicit-def: $sgpr17
	v_cmpx_lt_i16_e64 0x7f, v148
	s_xor_b32 s30, exec_lo, s30
	s_cbranch_execnz .LBB2_4915
; %bb.4811:                             ;   in Loop: Header=BB2_4592 Depth=3
	s_or_saveexec_b32 s30, s30
	v_mov_b32_e32 v134, s17
	s_xor_b32 exec_lo, exec_lo, s30
	s_cbranch_execnz .LBB2_4918
.LBB2_4812:                             ;   in Loop: Header=BB2_4592 Depth=3
	s_or_b32 exec_lo, exec_lo, s30
	s_and_saveexec_b32 s17, s13
	s_cbranch_execz .LBB2_4814
.LBB2_4813:                             ;   in Loop: Header=BB2_4592 Depth=3
	v_and_b32_e32 v134, 3, v65
	v_lshrrev_b16 v150, 2, v65
	s_delay_alu instid0(VALU_DEP_2) | instskip(NEXT) | instid1(VALU_DEP_2)
	v_clz_i32_u32_e32 v148, v134
	v_and_b32_e32 v150, 31, v150
	s_delay_alu instid0(VALU_DEP_2) | instskip(NEXT) | instid1(VALU_DEP_2)
	v_min_u32_e32 v148, 32, v148
	v_cmp_eq_u32_e32 vcc_lo, 0, v150
	s_delay_alu instid0(VALU_DEP_2) | instskip(SKIP_1) | instid1(VALU_DEP_1)
	v_subrev_nc_u32_e32 v149, 29, v148
	v_sub_nc_u32_e32 v148, 30, v148
	v_dual_cndmask_b32 v148, v150, v148 :: v_dual_lshlrev_b32 v149, v149, v65
	v_lshlrev_b32_e32 v65, 24, v65
	s_delay_alu instid0(VALU_DEP_2) | instskip(NEXT) | instid1(VALU_DEP_3)
	v_and_b32_e32 v149, 3, v149
	v_lshl_add_u32 v148, v148, 23, 0x37800000
	s_delay_alu instid0(VALU_DEP_3) | instskip(NEXT) | instid1(VALU_DEP_3)
	v_and_b32_e32 v65, 0x80000000, v65
	v_cndmask_b32_e32 v134, v134, v149, vcc_lo
	s_delay_alu instid0(VALU_DEP_1) | instskip(NEXT) | instid1(VALU_DEP_1)
	v_lshlrev_b32_e32 v134, 21, v134
	v_or3_b32 v134, v65, v148, v134
.LBB2_4814:                             ;   in Loop: Header=BB2_4592 Depth=3
	s_or_b32 exec_lo, exec_lo, s17
	s_waitcnt vmcnt(0) lgkmcnt(0)
	v_and_b32_e32 v148, 0xff, v64
	s_mov_b32 s13, 0
	s_mov_b32 s30, exec_lo
                                        ; implicit-def: $sgpr17
	s_delay_alu instid0(VALU_DEP_1)
	v_cmpx_lt_i16_e64 0x7f, v148
	s_xor_b32 s30, exec_lo, s30
	s_cbranch_execnz .LBB2_4919
; %bb.4815:                             ;   in Loop: Header=BB2_4592 Depth=3
	s_or_saveexec_b32 s30, s30
	v_mov_b32_e32 v65, s17
	s_xor_b32 exec_lo, exec_lo, s30
	s_cbranch_execnz .LBB2_4922
.LBB2_4816:                             ;   in Loop: Header=BB2_4592 Depth=3
	s_or_b32 exec_lo, exec_lo, s30
	s_and_saveexec_b32 s17, s13
	s_cbranch_execz .LBB2_4818
.LBB2_4817:                             ;   in Loop: Header=BB2_4592 Depth=3
	v_and_b32_e32 v65, 3, v64
	v_lshrrev_b16 v150, 2, v64
	s_delay_alu instid0(VALU_DEP_2) | instskip(NEXT) | instid1(VALU_DEP_1)
	v_clz_i32_u32_e32 v148, v65
	v_min_u32_e32 v148, 32, v148
	s_delay_alu instid0(VALU_DEP_1) | instskip(SKIP_1) | instid1(VALU_DEP_2)
	v_subrev_nc_u32_e32 v149, 29, v148
	v_sub_nc_u32_e32 v148, 30, v148
	v_lshlrev_b32_e32 v149, v149, v64
	v_lshlrev_b32_e32 v64, 24, v64
	s_delay_alu instid0(VALU_DEP_2) | instskip(SKIP_1) | instid1(VALU_DEP_3)
	v_and_b32_e32 v149, 3, v149
	v_and_b32_e32 v150, 31, v150
	;; [unrolled: 1-line block ×3, first 2 shown]
	s_delay_alu instid0(VALU_DEP_2) | instskip(NEXT) | instid1(VALU_DEP_4)
	v_cmp_eq_u32_e32 vcc_lo, 0, v150
	v_dual_cndmask_b32 v65, v65, v149 :: v_dual_cndmask_b32 v148, v150, v148
	s_delay_alu instid0(VALU_DEP_1) | instskip(NEXT) | instid1(VALU_DEP_2)
	v_lshlrev_b32_e32 v65, 21, v65
	v_lshl_add_u32 v148, v148, 23, 0x37800000
	s_delay_alu instid0(VALU_DEP_1)
	v_or3_b32 v65, v64, v148, v65
.LBB2_4818:                             ;   in Loop: Header=BB2_4592 Depth=3
	s_or_b32 exec_lo, exec_lo, s17
	s_delay_alu instid0(VALU_DEP_1) | instskip(NEXT) | instid1(VALU_DEP_1)
	v_add_f32_e32 v64, v134, v65
	v_and_b32_e32 v65, 0x7f800000, v64
	s_delay_alu instid0(VALU_DEP_1)
	v_cmp_ne_u32_e32 vcc_lo, 0x7f800000, v65
	v_mov_b32_e32 v65, 0x80
	s_and_saveexec_b32 s17, vcc_lo
	s_cbranch_execz .LBB2_4826
; %bb.4819:                             ;   in Loop: Header=BB2_4592 Depth=3
	v_mov_b32_e32 v65, 0
	s_mov_b32 s30, exec_lo
	v_cmpx_ne_u32_e32 0, v64
	s_cbranch_execz .LBB2_4825
; %bb.4820:                             ;   in Loop: Header=BB2_4592 Depth=3
	v_bfe_u32 v65, v64, 23, 8
	v_and_b32_e32 v134, 0x7fffff, v64
	s_delay_alu instid0(VALU_DEP_2) | instskip(SKIP_1) | instid1(VALU_DEP_3)
	v_sub_nc_u32_e32 v148, 0x70, v65
	v_cmp_gt_u32_e32 vcc_lo, 0x71, v65
	v_or_b32_e32 v149, 0x800000, v134
	s_delay_alu instid0(VALU_DEP_3) | instskip(SKIP_2) | instid1(VALU_DEP_3)
	v_cndmask_b32_e32 v148, 0, v148, vcc_lo
	v_cmp_eq_u32_e32 vcc_lo, 0, v65
	v_add_nc_u32_e32 v65, 0xffffff91, v65
	v_cndmask_b32_e64 v148, v148, 0x6f, vcc_lo
	v_cndmask_b32_e32 v134, v149, v134, vcc_lo
	s_delay_alu instid0(VALU_DEP_3) | instskip(NEXT) | instid1(VALU_DEP_3)
	v_cndmask_b32_e64 v65, v65, 0xffffff92, vcc_lo
	v_lshl_add_u32 v149, 0x200000, v148, -1
	s_delay_alu instid0(VALU_DEP_3) | instskip(SKIP_1) | instid1(VALU_DEP_4)
	v_lshrrev_b32_e32 v150, v148, v134
	v_lshlrev_b32_e64 v160, v148, 0x100000
	v_add_nc_u32_e32 v148, v148, v65
	s_delay_alu instid0(VALU_DEP_4) | instskip(NEXT) | instid1(VALU_DEP_4)
	v_and_b32_e32 v134, v149, v134
	v_bfe_u32 v151, v150, 21, 1
	s_delay_alu instid0(VALU_DEP_2) | instskip(NEXT) | instid1(VALU_DEP_2)
	v_cmp_eq_u32_e64 s13, v134, v160
	v_add_nc_u32_e32 v149, -1, v151
	s_delay_alu instid0(VALU_DEP_1) | instskip(SKIP_2) | instid1(VALU_DEP_2)
	v_cndmask_b32_e64 v134, 0, v149, s13
	v_lshrrev_b32_e32 v149, 23, v150
	s_mov_b32 s13, exec_lo
	v_add_nc_u32_e32 v134, v134, v150
	s_delay_alu instid0(VALU_DEP_2) | instskip(NEXT) | instid1(VALU_DEP_2)
	v_xor_b32_e32 v149, 1, v149
	v_and_b32_e32 v65, 0x1fffff, v134
	s_delay_alu instid0(VALU_DEP_1) | instskip(NEXT) | instid1(VALU_DEP_3)
	v_add_nc_u32_e32 v134, v65, v150
                                        ; implicit-def: $vgpr65
	v_cmpx_ne_u32_e64 v148, v149
	s_xor_b32 s13, exec_lo, s13
; %bb.4821:                             ;   in Loop: Header=BB2_4592 Depth=3
	s_delay_alu instid0(VALU_DEP_2) | instskip(SKIP_2) | instid1(VALU_DEP_2)
	v_cmp_lt_u32_e32 vcc_lo, 0xffffff, v134
	v_sub_nc_u32_e32 v65, v148, v149
	v_cndmask_b32_e64 v148, 0, 1, vcc_lo
	v_add_co_ci_u32_e32 v65, vcc_lo, 0, v65, vcc_lo
	s_delay_alu instid0(VALU_DEP_2)
	v_lshrrev_b32_e32 v134, v148, v134
; %bb.4822:                             ;   in Loop: Header=BB2_4592 Depth=3
	s_and_not1_saveexec_b32 s13, s13
; %bb.4823:                             ;   in Loop: Header=BB2_4592 Depth=3
	s_delay_alu instid0(VALU_DEP_1)
	v_bfe_u32 v65, v134, 23, 1
; %bb.4824:                             ;   in Loop: Header=BB2_4592 Depth=3
	s_or_b32 exec_lo, exec_lo, s13
	v_lshrrev_b32_e32 v134, 21, v134
	s_delay_alu instid0(VALU_DEP_2) | instskip(SKIP_2) | instid1(VALU_DEP_4)
	v_cmp_gt_i32_e32 vcc_lo, 32, v65
	v_lshrrev_b32_e32 v64, 24, v64
	v_min_i32_e32 v148, 31, v65
	v_cndmask_b32_e32 v134, 3, v134, vcc_lo
	s_delay_alu instid0(VALU_DEP_3) | instskip(NEXT) | instid1(VALU_DEP_3)
	v_and_b32_e32 v64, 0x80, v64
	v_lshlrev_b32_e32 v148, 2, v148
	s_delay_alu instid0(VALU_DEP_3) | instskip(SKIP_1) | instid1(VALU_DEP_2)
	v_and_b32_e32 v149, 3, v134
	v_or_b32_e32 v65, v65, v134
	v_or3_b32 v64, v148, v64, v149
	s_delay_alu instid0(VALU_DEP_2) | instskip(NEXT) | instid1(VALU_DEP_2)
	v_cmp_ne_u32_e32 vcc_lo, 0, v65
	v_cndmask_b32_e32 v65, 0, v64, vcc_lo
.LBB2_4825:                             ;   in Loop: Header=BB2_4592 Depth=3
	s_or_b32 exec_lo, exec_lo, s30
.LBB2_4826:                             ;   in Loop: Header=BB2_4592 Depth=3
	s_delay_alu instid0(SALU_CYCLE_1)
	s_or_b32 exec_lo, exec_lo, s17
	v_add_co_u32 v8, vcc_lo, v8, v99
	v_add_co_ci_u32_e32 v9, vcc_lo, v9, v100, vcc_lo
	v_add_co_u32 v10, vcc_lo, v10, v99
	v_sub_nc_u32_e32 v2, v2, v71
	v_add_co_ci_u32_e32 v11, vcc_lo, v11, v100, vcc_lo
	s_clause 0x7
	flat_store_b8 v[51:52], v131 glc slc dlc
	flat_store_b8 v[51:52], v145 offset:32 glc slc dlc
	flat_store_b8 v[51:52], v147 offset:64 glc slc dlc
	;; [unrolled: 1-line block ×7, first 2 shown]
	s_clause 0x7
	flat_store_b8 v[53:54], v131 glc slc dlc
	flat_store_b8 v[53:54], v145 offset:32 glc slc dlc
	flat_store_b8 v[53:54], v147 offset:64 glc slc dlc
	;; [unrolled: 1-line block ×7, first 2 shown]
	v_add_co_u32 v51, vcc_lo, v51, v99
	v_add_co_ci_u32_e32 v52, vcc_lo, v52, v100, vcc_lo
	v_cmp_gt_i32_e32 vcc_lo, 1, v2
	v_add_co_u32 v53, s13, v53, v99
	s_delay_alu instid0(VALU_DEP_1) | instskip(SKIP_1) | instid1(SALU_CYCLE_1)
	v_add_co_ci_u32_e64 v54, s13, v54, v100, s13
	s_or_b32 s16, vcc_lo, s16
	s_and_not1_b32 exec_lo, exec_lo, s16
	s_cbranch_execnz .LBB2_4592
	s_branch .LBB2_4923
.LBB2_4827:                             ;   in Loop: Header=BB2_4592 Depth=3
	s_mov_b32 s13, -1
	s_mov_b32 s31, exec_lo
                                        ; implicit-def: $sgpr17
	v_cmpx_eq_u16_e32 0x80, v64
; %bb.4828:                             ;   in Loop: Header=BB2_4592 Depth=3
	s_mov_b32 s17, 0x7f800001
	s_xor_b32 s13, exec_lo, -1
; %bb.4829:                             ;   in Loop: Header=BB2_4592 Depth=3
	s_or_b32 exec_lo, exec_lo, s31
	s_delay_alu instid0(SALU_CYCLE_1)
	s_and_b32 s13, s13, exec_lo
	s_or_saveexec_b32 s30, s30
	v_mov_b32_e32 v131, s17
	s_xor_b32 exec_lo, exec_lo, s30
	s_cbranch_execz .LBB2_4604
.LBB2_4830:                             ;   in Loop: Header=BB2_4592 Depth=3
	v_cmp_ne_u16_e32 vcc_lo, 0, v64
	v_mov_b32_e32 v131, 0
	s_and_not1_b32 s13, s13, exec_lo
	s_and_b32 s17, vcc_lo, exec_lo
	s_delay_alu instid0(SALU_CYCLE_1)
	s_or_b32 s13, s13, s17
	s_or_b32 exec_lo, exec_lo, s30
	s_and_saveexec_b32 s17, s13
	s_cbranch_execnz .LBB2_4605
	s_branch .LBB2_4606
.LBB2_4831:                             ;   in Loop: Header=BB2_4592 Depth=3
	s_mov_b32 s13, -1
	s_mov_b32 s31, exec_lo
                                        ; implicit-def: $sgpr17
	v_cmpx_eq_u16_e32 0x80, v64
; %bb.4832:                             ;   in Loop: Header=BB2_4592 Depth=3
	s_mov_b32 s17, 0x7f800001
	s_xor_b32 s13, exec_lo, -1
; %bb.4833:                             ;   in Loop: Header=BB2_4592 Depth=3
	s_or_b32 exec_lo, exec_lo, s31
	s_delay_alu instid0(SALU_CYCLE_1)
	s_and_b32 s13, s13, exec_lo
	s_or_saveexec_b32 s30, s30
	v_mov_b32_e32 v132, s17
	s_xor_b32 exec_lo, exec_lo, s30
	s_cbranch_execz .LBB2_4616
.LBB2_4834:                             ;   in Loop: Header=BB2_4592 Depth=3
	v_cmp_ne_u16_e32 vcc_lo, 0, v64
	v_mov_b32_e32 v132, 0
	s_and_not1_b32 s13, s13, exec_lo
	s_and_b32 s17, vcc_lo, exec_lo
	s_delay_alu instid0(SALU_CYCLE_1)
	s_or_b32 s13, s13, s17
	s_or_b32 exec_lo, exec_lo, s30
	s_and_saveexec_b32 s17, s13
	s_cbranch_execnz .LBB2_4617
	s_branch .LBB2_4618
.LBB2_4835:                             ;   in Loop: Header=BB2_4592 Depth=3
	s_mov_b32 s13, -1
	s_mov_b32 s31, exec_lo
                                        ; implicit-def: $sgpr17
	v_cmpx_eq_u16_e32 0x80, v64
; %bb.4836:                             ;   in Loop: Header=BB2_4592 Depth=3
	s_mov_b32 s17, 0x7f800001
	s_xor_b32 s13, exec_lo, -1
; %bb.4837:                             ;   in Loop: Header=BB2_4592 Depth=3
	s_or_b32 exec_lo, exec_lo, s31
	s_delay_alu instid0(SALU_CYCLE_1)
	s_and_b32 s13, s13, exec_lo
	s_or_saveexec_b32 s30, s30
	v_mov_b32_e32 v132, s17
	s_xor_b32 exec_lo, exec_lo, s30
	s_cbranch_execz .LBB2_4628
.LBB2_4838:                             ;   in Loop: Header=BB2_4592 Depth=3
	v_cmp_ne_u16_e32 vcc_lo, 0, v64
	v_mov_b32_e32 v132, 0
	s_and_not1_b32 s13, s13, exec_lo
	s_and_b32 s17, vcc_lo, exec_lo
	s_delay_alu instid0(SALU_CYCLE_1)
	s_or_b32 s13, s13, s17
	s_or_b32 exec_lo, exec_lo, s30
	s_and_saveexec_b32 s17, s13
	s_cbranch_execnz .LBB2_4629
	s_branch .LBB2_4630
.LBB2_4839:                             ;   in Loop: Header=BB2_4592 Depth=3
	s_mov_b32 s13, -1
	s_mov_b32 s31, exec_lo
                                        ; implicit-def: $sgpr17
	v_cmpx_eq_u16_e32 0x80, v64
; %bb.4840:                             ;   in Loop: Header=BB2_4592 Depth=3
	s_mov_b32 s17, 0x7f800001
	s_xor_b32 s13, exec_lo, -1
; %bb.4841:                             ;   in Loop: Header=BB2_4592 Depth=3
	s_or_b32 exec_lo, exec_lo, s31
	s_delay_alu instid0(SALU_CYCLE_1)
	s_and_b32 s13, s13, exec_lo
	s_or_saveexec_b32 s30, s30
	v_mov_b32_e32 v132, s17
	s_xor_b32 exec_lo, exec_lo, s30
	s_cbranch_execz .LBB2_4640
.LBB2_4842:                             ;   in Loop: Header=BB2_4592 Depth=3
	v_cmp_ne_u16_e32 vcc_lo, 0, v64
	v_mov_b32_e32 v132, 0
	s_and_not1_b32 s13, s13, exec_lo
	s_and_b32 s17, vcc_lo, exec_lo
	s_delay_alu instid0(SALU_CYCLE_1)
	s_or_b32 s13, s13, s17
	s_or_b32 exec_lo, exec_lo, s30
	s_and_saveexec_b32 s17, s13
	s_cbranch_execnz .LBB2_4641
	s_branch .LBB2_4642
.LBB2_4843:                             ;   in Loop: Header=BB2_4592 Depth=3
	s_mov_b32 s13, -1
	s_mov_b32 s31, exec_lo
                                        ; implicit-def: $sgpr17
	v_cmpx_eq_u16_e32 0x80, v64
; %bb.4844:                             ;   in Loop: Header=BB2_4592 Depth=3
	s_mov_b32 s17, 0x7f800001
	s_xor_b32 s13, exec_lo, -1
; %bb.4845:                             ;   in Loop: Header=BB2_4592 Depth=3
	s_or_b32 exec_lo, exec_lo, s31
	s_delay_alu instid0(SALU_CYCLE_1)
	s_and_b32 s13, s13, exec_lo
	s_or_saveexec_b32 s30, s30
	v_mov_b32_e32 v132, s17
	s_xor_b32 exec_lo, exec_lo, s30
	s_cbranch_execz .LBB2_4652
.LBB2_4846:                             ;   in Loop: Header=BB2_4592 Depth=3
	v_cmp_ne_u16_e32 vcc_lo, 0, v64
	v_mov_b32_e32 v132, 0
	s_and_not1_b32 s13, s13, exec_lo
	s_and_b32 s17, vcc_lo, exec_lo
	s_delay_alu instid0(SALU_CYCLE_1)
	s_or_b32 s13, s13, s17
	s_or_b32 exec_lo, exec_lo, s30
	s_and_saveexec_b32 s17, s13
	s_cbranch_execnz .LBB2_4653
	s_branch .LBB2_4654
.LBB2_4847:                             ;   in Loop: Header=BB2_4592 Depth=3
	s_mov_b32 s13, -1
	s_mov_b32 s31, exec_lo
                                        ; implicit-def: $sgpr17
	v_cmpx_eq_u16_e32 0x80, v64
; %bb.4848:                             ;   in Loop: Header=BB2_4592 Depth=3
	s_mov_b32 s17, 0x7f800001
	s_xor_b32 s13, exec_lo, -1
; %bb.4849:                             ;   in Loop: Header=BB2_4592 Depth=3
	s_or_b32 exec_lo, exec_lo, s31
	s_delay_alu instid0(SALU_CYCLE_1)
	s_and_b32 s13, s13, exec_lo
	s_or_saveexec_b32 s30, s30
	v_mov_b32_e32 v132, s17
	s_xor_b32 exec_lo, exec_lo, s30
	s_cbranch_execz .LBB2_4664
.LBB2_4850:                             ;   in Loop: Header=BB2_4592 Depth=3
	v_cmp_ne_u16_e32 vcc_lo, 0, v64
	v_mov_b32_e32 v132, 0
	s_and_not1_b32 s13, s13, exec_lo
	s_and_b32 s17, vcc_lo, exec_lo
	s_delay_alu instid0(SALU_CYCLE_1)
	s_or_b32 s13, s13, s17
	s_or_b32 exec_lo, exec_lo, s30
	s_and_saveexec_b32 s17, s13
	s_cbranch_execnz .LBB2_4665
	s_branch .LBB2_4666
.LBB2_4851:                             ;   in Loop: Header=BB2_4592 Depth=3
	s_mov_b32 s13, -1
	s_mov_b32 s31, exec_lo
                                        ; implicit-def: $sgpr17
	v_cmpx_eq_u16_e32 0x80, v64
; %bb.4852:                             ;   in Loop: Header=BB2_4592 Depth=3
	s_mov_b32 s17, 0x7f800001
	s_xor_b32 s13, exec_lo, -1
; %bb.4853:                             ;   in Loop: Header=BB2_4592 Depth=3
	s_or_b32 exec_lo, exec_lo, s31
	s_delay_alu instid0(SALU_CYCLE_1)
	s_and_b32 s13, s13, exec_lo
	s_or_saveexec_b32 s30, s30
	v_mov_b32_e32 v132, s17
	s_xor_b32 exec_lo, exec_lo, s30
	s_cbranch_execz .LBB2_4676
.LBB2_4854:                             ;   in Loop: Header=BB2_4592 Depth=3
	v_cmp_ne_u16_e32 vcc_lo, 0, v64
	v_mov_b32_e32 v132, 0
	s_and_not1_b32 s13, s13, exec_lo
	s_and_b32 s17, vcc_lo, exec_lo
	s_delay_alu instid0(SALU_CYCLE_1)
	s_or_b32 s13, s13, s17
	s_or_b32 exec_lo, exec_lo, s30
	s_and_saveexec_b32 s17, s13
	s_cbranch_execnz .LBB2_4677
	s_branch .LBB2_4678
.LBB2_4855:                             ;   in Loop: Header=BB2_4592 Depth=3
	s_mov_b32 s13, -1
	s_mov_b32 s31, exec_lo
                                        ; implicit-def: $sgpr17
	v_cmpx_eq_u16_e32 0x80, v64
; %bb.4856:                             ;   in Loop: Header=BB2_4592 Depth=3
	s_mov_b32 s17, 0x7f800001
	s_xor_b32 s13, exec_lo, -1
; %bb.4857:                             ;   in Loop: Header=BB2_4592 Depth=3
	s_or_b32 exec_lo, exec_lo, s31
	s_delay_alu instid0(SALU_CYCLE_1)
	s_and_b32 s13, s13, exec_lo
	s_or_saveexec_b32 s30, s30
	v_mov_b32_e32 v134, s17
	s_xor_b32 exec_lo, exec_lo, s30
	s_cbranch_execz .LBB2_4688
.LBB2_4858:                             ;   in Loop: Header=BB2_4592 Depth=3
	v_cmp_ne_u16_e32 vcc_lo, 0, v64
	v_mov_b32_e32 v134, 0
	s_and_not1_b32 s13, s13, exec_lo
	s_and_b32 s17, vcc_lo, exec_lo
	s_delay_alu instid0(SALU_CYCLE_1)
	s_or_b32 s13, s13, s17
	s_or_b32 exec_lo, exec_lo, s30
	s_and_saveexec_b32 s17, s13
	s_cbranch_execnz .LBB2_4689
	s_branch .LBB2_4690
.LBB2_4859:                             ;   in Loop: Header=BB2_4592 Depth=3
	s_mov_b32 s13, -1
	s_mov_b32 s31, exec_lo
                                        ; implicit-def: $sgpr17
	v_cmpx_eq_u16_e64 0x80, v163
; %bb.4860:                             ;   in Loop: Header=BB2_4592 Depth=3
	s_mov_b32 s17, 0x7f800001
	s_xor_b32 s13, exec_lo, -1
; %bb.4861:                             ;   in Loop: Header=BB2_4592 Depth=3
	s_or_b32 exec_lo, exec_lo, s31
	s_delay_alu instid0(SALU_CYCLE_1)
	s_and_b32 s13, s13, exec_lo
                                        ; implicit-def: $vgpr163
	s_or_saveexec_b32 s30, s30
	v_mov_b32_e32 v162, s17
	s_xor_b32 exec_lo, exec_lo, s30
	s_cbranch_execz .LBB2_4700
.LBB2_4862:                             ;   in Loop: Header=BB2_4592 Depth=3
	v_cmp_ne_u16_e64 vcc_lo, 0, v163
	v_mov_b32_e32 v162, 0
	s_and_not1_b32 s13, s13, exec_lo
	s_delay_alu instid0(VALU_DEP_2) | instskip(NEXT) | instid1(SALU_CYCLE_1)
	s_and_b32 s17, vcc_lo, exec_lo
	s_or_b32 s13, s13, s17
	s_or_b32 exec_lo, exec_lo, s30
	s_and_saveexec_b32 s17, s13
	s_cbranch_execnz .LBB2_4701
	s_branch .LBB2_4702
.LBB2_4863:                             ;   in Loop: Header=BB2_4592 Depth=3
	s_mov_b32 s13, -1
	s_mov_b32 s31, exec_lo
                                        ; implicit-def: $sgpr17
	v_cmpx_eq_u16_e64 0x80, v163
; %bb.4864:                             ;   in Loop: Header=BB2_4592 Depth=3
	s_mov_b32 s17, 0x7f800001
	s_xor_b32 s13, exec_lo, -1
; %bb.4865:                             ;   in Loop: Header=BB2_4592 Depth=3
	s_or_b32 exec_lo, exec_lo, s31
	s_delay_alu instid0(SALU_CYCLE_1)
	s_and_b32 s13, s13, exec_lo
                                        ; implicit-def: $vgpr163
	s_or_saveexec_b32 s30, s30
	v_mov_b32_e32 v131, s17
	s_xor_b32 exec_lo, exec_lo, s30
	s_cbranch_execz .LBB2_4704
.LBB2_4866:                             ;   in Loop: Header=BB2_4592 Depth=3
	v_cmp_ne_u16_e64 vcc_lo, 0, v163
	v_mov_b32_e32 v131, 0
	s_and_not1_b32 s13, s13, exec_lo
	s_delay_alu instid0(VALU_DEP_2) | instskip(NEXT) | instid1(SALU_CYCLE_1)
	s_and_b32 s17, vcc_lo, exec_lo
	s_or_b32 s13, s13, s17
	s_or_b32 exec_lo, exec_lo, s30
	s_and_saveexec_b32 s17, s13
	s_cbranch_execnz .LBB2_4705
	s_branch .LBB2_4706
.LBB2_4867:                             ;   in Loop: Header=BB2_4592 Depth=3
	s_mov_b32 s13, -1
	s_mov_b32 s31, exec_lo
                                        ; implicit-def: $sgpr17
	v_cmpx_eq_u16_e64 0x80, v162
; %bb.4868:                             ;   in Loop: Header=BB2_4592 Depth=3
	s_mov_b32 s17, 0x7f800001
	s_xor_b32 s13, exec_lo, -1
; %bb.4869:                             ;   in Loop: Header=BB2_4592 Depth=3
	s_or_b32 exec_lo, exec_lo, s31
	s_delay_alu instid0(SALU_CYCLE_1)
	s_and_b32 s13, s13, exec_lo
                                        ; implicit-def: $vgpr162
	s_or_saveexec_b32 s30, s30
	v_mov_b32_e32 v161, s17
	s_xor_b32 exec_lo, exec_lo, s30
	s_cbranch_execz .LBB2_4716
.LBB2_4870:                             ;   in Loop: Header=BB2_4592 Depth=3
	v_cmp_ne_u16_e64 vcc_lo, 0, v162
	v_mov_b32_e32 v161, 0
	s_and_not1_b32 s13, s13, exec_lo
	s_delay_alu instid0(VALU_DEP_2) | instskip(NEXT) | instid1(SALU_CYCLE_1)
	s_and_b32 s17, vcc_lo, exec_lo
	s_or_b32 s13, s13, s17
	s_or_b32 exec_lo, exec_lo, s30
	s_and_saveexec_b32 s17, s13
	s_cbranch_execnz .LBB2_4717
	s_branch .LBB2_4718
.LBB2_4871:                             ;   in Loop: Header=BB2_4592 Depth=3
	s_mov_b32 s13, -1
	s_mov_b32 s31, exec_lo
                                        ; implicit-def: $sgpr17
	v_cmpx_eq_u16_e64 0x80, v162
; %bb.4872:                             ;   in Loop: Header=BB2_4592 Depth=3
	s_mov_b32 s17, 0x7f800001
	s_xor_b32 s13, exec_lo, -1
; %bb.4873:                             ;   in Loop: Header=BB2_4592 Depth=3
	s_or_b32 exec_lo, exec_lo, s31
	s_delay_alu instid0(SALU_CYCLE_1)
	s_and_b32 s13, s13, exec_lo
                                        ; implicit-def: $vgpr162
	s_or_saveexec_b32 s30, s30
	v_mov_b32_e32 v145, s17
	s_xor_b32 exec_lo, exec_lo, s30
	s_cbranch_execz .LBB2_4720
.LBB2_4874:                             ;   in Loop: Header=BB2_4592 Depth=3
	v_cmp_ne_u16_e64 vcc_lo, 0, v162
	v_mov_b32_e32 v145, 0
	s_and_not1_b32 s13, s13, exec_lo
	s_delay_alu instid0(VALU_DEP_2) | instskip(NEXT) | instid1(SALU_CYCLE_1)
	s_and_b32 s17, vcc_lo, exec_lo
	s_or_b32 s13, s13, s17
	s_or_b32 exec_lo, exec_lo, s30
	s_and_saveexec_b32 s17, s13
	s_cbranch_execnz .LBB2_4721
	s_branch .LBB2_4722
.LBB2_4875:                             ;   in Loop: Header=BB2_4592 Depth=3
	s_mov_b32 s13, -1
	s_mov_b32 s31, exec_lo
                                        ; implicit-def: $sgpr17
	v_cmpx_eq_u16_e64 0x80, v161
; %bb.4876:                             ;   in Loop: Header=BB2_4592 Depth=3
	s_mov_b32 s17, 0x7f800001
	s_xor_b32 s13, exec_lo, -1
; %bb.4877:                             ;   in Loop: Header=BB2_4592 Depth=3
	s_or_b32 exec_lo, exec_lo, s31
	s_delay_alu instid0(SALU_CYCLE_1)
	s_and_b32 s13, s13, exec_lo
                                        ; implicit-def: $vgpr161
	s_or_saveexec_b32 s30, s30
	v_mov_b32_e32 v160, s17
	s_xor_b32 exec_lo, exec_lo, s30
	s_cbranch_execz .LBB2_4732
.LBB2_4878:                             ;   in Loop: Header=BB2_4592 Depth=3
	v_cmp_ne_u16_e64 vcc_lo, 0, v161
	v_mov_b32_e32 v160, 0
	s_and_not1_b32 s13, s13, exec_lo
	s_delay_alu instid0(VALU_DEP_2) | instskip(NEXT) | instid1(SALU_CYCLE_1)
	s_and_b32 s17, vcc_lo, exec_lo
	s_or_b32 s13, s13, s17
	s_or_b32 exec_lo, exec_lo, s30
	s_and_saveexec_b32 s17, s13
	s_cbranch_execnz .LBB2_4733
	s_branch .LBB2_4734
.LBB2_4879:                             ;   in Loop: Header=BB2_4592 Depth=3
	s_mov_b32 s13, -1
	s_mov_b32 s31, exec_lo
                                        ; implicit-def: $sgpr17
	v_cmpx_eq_u16_e64 0x80, v161
; %bb.4880:                             ;   in Loop: Header=BB2_4592 Depth=3
	s_mov_b32 s17, 0x7f800001
	s_xor_b32 s13, exec_lo, -1
; %bb.4881:                             ;   in Loop: Header=BB2_4592 Depth=3
	s_or_b32 exec_lo, exec_lo, s31
	s_delay_alu instid0(SALU_CYCLE_1)
	s_and_b32 s13, s13, exec_lo
                                        ; implicit-def: $vgpr161
	s_or_saveexec_b32 s30, s30
	v_mov_b32_e32 v147, s17
	s_xor_b32 exec_lo, exec_lo, s30
	s_cbranch_execz .LBB2_4736
.LBB2_4882:                             ;   in Loop: Header=BB2_4592 Depth=3
	v_cmp_ne_u16_e64 vcc_lo, 0, v161
	v_mov_b32_e32 v147, 0
	s_and_not1_b32 s13, s13, exec_lo
	s_delay_alu instid0(VALU_DEP_2) | instskip(NEXT) | instid1(SALU_CYCLE_1)
	s_and_b32 s17, vcc_lo, exec_lo
	s_or_b32 s13, s13, s17
	s_or_b32 exec_lo, exec_lo, s30
	s_and_saveexec_b32 s17, s13
	s_cbranch_execnz .LBB2_4737
	s_branch .LBB2_4738
.LBB2_4883:                             ;   in Loop: Header=BB2_4592 Depth=3
	s_mov_b32 s13, -1
	s_mov_b32 s31, exec_lo
                                        ; implicit-def: $sgpr17
	v_cmpx_eq_u16_e64 0x80, v160
; %bb.4884:                             ;   in Loop: Header=BB2_4592 Depth=3
	s_mov_b32 s17, 0x7f800001
	s_xor_b32 s13, exec_lo, -1
; %bb.4885:                             ;   in Loop: Header=BB2_4592 Depth=3
	s_or_b32 exec_lo, exec_lo, s31
	s_delay_alu instid0(SALU_CYCLE_1)
	s_and_b32 s13, s13, exec_lo
                                        ; implicit-def: $vgpr160
	s_or_saveexec_b32 s30, s30
	v_mov_b32_e32 v151, s17
	s_xor_b32 exec_lo, exec_lo, s30
	s_cbranch_execz .LBB2_4748
.LBB2_4886:                             ;   in Loop: Header=BB2_4592 Depth=3
	v_cmp_ne_u16_e64 vcc_lo, 0, v160
	v_mov_b32_e32 v151, 0
	s_and_not1_b32 s13, s13, exec_lo
	s_delay_alu instid0(VALU_DEP_2) | instskip(NEXT) | instid1(SALU_CYCLE_1)
	s_and_b32 s17, vcc_lo, exec_lo
	s_or_b32 s13, s13, s17
	s_or_b32 exec_lo, exec_lo, s30
	s_and_saveexec_b32 s17, s13
	s_cbranch_execnz .LBB2_4749
	s_branch .LBB2_4750
.LBB2_4887:                             ;   in Loop: Header=BB2_4592 Depth=3
	s_mov_b32 s13, -1
	s_mov_b32 s31, exec_lo
                                        ; implicit-def: $sgpr17
	v_cmpx_eq_u16_e64 0x80, v160
; %bb.4888:                             ;   in Loop: Header=BB2_4592 Depth=3
	s_mov_b32 s17, 0x7f800001
	s_xor_b32 s13, exec_lo, -1
; %bb.4889:                             ;   in Loop: Header=BB2_4592 Depth=3
	s_or_b32 exec_lo, exec_lo, s31
	s_delay_alu instid0(SALU_CYCLE_1)
	s_and_b32 s13, s13, exec_lo
                                        ; implicit-def: $vgpr160
	s_or_saveexec_b32 s30, s30
	v_mov_b32_e32 v146, s17
	s_xor_b32 exec_lo, exec_lo, s30
	s_cbranch_execz .LBB2_4752
.LBB2_4890:                             ;   in Loop: Header=BB2_4592 Depth=3
	v_cmp_ne_u16_e64 vcc_lo, 0, v160
	v_mov_b32_e32 v146, 0
	s_and_not1_b32 s13, s13, exec_lo
	s_delay_alu instid0(VALU_DEP_2) | instskip(NEXT) | instid1(SALU_CYCLE_1)
	s_and_b32 s17, vcc_lo, exec_lo
	s_or_b32 s13, s13, s17
	s_or_b32 exec_lo, exec_lo, s30
	s_and_saveexec_b32 s17, s13
	s_cbranch_execnz .LBB2_4753
	s_branch .LBB2_4754
.LBB2_4891:                             ;   in Loop: Header=BB2_4592 Depth=3
	s_mov_b32 s13, -1
	s_mov_b32 s31, exec_lo
                                        ; implicit-def: $sgpr17
	v_cmpx_eq_u16_e64 0x80, v151
; %bb.4892:                             ;   in Loop: Header=BB2_4592 Depth=3
	s_mov_b32 s17, 0x7f800001
	s_xor_b32 s13, exec_lo, -1
; %bb.4893:                             ;   in Loop: Header=BB2_4592 Depth=3
	s_or_b32 exec_lo, exec_lo, s31
	s_delay_alu instid0(SALU_CYCLE_1)
	s_and_b32 s13, s13, exec_lo
                                        ; implicit-def: $vgpr151
	s_or_saveexec_b32 s30, s30
	v_mov_b32_e32 v150, s17
	s_xor_b32 exec_lo, exec_lo, s30
	s_cbranch_execz .LBB2_4764
.LBB2_4894:                             ;   in Loop: Header=BB2_4592 Depth=3
	v_cmp_ne_u16_e64 vcc_lo, 0, v151
	v_mov_b32_e32 v150, 0
	s_and_not1_b32 s13, s13, exec_lo
	s_delay_alu instid0(VALU_DEP_2) | instskip(NEXT) | instid1(SALU_CYCLE_1)
	s_and_b32 s17, vcc_lo, exec_lo
	s_or_b32 s13, s13, s17
	s_or_b32 exec_lo, exec_lo, s30
	s_and_saveexec_b32 s17, s13
	s_cbranch_execnz .LBB2_4765
	s_branch .LBB2_4766
.LBB2_4895:                             ;   in Loop: Header=BB2_4592 Depth=3
	s_mov_b32 s13, -1
	s_mov_b32 s31, exec_lo
                                        ; implicit-def: $sgpr17
	v_cmpx_eq_u16_e64 0x80, v151
; %bb.4896:                             ;   in Loop: Header=BB2_4592 Depth=3
	s_mov_b32 s17, 0x7f800001
	s_xor_b32 s13, exec_lo, -1
; %bb.4897:                             ;   in Loop: Header=BB2_4592 Depth=3
	s_or_b32 exec_lo, exec_lo, s31
	s_delay_alu instid0(SALU_CYCLE_1)
	s_and_b32 s13, s13, exec_lo
                                        ; implicit-def: $vgpr151
	s_or_saveexec_b32 s30, s30
	v_mov_b32_e32 v144, s17
	s_xor_b32 exec_lo, exec_lo, s30
	s_cbranch_execz .LBB2_4768
.LBB2_4898:                             ;   in Loop: Header=BB2_4592 Depth=3
	v_cmp_ne_u16_e64 vcc_lo, 0, v151
	v_mov_b32_e32 v144, 0
	s_and_not1_b32 s13, s13, exec_lo
	s_delay_alu instid0(VALU_DEP_2) | instskip(NEXT) | instid1(SALU_CYCLE_1)
	s_and_b32 s17, vcc_lo, exec_lo
	s_or_b32 s13, s13, s17
	s_or_b32 exec_lo, exec_lo, s30
	s_and_saveexec_b32 s17, s13
	s_cbranch_execnz .LBB2_4769
	s_branch .LBB2_4770
.LBB2_4899:                             ;   in Loop: Header=BB2_4592 Depth=3
	s_mov_b32 s13, -1
	s_mov_b32 s31, exec_lo
                                        ; implicit-def: $sgpr17
	v_cmpx_eq_u16_e64 0x80, v150
; %bb.4900:                             ;   in Loop: Header=BB2_4592 Depth=3
	s_mov_b32 s17, 0x7f800001
	s_xor_b32 s13, exec_lo, -1
; %bb.4901:                             ;   in Loop: Header=BB2_4592 Depth=3
	s_or_b32 exec_lo, exec_lo, s31
	s_delay_alu instid0(SALU_CYCLE_1)
	s_and_b32 s13, s13, exec_lo
                                        ; implicit-def: $vgpr150
	s_or_saveexec_b32 s30, s30
	v_mov_b32_e32 v149, s17
	s_xor_b32 exec_lo, exec_lo, s30
	s_cbranch_execz .LBB2_4780
.LBB2_4902:                             ;   in Loop: Header=BB2_4592 Depth=3
	v_cmp_ne_u16_e64 vcc_lo, 0, v150
	v_mov_b32_e32 v149, 0
	s_and_not1_b32 s13, s13, exec_lo
	s_delay_alu instid0(VALU_DEP_2) | instskip(NEXT) | instid1(SALU_CYCLE_1)
	s_and_b32 s17, vcc_lo, exec_lo
	s_or_b32 s13, s13, s17
	s_or_b32 exec_lo, exec_lo, s30
	s_and_saveexec_b32 s17, s13
	s_cbranch_execnz .LBB2_4781
	s_branch .LBB2_4782
.LBB2_4903:                             ;   in Loop: Header=BB2_4592 Depth=3
	s_mov_b32 s13, -1
	s_mov_b32 s31, exec_lo
                                        ; implicit-def: $sgpr17
	v_cmpx_eq_u16_e64 0x80, v150
; %bb.4904:                             ;   in Loop: Header=BB2_4592 Depth=3
	s_mov_b32 s17, 0x7f800001
	s_xor_b32 s13, exec_lo, -1
; %bb.4905:                             ;   in Loop: Header=BB2_4592 Depth=3
	s_or_b32 exec_lo, exec_lo, s31
	s_delay_alu instid0(SALU_CYCLE_1)
	s_and_b32 s13, s13, exec_lo
                                        ; implicit-def: $vgpr150
	s_or_saveexec_b32 s30, s30
	v_mov_b32_e32 v133, s17
	s_xor_b32 exec_lo, exec_lo, s30
	s_cbranch_execz .LBB2_4784
.LBB2_4906:                             ;   in Loop: Header=BB2_4592 Depth=3
	v_cmp_ne_u16_e64 vcc_lo, 0, v150
	v_mov_b32_e32 v133, 0
	s_and_not1_b32 s13, s13, exec_lo
	s_delay_alu instid0(VALU_DEP_2) | instskip(NEXT) | instid1(SALU_CYCLE_1)
	s_and_b32 s17, vcc_lo, exec_lo
	s_or_b32 s13, s13, s17
	s_or_b32 exec_lo, exec_lo, s30
	s_and_saveexec_b32 s17, s13
	s_cbranch_execnz .LBB2_4785
	s_branch .LBB2_4786
.LBB2_4907:                             ;   in Loop: Header=BB2_4592 Depth=3
	s_mov_b32 s13, -1
	s_mov_b32 s31, exec_lo
                                        ; implicit-def: $sgpr17
	v_cmpx_eq_u16_e64 0x80, v149
; %bb.4908:                             ;   in Loop: Header=BB2_4592 Depth=3
	s_mov_b32 s17, 0x7f800001
	s_xor_b32 s13, exec_lo, -1
; %bb.4909:                             ;   in Loop: Header=BB2_4592 Depth=3
	s_or_b32 exec_lo, exec_lo, s31
	s_delay_alu instid0(SALU_CYCLE_1)
	s_and_b32 s13, s13, exec_lo
                                        ; implicit-def: $vgpr149
	s_or_saveexec_b32 s30, s30
	v_mov_b32_e32 v148, s17
	s_xor_b32 exec_lo, exec_lo, s30
	s_cbranch_execz .LBB2_4796
.LBB2_4910:                             ;   in Loop: Header=BB2_4592 Depth=3
	v_cmp_ne_u16_e64 vcc_lo, 0, v149
	v_mov_b32_e32 v148, 0
	s_and_not1_b32 s13, s13, exec_lo
	s_delay_alu instid0(VALU_DEP_2) | instskip(NEXT) | instid1(SALU_CYCLE_1)
	s_and_b32 s17, vcc_lo, exec_lo
	s_or_b32 s13, s13, s17
	s_or_b32 exec_lo, exec_lo, s30
	s_and_saveexec_b32 s17, s13
	s_cbranch_execnz .LBB2_4797
	s_branch .LBB2_4798
.LBB2_4911:                             ;   in Loop: Header=BB2_4592 Depth=3
	s_mov_b32 s13, -1
	s_mov_b32 s31, exec_lo
                                        ; implicit-def: $sgpr17
	v_cmpx_eq_u16_e64 0x80, v149
; %bb.4912:                             ;   in Loop: Header=BB2_4592 Depth=3
	s_mov_b32 s17, 0x7f800001
	s_xor_b32 s13, exec_lo, -1
; %bb.4913:                             ;   in Loop: Header=BB2_4592 Depth=3
	s_or_b32 exec_lo, exec_lo, s31
	s_delay_alu instid0(SALU_CYCLE_1)
	s_and_b32 s13, s13, exec_lo
                                        ; implicit-def: $vgpr149
	s_or_saveexec_b32 s30, s30
	v_mov_b32_e32 v132, s17
	s_xor_b32 exec_lo, exec_lo, s30
	s_cbranch_execz .LBB2_4800
.LBB2_4914:                             ;   in Loop: Header=BB2_4592 Depth=3
	v_cmp_ne_u16_e64 vcc_lo, 0, v149
	v_mov_b32_e32 v132, 0
	s_and_not1_b32 s13, s13, exec_lo
	s_delay_alu instid0(VALU_DEP_2) | instskip(NEXT) | instid1(SALU_CYCLE_1)
	s_and_b32 s17, vcc_lo, exec_lo
	s_or_b32 s13, s13, s17
	s_or_b32 exec_lo, exec_lo, s30
	s_and_saveexec_b32 s17, s13
	s_cbranch_execnz .LBB2_4801
	s_branch .LBB2_4802
.LBB2_4915:                             ;   in Loop: Header=BB2_4592 Depth=3
	s_mov_b32 s13, -1
	s_mov_b32 s31, exec_lo
                                        ; implicit-def: $sgpr17
	v_cmpx_eq_u16_e64 0x80, v148
; %bb.4916:                             ;   in Loop: Header=BB2_4592 Depth=3
	s_mov_b32 s17, 0x7f800001
	s_xor_b32 s13, exec_lo, -1
; %bb.4917:                             ;   in Loop: Header=BB2_4592 Depth=3
	s_or_b32 exec_lo, exec_lo, s31
	s_delay_alu instid0(SALU_CYCLE_1)
	s_and_b32 s13, s13, exec_lo
                                        ; implicit-def: $vgpr148
	s_or_saveexec_b32 s30, s30
	v_mov_b32_e32 v134, s17
	s_xor_b32 exec_lo, exec_lo, s30
	s_cbranch_execz .LBB2_4812
.LBB2_4918:                             ;   in Loop: Header=BB2_4592 Depth=3
	v_cmp_ne_u16_e64 vcc_lo, 0, v148
	v_mov_b32_e32 v134, 0
	s_and_not1_b32 s13, s13, exec_lo
	s_delay_alu instid0(VALU_DEP_2) | instskip(NEXT) | instid1(SALU_CYCLE_1)
	s_and_b32 s17, vcc_lo, exec_lo
	s_or_b32 s13, s13, s17
	s_or_b32 exec_lo, exec_lo, s30
	s_and_saveexec_b32 s17, s13
	s_cbranch_execnz .LBB2_4813
	s_branch .LBB2_4814
.LBB2_4919:                             ;   in Loop: Header=BB2_4592 Depth=3
	s_mov_b32 s13, -1
	s_mov_b32 s31, exec_lo
                                        ; implicit-def: $sgpr17
	v_cmpx_eq_u16_e64 0x80, v148
; %bb.4920:                             ;   in Loop: Header=BB2_4592 Depth=3
	s_mov_b32 s17, 0x7f800001
	s_xor_b32 s13, exec_lo, -1
; %bb.4921:                             ;   in Loop: Header=BB2_4592 Depth=3
	s_or_b32 exec_lo, exec_lo, s31
	s_delay_alu instid0(SALU_CYCLE_1)
	s_and_b32 s13, s13, exec_lo
                                        ; implicit-def: $vgpr148
	s_or_saveexec_b32 s30, s30
	v_mov_b32_e32 v65, s17
	s_xor_b32 exec_lo, exec_lo, s30
	s_cbranch_execz .LBB2_4816
.LBB2_4922:                             ;   in Loop: Header=BB2_4592 Depth=3
	v_cmp_ne_u16_e64 vcc_lo, 0, v148
	v_mov_b32_e32 v65, 0
	s_and_not1_b32 s13, s13, exec_lo
	s_delay_alu instid0(VALU_DEP_2) | instskip(NEXT) | instid1(SALU_CYCLE_1)
	s_and_b32 s17, vcc_lo, exec_lo
	s_or_b32 s13, s13, s17
	s_or_b32 exec_lo, exec_lo, s30
	s_and_saveexec_b32 s17, s13
	s_cbranch_execnz .LBB2_4817
	s_branch .LBB2_4818
.LBB2_4923:                             ;   in Loop: Header=BB2_3186 Depth=2
	s_or_b32 exec_lo, exec_lo, s16
.LBB2_4924:                             ;   in Loop: Header=BB2_3186 Depth=2
	s_delay_alu instid0(SALU_CYCLE_1) | instskip(SKIP_2) | instid1(VALU_DEP_1)
	s_or_b32 exec_lo, exec_lo, s14
	v_lshlrev_b32_e32 v8, 8, v130
	s_mov_b32 s30, exec_lo
	v_cmpx_ne_u32_e64 v67, v8
	s_cbranch_execz .LBB2_4981
; %bb.4925:                             ;   in Loop: Header=BB2_3186 Depth=2
	v_ashrrev_i32_e32 v9, 31, v135
	v_lshlrev_b32_e32 v2, 5, v2
	s_delay_alu instid0(VALU_DEP_2) | instskip(NEXT) | instid1(VALU_DEP_1)
	v_lshrrev_b32_e32 v9, 27, v9
	v_add_nc_u32_e32 v9, v135, v9
	s_delay_alu instid0(VALU_DEP_1) | instskip(NEXT) | instid1(VALU_DEP_1)
	v_and_b32_e32 v9, 0xffffffe0, v9
	v_sub_nc_u32_e32 v9, v135, v9
	s_delay_alu instid0(VALU_DEP_1) | instskip(NEXT) | instid1(VALU_DEP_1)
	v_sub_nc_u32_e32 v2, v9, v2
	v_add_nc_u32_e32 v8, v8, v2
	s_delay_alu instid0(VALU_DEP_1) | instskip(NEXT) | instid1(VALU_DEP_1)
	v_sub_nc_u32_e32 v2, v67, v8
	v_cmp_lt_i32_e32 vcc_lo, 0, v2
	s_and_b32 exec_lo, exec_lo, vcc_lo
	s_cbranch_execz .LBB2_4981
; %bb.4926:                             ;   in Loop: Header=BB2_3186 Depth=2
	s_cbranch_execnz .LBB2_7827
; %bb.4927:                             ;   in Loop: Header=BB2_3186 Depth=2
	ds_load_b128 v[51:54], v0
	v_add_nc_u32_e32 v10, v8, v66
	s_mov_b32 s31, 0
	s_delay_alu instid0(VALU_DEP_1) | instskip(SKIP_2) | instid1(VALU_DEP_2)
	v_ashrrev_i32_e32 v11, 31, v10
	s_waitcnt lgkmcnt(0)
	v_add_co_u32 v8, vcc_lo, v51, v10
	v_add_co_ci_u32_e32 v9, vcc_lo, v52, v11, vcc_lo
	v_add_co_u32 v10, vcc_lo, v53, v10
	v_add_co_ci_u32_e32 v11, vcc_lo, v54, v11, vcc_lo
	s_delay_alu instid0(VALU_DEP_3) | instskip(NEXT) | instid1(VALU_DEP_2)
	v_dual_mov_b32 v52, v9 :: v_dual_mov_b32 v51, v8
	v_dual_mov_b32 v54, v11 :: v_dual_mov_b32 v53, v10
.LBB2_4928:                             ;   Parent Loop BB2_51 Depth=1
                                        ;     Parent Loop BB2_3186 Depth=2
                                        ; =>    This Loop Header: Depth=3
                                        ;         Child Loop BB2_4967 Depth 4
	s_cbranch_execnz .LBB2_7831
; %bb.4929:                             ;   in Loop: Header=BB2_4928 Depth=3
	ds_load_b64 v[64:65], v0
	s_waitcnt lgkmcnt(0)
	v_and_b32_e32 v65, 0xff, v64
	v_readfirstlane_b32 s13, v64
	s_delay_alu instid0(VALU_DEP_2)
	v_cmp_gt_i16_e32 vcc_lo, 0x80, v65
	s_cbranch_vccnz .LBB2_4933
; %bb.4930:                             ;   in Loop: Header=BB2_4928 Depth=3
	v_cmp_eq_u16_e32 vcc_lo, 0x80, v65
	s_mov_b32 s14, -1
                                        ; implicit-def: $sgpr16
	s_cbranch_vccz .LBB2_4932
; %bb.4931:                             ;   in Loop: Header=BB2_4928 Depth=3
	s_mov_b32 s14, 0
	s_mov_b32 s16, 0x7f800001
.LBB2_4932:                             ;   in Loop: Header=BB2_4928 Depth=3
	s_mov_b32 s17, 0
	s_branch .LBB2_4934
.LBB2_4933:                             ;   in Loop: Header=BB2_4928 Depth=3
	s_mov_b32 s17, -1
	s_mov_b32 s14, 0
                                        ; implicit-def: $sgpr16
.LBB2_4934:                             ;   in Loop: Header=BB2_4928 Depth=3
	s_and_b32 vcc_lo, exec_lo, s17
	s_cbranch_vccz .LBB2_4936
; %bb.4935:                             ;   in Loop: Header=BB2_4928 Depth=3
	v_cmp_ne_u16_e64 s14, 0, v65
	s_mov_b32 s16, 0
.LBB2_4936:                             ;   in Loop: Header=BB2_4928 Depth=3
	s_delay_alu instid0(SALU_CYCLE_1) | instskip(NEXT) | instid1(VALU_DEP_2)
	v_mov_b32_e32 v65, s16
	s_and_not1_b32 vcc_lo, exec_lo, s14
	s_cbranch_vccnz .LBB2_4938
; %bb.4937:                             ;   in Loop: Header=BB2_4928 Depth=3
	s_and_b32 s14, s13, 3
	s_bfe_u32 s17, s13, 0x50002
	s_clz_i32_u32 s16, s14
	v_lshlrev_b32_e32 v64, 24, v64
	s_min_u32 s16, s16, 32
	s_delay_alu instid0(SALU_CYCLE_1)
	s_sub_i32 vcc_lo, s16, 29
	s_sub_i32 s16, 30, s16
	s_lshl_b32 s13, s13, vcc_lo
	v_and_b32_e32 v64, 0x80000000, v64
	s_and_b32 s13, s13, 3
	s_cmp_eq_u32 s17, 0
	s_cselect_b32 s16, s16, s17
	s_cselect_b32 s13, s13, s14
	s_lshl_b32 s14, s16, 23
	s_lshl_b32 s13, s13, 21
	s_add_i32 s14, s14, 0x37800000
	s_delay_alu instid0(SALU_CYCLE_1) | instskip(NEXT) | instid1(VALU_DEP_1)
	v_or_b32_e32 v64, s14, v64
	v_or_b32_e32 v65, s13, v64
.LBB2_4938:                             ;   in Loop: Header=BB2_4928 Depth=3
	flat_load_u8 v64, v[51:52] slc dlc
	s_mov_b32 s13, 0
	s_mov_b32 s16, exec_lo
                                        ; implicit-def: $sgpr14
	s_waitcnt vmcnt(0) lgkmcnt(0)
	v_cmpx_lt_i16_e32 0x7f, v64
	s_xor_b32 s16, exec_lo, s16
	s_cbranch_execnz .LBB2_4969
; %bb.4939:                             ;   in Loop: Header=BB2_4928 Depth=3
	s_or_saveexec_b32 s16, s16
	v_mov_b32_e32 v66, s14
	s_xor_b32 exec_lo, exec_lo, s16
	s_cbranch_execnz .LBB2_4972
.LBB2_4940:                             ;   in Loop: Header=BB2_4928 Depth=3
	s_or_b32 exec_lo, exec_lo, s16
	s_and_saveexec_b32 s14, s13
	s_cbranch_execz .LBB2_4942
.LBB2_4941:                             ;   in Loop: Header=BB2_4928 Depth=3
	v_and_b32_e32 v66, 0xffff, v64
	v_lshlrev_b32_e32 v64, 24, v64
	s_delay_alu instid0(VALU_DEP_2) | instskip(NEXT) | instid1(VALU_DEP_2)
	v_and_b32_e32 v67, 3, v66
	v_and_b32_e32 v64, 0x80000000, v64
	s_delay_alu instid0(VALU_DEP_2) | instskip(NEXT) | instid1(VALU_DEP_1)
	v_clz_i32_u32_e32 v130, v67
	v_min_u32_e32 v130, 32, v130
	s_delay_alu instid0(VALU_DEP_1) | instskip(SKIP_1) | instid1(VALU_DEP_2)
	v_subrev_nc_u32_e32 v131, 29, v130
	v_sub_nc_u32_e32 v130, 30, v130
	v_lshlrev_b32_e32 v131, v131, v66
	v_bfe_u32 v66, v66, 2, 5
	s_delay_alu instid0(VALU_DEP_1) | instskip(NEXT) | instid1(VALU_DEP_3)
	v_cmp_eq_u32_e32 vcc_lo, 0, v66
	v_dual_cndmask_b32 v66, v66, v130 :: v_dual_and_b32 v131, 3, v131
	s_delay_alu instid0(VALU_DEP_1) | instskip(NEXT) | instid1(VALU_DEP_2)
	v_cndmask_b32_e32 v67, v67, v131, vcc_lo
	v_lshl_add_u32 v66, v66, 23, 0x37800000
	s_delay_alu instid0(VALU_DEP_2) | instskip(NEXT) | instid1(VALU_DEP_1)
	v_lshlrev_b32_e32 v67, 21, v67
	v_or3_b32 v66, v64, v66, v67
.LBB2_4942:                             ;   in Loop: Header=BB2_4928 Depth=3
	s_or_b32 exec_lo, exec_lo, s14
	s_delay_alu instid0(VALU_DEP_1) | instskip(SKIP_2) | instid1(VALU_DEP_2)
	v_mul_f32_e32 v64, v65, v66
	v_mov_b32_e32 v66, 0x80
	s_mov_b32 s14, exec_lo
	v_and_b32_e32 v65, 0x7f800000, v64
	s_delay_alu instid0(VALU_DEP_1)
	v_cmpx_ne_u32_e32 0x7f800000, v65
	s_cbranch_execz .LBB2_4950
; %bb.4943:                             ;   in Loop: Header=BB2_4928 Depth=3
	v_mov_b32_e32 v66, 0
	s_mov_b32 s16, exec_lo
	v_cmpx_ne_u32_e32 0, v64
	s_cbranch_execz .LBB2_4949
; %bb.4944:                             ;   in Loop: Header=BB2_4928 Depth=3
	v_bfe_u32 v65, v64, 23, 8
	s_delay_alu instid0(VALU_DEP_1) | instskip(SKIP_1) | instid1(VALU_DEP_2)
	v_sub_nc_u32_e32 v67, 0x70, v65
	v_cmp_gt_u32_e32 vcc_lo, 0x71, v65
	v_dual_cndmask_b32 v67, 0, v67 :: v_dual_and_b32 v66, 0x7fffff, v64
	s_delay_alu instid0(VALU_DEP_1) | instskip(SKIP_2) | instid1(VALU_DEP_4)
	v_or_b32_e32 v130, 0x800000, v66
	v_cmp_eq_u32_e32 vcc_lo, 0, v65
	v_add_nc_u32_e32 v65, 0xffffff91, v65
	v_cndmask_b32_e64 v67, v67, 0x6f, vcc_lo
	s_delay_alu instid0(VALU_DEP_4) | instskip(NEXT) | instid1(VALU_DEP_3)
	v_cndmask_b32_e32 v66, v130, v66, vcc_lo
	v_cndmask_b32_e64 v65, v65, 0xffffff92, vcc_lo
	s_delay_alu instid0(VALU_DEP_3) | instskip(NEXT) | instid1(VALU_DEP_3)
	v_lshl_add_u32 v130, 0x200000, v67, -1
	v_lshrrev_b32_e32 v131, v67, v66
	v_lshlrev_b32_e64 v133, v67, 0x100000
	s_delay_alu instid0(VALU_DEP_4) | instskip(NEXT) | instid1(VALU_DEP_4)
	v_add_nc_u32_e32 v67, v67, v65
	v_and_b32_e32 v66, v130, v66
	s_delay_alu instid0(VALU_DEP_4) | instskip(NEXT) | instid1(VALU_DEP_2)
	v_bfe_u32 v132, v131, 21, 1
	v_cmp_eq_u32_e64 s13, v66, v133
	s_delay_alu instid0(VALU_DEP_2) | instskip(NEXT) | instid1(VALU_DEP_1)
	v_add_nc_u32_e32 v130, -1, v132
	v_cndmask_b32_e64 v66, 0, v130, s13
	v_lshrrev_b32_e32 v130, 23, v131
	s_mov_b32 s13, exec_lo
	s_delay_alu instid0(VALU_DEP_2) | instskip(NEXT) | instid1(VALU_DEP_2)
	v_add_nc_u32_e32 v66, v66, v131
	v_xor_b32_e32 v130, 1, v130
	s_delay_alu instid0(VALU_DEP_2) | instskip(NEXT) | instid1(VALU_DEP_1)
	v_and_b32_e32 v65, 0x1fffff, v66
	v_add_nc_u32_e32 v66, v65, v131
                                        ; implicit-def: $vgpr65
	s_delay_alu instid0(VALU_DEP_3)
	v_cmpx_ne_u32_e64 v67, v130
	s_xor_b32 s13, exec_lo, s13
; %bb.4945:                             ;   in Loop: Header=BB2_4928 Depth=3
	s_delay_alu instid0(VALU_DEP_2) | instskip(SKIP_2) | instid1(VALU_DEP_2)
	v_cmp_lt_u32_e32 vcc_lo, 0xffffff, v66
	v_sub_nc_u32_e32 v65, v67, v130
	v_cndmask_b32_e64 v67, 0, 1, vcc_lo
	v_add_co_ci_u32_e32 v65, vcc_lo, 0, v65, vcc_lo
	s_delay_alu instid0(VALU_DEP_2)
	v_lshrrev_b32_e32 v66, v67, v66
; %bb.4946:                             ;   in Loop: Header=BB2_4928 Depth=3
	s_and_not1_saveexec_b32 s13, s13
; %bb.4947:                             ;   in Loop: Header=BB2_4928 Depth=3
	s_delay_alu instid0(VALU_DEP_1)
	v_bfe_u32 v65, v66, 23, 1
; %bb.4948:                             ;   in Loop: Header=BB2_4928 Depth=3
	s_or_b32 exec_lo, exec_lo, s13
	v_lshrrev_b32_e32 v66, 21, v66
	s_delay_alu instid0(VALU_DEP_2) | instskip(SKIP_2) | instid1(VALU_DEP_4)
	v_cmp_gt_i32_e32 vcc_lo, 32, v65
	v_lshrrev_b32_e32 v64, 24, v64
	v_min_i32_e32 v67, 31, v65
	v_cndmask_b32_e32 v66, 3, v66, vcc_lo
	s_delay_alu instid0(VALU_DEP_3) | instskip(NEXT) | instid1(VALU_DEP_3)
	v_and_b32_e32 v64, 0x80, v64
	v_lshlrev_b32_e32 v67, 2, v67
	s_delay_alu instid0(VALU_DEP_3) | instskip(SKIP_1) | instid1(VALU_DEP_2)
	v_and_b32_e32 v130, 3, v66
	v_or_b32_e32 v65, v65, v66
	v_or3_b32 v64, v67, v64, v130
	s_delay_alu instid0(VALU_DEP_2) | instskip(NEXT) | instid1(VALU_DEP_2)
	v_cmp_ne_u32_e32 vcc_lo, 0, v65
	v_cndmask_b32_e32 v66, 0, v64, vcc_lo
.LBB2_4949:                             ;   in Loop: Header=BB2_4928 Depth=3
	s_or_b32 exec_lo, exec_lo, s16
.LBB2_4950:                             ;   in Loop: Header=BB2_4928 Depth=3
	s_delay_alu instid0(SALU_CYCLE_1) | instskip(SKIP_4) | instid1(VALU_DEP_1)
	s_or_b32 exec_lo, exec_lo, s14
	flat_load_u8 v64, v[53:54] slc dlc
	v_and_b32_e32 v67, 0xff, v66
	s_mov_b32 s13, 0
	s_mov_b32 s16, exec_lo
                                        ; implicit-def: $sgpr14
	v_cmpx_lt_i16_e32 0x7f, v67
	s_xor_b32 s16, exec_lo, s16
	s_cbranch_execnz .LBB2_4973
; %bb.4951:                             ;   in Loop: Header=BB2_4928 Depth=3
	s_or_saveexec_b32 s16, s16
	v_mov_b32_e32 v65, s14
	s_xor_b32 exec_lo, exec_lo, s16
	s_cbranch_execnz .LBB2_4976
.LBB2_4952:                             ;   in Loop: Header=BB2_4928 Depth=3
	s_or_b32 exec_lo, exec_lo, s16
	s_and_saveexec_b32 s14, s13
	s_cbranch_execz .LBB2_4954
.LBB2_4953:                             ;   in Loop: Header=BB2_4928 Depth=3
	v_and_b32_e32 v65, 3, v66
	v_lshrrev_b16 v131, 2, v66
	s_delay_alu instid0(VALU_DEP_2) | instskip(NEXT) | instid1(VALU_DEP_2)
	v_clz_i32_u32_e32 v67, v65
	v_and_b32_e32 v131, 31, v131
	s_delay_alu instid0(VALU_DEP_2) | instskip(NEXT) | instid1(VALU_DEP_2)
	v_min_u32_e32 v67, 32, v67
	v_cmp_eq_u32_e32 vcc_lo, 0, v131
	s_delay_alu instid0(VALU_DEP_2) | instskip(SKIP_1) | instid1(VALU_DEP_1)
	v_subrev_nc_u32_e32 v130, 29, v67
	v_sub_nc_u32_e32 v67, 30, v67
	v_dual_cndmask_b32 v67, v131, v67 :: v_dual_lshlrev_b32 v130, v130, v66
	v_lshlrev_b32_e32 v66, 24, v66
	s_delay_alu instid0(VALU_DEP_2) | instskip(NEXT) | instid1(VALU_DEP_3)
	v_and_b32_e32 v130, 3, v130
	v_lshl_add_u32 v67, v67, 23, 0x37800000
	s_delay_alu instid0(VALU_DEP_3) | instskip(NEXT) | instid1(VALU_DEP_3)
	v_and_b32_e32 v66, 0x80000000, v66
	v_cndmask_b32_e32 v65, v65, v130, vcc_lo
	s_delay_alu instid0(VALU_DEP_1) | instskip(NEXT) | instid1(VALU_DEP_1)
	v_lshlrev_b32_e32 v65, 21, v65
	v_or3_b32 v65, v66, v67, v65
.LBB2_4954:                             ;   in Loop: Header=BB2_4928 Depth=3
	s_or_b32 exec_lo, exec_lo, s14
	s_waitcnt vmcnt(0) lgkmcnt(0)
	v_and_b32_e32 v67, 0xff, v64
	s_mov_b32 s13, 0
	s_mov_b32 s16, exec_lo
                                        ; implicit-def: $sgpr14
	s_delay_alu instid0(VALU_DEP_1)
	v_cmpx_lt_i16_e32 0x7f, v67
	s_xor_b32 s16, exec_lo, s16
	s_cbranch_execnz .LBB2_4977
; %bb.4955:                             ;   in Loop: Header=BB2_4928 Depth=3
	s_or_saveexec_b32 s16, s16
	v_mov_b32_e32 v66, s14
	s_xor_b32 exec_lo, exec_lo, s16
	s_cbranch_execnz .LBB2_4980
.LBB2_4956:                             ;   in Loop: Header=BB2_4928 Depth=3
	s_or_b32 exec_lo, exec_lo, s16
	s_and_saveexec_b32 s14, s13
	s_cbranch_execz .LBB2_4958
.LBB2_4957:                             ;   in Loop: Header=BB2_4928 Depth=3
	v_lshrrev_b16 v131, 2, v64
	s_delay_alu instid0(VALU_DEP_1) | instskip(NEXT) | instid1(VALU_DEP_1)
	v_and_b32_e32 v131, 31, v131
	v_cmp_eq_u32_e32 vcc_lo, 0, v131
	v_and_b32_e32 v66, 3, v64
	s_delay_alu instid0(VALU_DEP_1) | instskip(NEXT) | instid1(VALU_DEP_1)
	v_clz_i32_u32_e32 v67, v66
	v_min_u32_e32 v67, 32, v67
	s_delay_alu instid0(VALU_DEP_1) | instskip(SKIP_1) | instid1(VALU_DEP_1)
	v_subrev_nc_u32_e32 v130, 29, v67
	v_sub_nc_u32_e32 v67, 30, v67
	v_dual_cndmask_b32 v67, v131, v67 :: v_dual_lshlrev_b32 v130, v130, v64
	v_lshlrev_b32_e32 v64, 24, v64
	s_delay_alu instid0(VALU_DEP_2) | instskip(NEXT) | instid1(VALU_DEP_3)
	v_and_b32_e32 v130, 3, v130
	v_lshl_add_u32 v67, v67, 23, 0x37800000
	s_delay_alu instid0(VALU_DEP_3) | instskip(NEXT) | instid1(VALU_DEP_3)
	v_and_b32_e32 v64, 0x80000000, v64
	v_cndmask_b32_e32 v66, v66, v130, vcc_lo
	s_delay_alu instid0(VALU_DEP_1) | instskip(NEXT) | instid1(VALU_DEP_1)
	v_lshlrev_b32_e32 v66, 21, v66
	v_or3_b32 v66, v64, v67, v66
.LBB2_4958:                             ;   in Loop: Header=BB2_4928 Depth=3
	s_or_b32 exec_lo, exec_lo, s14
	s_delay_alu instid0(VALU_DEP_1) | instskip(NEXT) | instid1(VALU_DEP_1)
	v_add_f32_e32 v64, v65, v66
	v_and_b32_e32 v65, 0x7f800000, v64
	s_delay_alu instid0(VALU_DEP_1)
	v_cmp_ne_u32_e32 vcc_lo, 0x7f800000, v65
	v_mov_b32_e32 v65, 0x80
	s_and_saveexec_b32 s14, vcc_lo
	s_cbranch_execz .LBB2_4966
; %bb.4959:                             ;   in Loop: Header=BB2_4928 Depth=3
	v_mov_b32_e32 v65, 0
	s_mov_b32 s16, exec_lo
	v_cmpx_ne_u32_e32 0, v64
	s_cbranch_execz .LBB2_4965
; %bb.4960:                             ;   in Loop: Header=BB2_4928 Depth=3
	v_bfe_u32 v65, v64, 23, 8
	s_delay_alu instid0(VALU_DEP_1) | instskip(SKIP_1) | instid1(VALU_DEP_2)
	v_sub_nc_u32_e32 v67, 0x70, v65
	v_cmp_gt_u32_e32 vcc_lo, 0x71, v65
	v_dual_cndmask_b32 v67, 0, v67 :: v_dual_and_b32 v66, 0x7fffff, v64
	s_delay_alu instid0(VALU_DEP_1) | instskip(SKIP_2) | instid1(VALU_DEP_4)
	v_or_b32_e32 v130, 0x800000, v66
	v_cmp_eq_u32_e32 vcc_lo, 0, v65
	v_add_nc_u32_e32 v65, 0xffffff91, v65
	v_cndmask_b32_e64 v67, v67, 0x6f, vcc_lo
	s_delay_alu instid0(VALU_DEP_4) | instskip(NEXT) | instid1(VALU_DEP_3)
	v_cndmask_b32_e32 v66, v130, v66, vcc_lo
	v_cndmask_b32_e64 v65, v65, 0xffffff92, vcc_lo
	s_delay_alu instid0(VALU_DEP_3) | instskip(NEXT) | instid1(VALU_DEP_3)
	v_lshl_add_u32 v130, 0x200000, v67, -1
	v_lshrrev_b32_e32 v131, v67, v66
	v_lshlrev_b32_e64 v133, v67, 0x100000
	s_delay_alu instid0(VALU_DEP_4) | instskip(NEXT) | instid1(VALU_DEP_4)
	v_add_nc_u32_e32 v67, v67, v65
	v_and_b32_e32 v66, v130, v66
	s_delay_alu instid0(VALU_DEP_4) | instskip(NEXT) | instid1(VALU_DEP_2)
	v_bfe_u32 v132, v131, 21, 1
	v_cmp_eq_u32_e64 s13, v66, v133
	s_delay_alu instid0(VALU_DEP_2) | instskip(NEXT) | instid1(VALU_DEP_1)
	v_add_nc_u32_e32 v130, -1, v132
	v_cndmask_b32_e64 v66, 0, v130, s13
	v_lshrrev_b32_e32 v130, 23, v131
	s_mov_b32 s13, exec_lo
	s_delay_alu instid0(VALU_DEP_2) | instskip(NEXT) | instid1(VALU_DEP_2)
	v_add_nc_u32_e32 v66, v66, v131
	v_xor_b32_e32 v130, 1, v130
	s_delay_alu instid0(VALU_DEP_2) | instskip(NEXT) | instid1(VALU_DEP_1)
	v_and_b32_e32 v65, 0x1fffff, v66
	v_add_nc_u32_e32 v66, v65, v131
                                        ; implicit-def: $vgpr65
	s_delay_alu instid0(VALU_DEP_3)
	v_cmpx_ne_u32_e64 v67, v130
	s_xor_b32 s13, exec_lo, s13
; %bb.4961:                             ;   in Loop: Header=BB2_4928 Depth=3
	s_delay_alu instid0(VALU_DEP_2) | instskip(SKIP_2) | instid1(VALU_DEP_2)
	v_cmp_lt_u32_e32 vcc_lo, 0xffffff, v66
	v_sub_nc_u32_e32 v65, v67, v130
	v_cndmask_b32_e64 v67, 0, 1, vcc_lo
	v_add_co_ci_u32_e32 v65, vcc_lo, 0, v65, vcc_lo
	s_delay_alu instid0(VALU_DEP_2)
	v_lshrrev_b32_e32 v66, v67, v66
; %bb.4962:                             ;   in Loop: Header=BB2_4928 Depth=3
	s_and_not1_saveexec_b32 s13, s13
; %bb.4963:                             ;   in Loop: Header=BB2_4928 Depth=3
	s_delay_alu instid0(VALU_DEP_1)
	v_bfe_u32 v65, v66, 23, 1
; %bb.4964:                             ;   in Loop: Header=BB2_4928 Depth=3
	s_or_b32 exec_lo, exec_lo, s13
	v_lshrrev_b32_e32 v66, 21, v66
	s_delay_alu instid0(VALU_DEP_2) | instskip(SKIP_2) | instid1(VALU_DEP_2)
	v_cmp_gt_i32_e32 vcc_lo, 32, v65
	v_min_i32_e32 v67, 31, v65
	v_lshrrev_b32_e32 v64, 24, v64
	v_dual_cndmask_b32 v66, 3, v66 :: v_dual_lshlrev_b32 v67, 2, v67
	s_delay_alu instid0(VALU_DEP_2) | instskip(NEXT) | instid1(VALU_DEP_2)
	v_and_b32_e32 v64, 0x80, v64
	v_or_b32_e32 v65, v65, v66
	s_delay_alu instid0(VALU_DEP_1) | instskip(SKIP_1) | instid1(VALU_DEP_1)
	v_cmp_ne_u32_e32 vcc_lo, 0, v65
	v_and_b32_e32 v130, 3, v66
	v_or3_b32 v64, v67, v64, v130
	s_delay_alu instid0(VALU_DEP_1)
	v_cndmask_b32_e32 v65, 0, v64, vcc_lo
.LBB2_4965:                             ;   in Loop: Header=BB2_4928 Depth=3
	s_or_b32 exec_lo, exec_lo, s16
.LBB2_4966:                             ;   in Loop: Header=BB2_4928 Depth=3
	s_delay_alu instid0(SALU_CYCLE_1)
	s_or_b32 exec_lo, exec_lo, s14
	s_mov_b64 s[16:17], 0
	s_mov_b32 s34, -1
.LBB2_4967:                             ;   Parent Loop BB2_51 Depth=1
                                        ;     Parent Loop BB2_3186 Depth=2
                                        ;       Parent Loop BB2_4928 Depth=3
                                        ; =>      This Inner Loop Header: Depth=4
	s_cmp_eq_u32 s16, 1
	s_cselect_b32 vcc_lo, -1, 0
	s_cmp_eq_u32 s16, 0
	v_dual_cndmask_b32 v67, v9, v11 :: v_dual_cndmask_b32 v66, v8, v10
	s_mov_b64 s[16:17], 1
	s_delay_alu instid0(VALU_DEP_1) | instskip(NEXT) | instid1(VALU_DEP_1)
	v_add_co_u32 v64, s13, v66, 32
	v_add_co_ci_u32_e64 v130, s13, 0, v67, s13
	s_cselect_b32 s13, -1, 0
	s_and_b32 s14, exec_lo, s34
	s_delay_alu instid0(VALU_DEP_1)
	v_dual_cndmask_b32 v10, v10, v64 :: v_dual_cndmask_b32 v11, v11, v130
	v_cndmask_b32_e64 v9, v9, v130, s13
	v_cndmask_b32_e64 v8, v8, v64, s13
	s_mov_b32 s34, 0
	s_mov_b32 vcc_lo, s14
	flat_store_b8 v[66:67], v65 glc slc dlc
	s_cbranch_vccnz .LBB2_4967
; %bb.4968:                             ;   in Loop: Header=BB2_4928 Depth=3
	v_add_co_u32 v51, vcc_lo, v51, v102
	v_add_co_ci_u32_e32 v52, vcc_lo, v52, v103, vcc_lo
	v_add_co_u32 v53, vcc_lo, v53, v102
	v_sub_nc_u32_e32 v2, v2, v87
	v_add_co_ci_u32_e32 v54, vcc_lo, v54, v103, vcc_lo
	v_add_co_u32 v8, vcc_lo, v8, v98
	v_add_co_ci_u32_e32 v9, vcc_lo, v9, v101, vcc_lo
	s_delay_alu instid0(VALU_DEP_4) | instskip(SKIP_1) | instid1(VALU_DEP_1)
	v_cmp_gt_i32_e32 vcc_lo, 1, v2
	v_add_co_u32 v10, s13, v10, v98
	v_add_co_ci_u32_e64 v11, s13, v11, v101, s13
	s_or_b32 s31, vcc_lo, s31
	s_delay_alu instid0(SALU_CYCLE_1)
	s_and_not1_b32 exec_lo, exec_lo, s31
	s_cbranch_execnz .LBB2_4928
	s_branch .LBB2_4981
.LBB2_4969:                             ;   in Loop: Header=BB2_4928 Depth=3
	s_mov_b32 s13, -1
	s_mov_b32 s17, exec_lo
                                        ; implicit-def: $sgpr14
	v_cmpx_eq_u16_e32 0x80, v64
; %bb.4970:                             ;   in Loop: Header=BB2_4928 Depth=3
	s_mov_b32 s14, 0x7f800001
	s_xor_b32 s13, exec_lo, -1
; %bb.4971:                             ;   in Loop: Header=BB2_4928 Depth=3
	s_or_b32 exec_lo, exec_lo, s17
	s_delay_alu instid0(SALU_CYCLE_1)
	s_and_b32 s13, s13, exec_lo
	s_or_saveexec_b32 s16, s16
	v_mov_b32_e32 v66, s14
	s_xor_b32 exec_lo, exec_lo, s16
	s_cbranch_execz .LBB2_4940
.LBB2_4972:                             ;   in Loop: Header=BB2_4928 Depth=3
	v_cmp_ne_u16_e32 vcc_lo, 0, v64
	v_mov_b32_e32 v66, 0
	s_and_not1_b32 s13, s13, exec_lo
	s_and_b32 s14, vcc_lo, exec_lo
	s_delay_alu instid0(SALU_CYCLE_1)
	s_or_b32 s13, s13, s14
	s_or_b32 exec_lo, exec_lo, s16
	s_and_saveexec_b32 s14, s13
	s_cbranch_execnz .LBB2_4941
	s_branch .LBB2_4942
.LBB2_4973:                             ;   in Loop: Header=BB2_4928 Depth=3
	s_mov_b32 s13, -1
	s_mov_b32 s17, exec_lo
                                        ; implicit-def: $sgpr14
	v_cmpx_eq_u16_e32 0x80, v67
; %bb.4974:                             ;   in Loop: Header=BB2_4928 Depth=3
	s_mov_b32 s14, 0x7f800001
	s_xor_b32 s13, exec_lo, -1
; %bb.4975:                             ;   in Loop: Header=BB2_4928 Depth=3
	s_or_b32 exec_lo, exec_lo, s17
	s_delay_alu instid0(SALU_CYCLE_1)
	s_and_b32 s13, s13, exec_lo
                                        ; implicit-def: $vgpr67
	s_or_saveexec_b32 s16, s16
	v_mov_b32_e32 v65, s14
	s_xor_b32 exec_lo, exec_lo, s16
	s_cbranch_execz .LBB2_4952
.LBB2_4976:                             ;   in Loop: Header=BB2_4928 Depth=3
	v_cmp_ne_u16_e32 vcc_lo, 0, v67
	v_mov_b32_e32 v65, 0
	s_and_not1_b32 s13, s13, exec_lo
	s_and_b32 s14, vcc_lo, exec_lo
	s_delay_alu instid0(SALU_CYCLE_1)
	s_or_b32 s13, s13, s14
	s_or_b32 exec_lo, exec_lo, s16
	s_and_saveexec_b32 s14, s13
	s_cbranch_execnz .LBB2_4953
	s_branch .LBB2_4954
.LBB2_4977:                             ;   in Loop: Header=BB2_4928 Depth=3
	s_mov_b32 s13, -1
	s_mov_b32 s17, exec_lo
                                        ; implicit-def: $sgpr14
	v_cmpx_eq_u16_e32 0x80, v67
; %bb.4978:                             ;   in Loop: Header=BB2_4928 Depth=3
	s_mov_b32 s14, 0x7f800001
	s_xor_b32 s13, exec_lo, -1
; %bb.4979:                             ;   in Loop: Header=BB2_4928 Depth=3
	s_or_b32 exec_lo, exec_lo, s17
	s_delay_alu instid0(SALU_CYCLE_1)
	s_and_b32 s13, s13, exec_lo
                                        ; implicit-def: $vgpr67
	s_or_saveexec_b32 s16, s16
	v_mov_b32_e32 v66, s14
	s_xor_b32 exec_lo, exec_lo, s16
	s_cbranch_execz .LBB2_4956
.LBB2_4980:                             ;   in Loop: Header=BB2_4928 Depth=3
	v_cmp_ne_u16_e32 vcc_lo, 0, v67
	v_mov_b32_e32 v66, 0
	s_and_not1_b32 s13, s13, exec_lo
	s_and_b32 s14, vcc_lo, exec_lo
	s_delay_alu instid0(SALU_CYCLE_1)
	s_or_b32 s13, s13, s14
	s_or_b32 exec_lo, exec_lo, s16
	s_and_saveexec_b32 s14, s13
	s_cbranch_execnz .LBB2_4957
	s_branch .LBB2_4958
.LBB2_4981:                             ;   in Loop: Header=BB2_3186 Depth=2
	s_or_b32 exec_lo, exec_lo, s30
.LBB2_4982:                             ;   in Loop: Header=BB2_3186 Depth=2
	s_delay_alu instid0(SALU_CYCLE_1)
	s_or_b32 exec_lo, exec_lo, s15
	s_mov_b32 s13, 0
.LBB2_4983:                             ;   in Loop: Header=BB2_3186 Depth=2
	s_delay_alu instid0(SALU_CYCLE_1)
	s_and_b32 vcc_lo, exec_lo, s13
	s_cbranch_vccz .LBB2_6695
; %bb.4984:                             ;   in Loop: Header=BB2_3186 Depth=2
	s_mov_b32 s13, -1
	s_and_saveexec_b32 s14, s12
	s_cbranch_execz .LBB2_4986
; %bb.4985:                             ;   in Loop: Header=BB2_3186 Depth=2
	ds_load_b32 v2, v0 offset:720
	s_waitcnt lgkmcnt(0)
	v_and_b32_e32 v2, 15, v2
	s_delay_alu instid0(VALU_DEP_1)
	v_cmp_eq_u32_e32 vcc_lo, 0, v2
	s_or_not1_b32 s13, vcc_lo, exec_lo
.LBB2_4986:                             ;   in Loop: Header=BB2_3186 Depth=2
	s_or_b32 exec_lo, exec_lo, s14
	s_and_saveexec_b32 s14, s5
	s_cbranch_execz .LBB2_4988
; %bb.4987:                             ;   in Loop: Header=BB2_3186 Depth=2
	ds_load_b32 v2, v0 offset:784
	s_waitcnt lgkmcnt(0)
	v_and_b32_e32 v2, 15, v2
	s_delay_alu instid0(VALU_DEP_1) | instskip(SKIP_3) | instid1(SALU_CYCLE_1)
	v_cmp_eq_u32_e32 vcc_lo, 0, v2
	s_and_b32 s15, s13, vcc_lo
	s_and_not1_b32 s13, s13, exec_lo
	s_and_b32 s15, s15, exec_lo
	s_or_b32 s13, s13, s15
.LBB2_4988:                             ;   in Loop: Header=BB2_3186 Depth=2
	s_or_b32 exec_lo, exec_lo, s14
	s_xor_b32 s13, s13, -1
	v_dual_mov_b32 v64, 0 :: v_dual_mov_b32 v65, v129
	v_cndmask_b32_e64 v2, 0, 1, s13
	;;#ASMSTART
	;;#ASMEND
	s_delay_alu instid0(VALU_DEP_1)
	v_cmp_ne_u32_e32 vcc_lo, 0, v2
	v_mov_b32_e32 v133, v0
	v_mov_b32_e32 v8, v80
	s_mov_b32 s16, -1
	s_cbranch_vccnz .LBB2_6302
; %bb.4989:                             ;   in Loop: Header=BB2_3186 Depth=2
	v_ashrrev_i32_e32 v2, 31, v129
	v_sub_nc_u32_e32 v66, v129, v112
	s_mov_b32 s15, exec_lo
	s_delay_alu instid0(VALU_DEP_2) | instskip(NEXT) | instid1(VALU_DEP_1)
	v_lshrrev_b32_e32 v2, 23, v2
	v_add_nc_u32_e32 v8, v129, v2
	s_delay_alu instid0(VALU_DEP_1) | instskip(SKIP_1) | instid1(VALU_DEP_2)
	v_and_b32_e32 v2, 0xfffffe00, v8
	v_ashrrev_i32_e32 v8, 9, v8
	v_sub_nc_u32_e32 v67, v129, v2
	s_delay_alu instid0(VALU_DEP_1) | instskip(NEXT) | instid1(VALU_DEP_1)
	v_cmp_lt_i32_e64 s13, 15, v67
	v_add_co_ci_u32_e64 v130, vcc_lo, v8, v113, s13
	v_cmpx_lt_i32_e32 15, v66
	s_cbranch_execz .LBB2_5643
; %bb.4990:                             ;   in Loop: Header=BB2_3186 Depth=2
	s_cbranch_execnz .LBB2_7783
; %bb.4991:                             ;   in Loop: Header=BB2_3186 Depth=2
	ds_load_b64 v[131:132], v0
	ds_load_b128 v[8:11], v0
	s_waitcnt lgkmcnt(1)
	v_readfirstlane_b32 s14, v131
	s_waitcnt lgkmcnt(0)
	v_add_co_u32 v51, vcc_lo, v8, v112
	v_add_co_ci_u32_e32 v52, vcc_lo, v9, v114, vcc_lo
	s_delay_alu instid0(VALU_DEP_3)
	s_and_b32 s16, s14, 3
	v_add_co_u32 v53, vcc_lo, v10, v112
	s_clz_i32_u32 s17, s16
	v_add_co_ci_u32_e32 v54, vcc_lo, v11, v114, vcc_lo
	s_min_u32 s17, s17, 32
	s_bfe_u32 s30, s14, 0x50002
	s_sub_i32 vcc_lo, s17, 29
	s_sub_i32 s17, 30, s17
	s_lshl_b32 vcc_lo, s14, vcc_lo
	s_delay_alu instid0(SALU_CYCLE_1)
	s_and_b32 s31, vcc_lo, 3
	s_cmp_eq_u32 s30, 0
	v_add_co_u32 v64, vcc_lo, v131, v112
	s_cselect_b32 s17, s17, s30
	s_cselect_b32 s16, s31, s16
	v_add_co_ci_u32_e32 v65, vcc_lo, v132, v114, vcc_lo
	s_lshl_b32 s14, s14, 24
	s_lshl_b32 vcc_lo, s16, 21
	s_lshl_b32 s16, s17, 23
	s_and_b32 s14, s14, 0x80000000
	s_add_i32 s16, s16, 0x37800000
	v_and_b32_e32 v131, 0xff, v131
	s_or_b32 s14, s14, s16
	s_mov_b32 s16, 0
	s_or_b32 s17, s14, vcc_lo
	s_branch .LBB2_4995
.LBB2_4992:                             ;   in Loop: Header=BB2_4995 Depth=3
	s_or_b32 exec_lo, exec_lo, s14
	s_delay_alu instid0(VALU_DEP_1) | instskip(NEXT) | instid1(VALU_DEP_2)
	v_lshrrev_b32_e32 v145, 21, v145
	v_cmp_gt_i32_e32 vcc_lo, 32, v135
	v_min_i32_e32 v162, 31, v135
	v_lshrrev_b32_e32 v11, 24, v11
	s_delay_alu instid0(VALU_DEP_2) | instskip(NEXT) | instid1(VALU_DEP_2)
	v_dual_cndmask_b32 v145, 3, v145 :: v_dual_lshlrev_b32 v162, 2, v162
	v_and_b32_e32 v11, 0x80, v11
	s_delay_alu instid0(VALU_DEP_2) | instskip(SKIP_1) | instid1(VALU_DEP_2)
	v_or_b32_e32 v135, v135, v145
	v_and_b32_e32 v163, 3, v145
	v_cmp_ne_u32_e32 vcc_lo, 0, v135
	v_and_b32_e32 v162, 0xfc, v162
	s_delay_alu instid0(VALU_DEP_1) | instskip(NEXT) | instid1(VALU_DEP_1)
	v_or3_b32 v11, v11, v162, v163
	v_lshlrev_b32_e32 v11, 8, v11
	s_delay_alu instid0(VALU_DEP_1)
	v_cndmask_b32_e32 v135, 0, v11, vcc_lo
.LBB2_4993:                             ;   in Loop: Header=BB2_4995 Depth=3
	s_or_b32 exec_lo, exec_lo, s31
.LBB2_4994:                             ;   in Loop: Header=BB2_4995 Depth=3
	s_delay_alu instid0(SALU_CYCLE_1)
	s_or_b32 exec_lo, exec_lo, s30
	v_or_b32_e32 v9, v9, v151
	v_and_b32_e32 v11, 0xff, v150
	v_lshlrev_b32_e32 v144, 8, v144
	v_and_b32_e32 v146, 0xff, v146
	v_lshlrev_b32_e32 v147, 8, v147
	v_or_b32_e32 v133, v135, v133
	v_and_b32_e32 v145, 0xff, v160
	v_lshlrev_b32_e32 v8, 24, v8
	v_lshlrev_b32_e32 v9, 16, v9
	;; [unrolled: 1-line block ×3, first 2 shown]
	v_perm_b32 v132, v144, v132, 0xc0c0500
	v_lshlrev_b32_e32 v10, 24, v10
	v_lshlrev_b32_e32 v135, 16, v146
	v_perm_b32 v144, v147, v149, 0xc0c0500
	v_and_b32_e32 v134, 0xff, v134
	v_lshlrev_b32_e32 v133, 16, v133
	v_add_co_u32 v51, vcc_lo, v51, v96
	v_or3_b32 v9, v161, v145, v9
	v_or3_b32 v8, v8, v11, v132
	;; [unrolled: 1-line block ×4, first 2 shown]
	v_sub_nc_u32_e32 v66, v66, v82
	v_add_co_ci_u32_e32 v52, vcc_lo, v52, v97, vcc_lo
	v_add_co_u32 v53, vcc_lo, v53, v96
	v_add_co_ci_u32_e32 v54, vcc_lo, v54, v97, vcc_lo
	global_store_b128 v[64:65], v[8:11], off glc slc dlc
	v_cmp_gt_i32_e32 vcc_lo, 16, v66
	v_add_co_u32 v64, s14, v64, v96
	s_delay_alu instid0(VALU_DEP_1) | instskip(SKIP_2) | instid1(SALU_CYCLE_1)
	v_add_co_ci_u32_e64 v65, s14, v65, v97, s14
	v_sub_nc_u32_e32 v130, v130, v71
	s_or_b32 s16, vcc_lo, s16
	s_and_not1_b32 exec_lo, exec_lo, s16
	s_cbranch_execz .LBB2_5642
.LBB2_4995:                             ;   Parent Loop BB2_51 Depth=1
                                        ;     Parent Loop BB2_3186 Depth=2
                                        ; =>    This Inner Loop Header: Depth=3
	v_cmp_gt_i16_e64 vcc_lo, 0x80, v131
	s_delay_alu instid0(VALU_DEP_1)
	s_and_b32 vcc_lo, exec_lo, vcc_lo
	s_cbranch_vccnz .LBB2_4999
; %bb.4996:                             ;   in Loop: Header=BB2_4995 Depth=3
	v_cmp_eq_u16_e64 vcc_lo, 0x80, v131
	s_mov_b32 s14, -1
                                        ; implicit-def: $sgpr30
	s_delay_alu instid0(VALU_DEP_1)
	s_and_b32 vcc_lo, exec_lo, vcc_lo
	s_cbranch_vccz .LBB2_4998
; %bb.4997:                             ;   in Loop: Header=BB2_4995 Depth=3
	s_mov_b32 s14, 0
	s_mov_b32 s30, 0x7f800001
.LBB2_4998:                             ;   in Loop: Header=BB2_4995 Depth=3
	s_mov_b32 vcc_lo, 0
	s_branch .LBB2_5000
.LBB2_4999:                             ;   in Loop: Header=BB2_4995 Depth=3
	s_mov_b32 vcc_lo, -1
	s_mov_b32 s14, 0
                                        ; implicit-def: $sgpr30
.LBB2_5000:                             ;   in Loop: Header=BB2_4995 Depth=3
	s_and_b32 vcc_lo, exec_lo, vcc_lo
	s_cbranch_vccz .LBB2_5002
; %bb.5001:                             ;   in Loop: Header=BB2_4995 Depth=3
	v_cmp_ne_u16_e64 s14, 0, v131
	s_mov_b32 s30, 0
.LBB2_5002:                             ;   in Loop: Header=BB2_4995 Depth=3
	s_delay_alu instid0(VALU_DEP_1)
	s_and_not1_b32 vcc_lo, exec_lo, s14
	s_cbranch_vccnz .LBB2_5004
; %bb.5003:                             ;   in Loop: Header=BB2_4995 Depth=3
	s_mov_b32 s30, s17
.LBB2_5004:                             ;   in Loop: Header=BB2_4995 Depth=3
	global_load_b128 v[8:11], v[51:52], off slc dlc
	s_mov_b32 s14, 0
	s_mov_b32 s34, exec_lo
                                        ; implicit-def: $sgpr31
	s_waitcnt vmcnt(0)
	v_and_b32_e32 v133, 0xff, v8
	s_delay_alu instid0(VALU_DEP_1)
	v_cmpx_lt_i16_e64 0x7f, v133
	s_xor_b32 s34, exec_lo, s34
	s_cbranch_execnz .LBB2_5450
; %bb.5005:                             ;   in Loop: Header=BB2_4995 Depth=3
	s_or_saveexec_b32 s34, s34
	v_mov_b32_e32 v132, s31
	s_xor_b32 exec_lo, exec_lo, s34
	s_cbranch_execnz .LBB2_5453
.LBB2_5006:                             ;   in Loop: Header=BB2_4995 Depth=3
	s_or_b32 exec_lo, exec_lo, s34
	s_and_saveexec_b32 s31, s14
	s_cbranch_execz .LBB2_5008
.LBB2_5007:                             ;   in Loop: Header=BB2_4995 Depth=3
	v_bfe_u32 v135, v8, 2, 5
	v_lshlrev_b32_e32 v144, 24, v8
	s_delay_alu instid0(VALU_DEP_2) | instskip(SKIP_1) | instid1(VALU_DEP_1)
	v_cmp_eq_u32_e32 vcc_lo, 0, v135
	v_and_b32_e32 v132, 3, v8
	v_clz_i32_u32_e32 v133, v132
	s_delay_alu instid0(VALU_DEP_1) | instskip(NEXT) | instid1(VALU_DEP_1)
	v_min_u32_e32 v133, 32, v133
	v_subrev_nc_u32_e32 v134, 29, v133
	v_sub_nc_u32_e32 v133, 30, v133
	s_delay_alu instid0(VALU_DEP_1) | instskip(NEXT) | instid1(VALU_DEP_1)
	v_dual_cndmask_b32 v133, v135, v133 :: v_dual_lshlrev_b32 v134, v134, v8
	v_and_b32_e32 v134, 3, v134
	s_delay_alu instid0(VALU_DEP_2) | instskip(NEXT) | instid1(VALU_DEP_2)
	v_lshl_add_u32 v133, v133, 23, 0x37800000
	v_cndmask_b32_e32 v132, v132, v134, vcc_lo
	v_and_b32_e32 v134, 0x80000000, v144
	s_delay_alu instid0(VALU_DEP_2) | instskip(NEXT) | instid1(VALU_DEP_1)
	v_lshlrev_b32_e32 v132, 21, v132
	v_or3_b32 v132, v134, v133, v132
.LBB2_5008:                             ;   in Loop: Header=BB2_4995 Depth=3
	s_or_b32 exec_lo, exec_lo, s31
	s_delay_alu instid0(VALU_DEP_1) | instskip(NEXT) | instid1(VALU_DEP_1)
	v_mul_f32_e32 v133, s30, v132
	v_and_b32_e32 v132, 0x7f800000, v133
	s_delay_alu instid0(VALU_DEP_1)
	v_cmp_ne_u32_e32 vcc_lo, 0x7f800000, v132
	v_mov_b32_e32 v132, 0x80
	s_and_saveexec_b32 s31, vcc_lo
	s_cbranch_execz .LBB2_5016
; %bb.5009:                             ;   in Loop: Header=BB2_4995 Depth=3
	v_mov_b32_e32 v132, 0
	s_mov_b32 s34, exec_lo
	v_cmpx_ne_u32_e32 0, v133
	s_cbranch_execz .LBB2_5015
; %bb.5010:                             ;   in Loop: Header=BB2_4995 Depth=3
	v_bfe_u32 v132, v133, 23, 8
	s_delay_alu instid0(VALU_DEP_1) | instskip(SKIP_1) | instid1(VALU_DEP_2)
	v_sub_nc_u32_e32 v135, 0x70, v132
	v_cmp_gt_u32_e32 vcc_lo, 0x71, v132
	v_dual_cndmask_b32 v135, 0, v135 :: v_dual_and_b32 v134, 0x7fffff, v133
	s_delay_alu instid0(VALU_DEP_1) | instskip(SKIP_2) | instid1(VALU_DEP_4)
	v_or_b32_e32 v144, 0x800000, v134
	v_cmp_eq_u32_e32 vcc_lo, 0, v132
	v_add_nc_u32_e32 v132, 0xffffff91, v132
	v_cndmask_b32_e64 v135, v135, 0x6f, vcc_lo
	s_delay_alu instid0(VALU_DEP_2) | instskip(SKIP_1) | instid1(VALU_DEP_3)
	v_cndmask_b32_e64 v132, v132, 0xffffff92, vcc_lo
	v_cndmask_b32_e32 v134, v144, v134, vcc_lo
	v_lshl_add_u32 v144, 0x200000, v135, -1
	v_lshlrev_b32_e64 v147, v135, 0x100000
	s_delay_alu instid0(VALU_DEP_3) | instskip(SKIP_1) | instid1(VALU_DEP_4)
	v_lshrrev_b32_e32 v145, v135, v134
	v_add_nc_u32_e32 v135, v135, v132
	v_and_b32_e32 v134, v144, v134
	s_delay_alu instid0(VALU_DEP_3) | instskip(NEXT) | instid1(VALU_DEP_2)
	v_bfe_u32 v146, v145, 21, 1
	v_cmp_eq_u32_e64 s14, v134, v147
	s_delay_alu instid0(VALU_DEP_2) | instskip(NEXT) | instid1(VALU_DEP_1)
	v_add_nc_u32_e32 v144, -1, v146
	v_cndmask_b32_e64 v134, 0, v144, s14
	v_lshrrev_b32_e32 v144, 23, v145
	s_mov_b32 s14, exec_lo
	s_delay_alu instid0(VALU_DEP_2) | instskip(NEXT) | instid1(VALU_DEP_2)
	v_add_nc_u32_e32 v134, v134, v145
	v_xor_b32_e32 v144, 1, v144
	s_delay_alu instid0(VALU_DEP_2) | instskip(NEXT) | instid1(VALU_DEP_1)
	v_and_b32_e32 v132, 0x1fffff, v134
	v_add_nc_u32_e32 v134, v132, v145
                                        ; implicit-def: $vgpr132
	s_delay_alu instid0(VALU_DEP_3)
	v_cmpx_ne_u32_e64 v135, v144
	s_xor_b32 s14, exec_lo, s14
; %bb.5011:                             ;   in Loop: Header=BB2_4995 Depth=3
	s_delay_alu instid0(VALU_DEP_2) | instskip(SKIP_2) | instid1(VALU_DEP_2)
	v_cmp_lt_u32_e32 vcc_lo, 0xffffff, v134
	v_sub_nc_u32_e32 v132, v135, v144
	v_cndmask_b32_e64 v135, 0, 1, vcc_lo
	v_add_co_ci_u32_e32 v132, vcc_lo, 0, v132, vcc_lo
	s_delay_alu instid0(VALU_DEP_2)
	v_lshrrev_b32_e32 v134, v135, v134
; %bb.5012:                             ;   in Loop: Header=BB2_4995 Depth=3
	s_and_not1_saveexec_b32 s14, s14
; %bb.5013:                             ;   in Loop: Header=BB2_4995 Depth=3
	s_delay_alu instid0(VALU_DEP_1)
	v_bfe_u32 v132, v134, 23, 1
; %bb.5014:                             ;   in Loop: Header=BB2_4995 Depth=3
	s_or_b32 exec_lo, exec_lo, s14
	v_lshrrev_b32_e32 v134, 21, v134
	s_delay_alu instid0(VALU_DEP_2) | instskip(SKIP_2) | instid1(VALU_DEP_2)
	v_cmp_gt_i32_e32 vcc_lo, 32, v132
	v_lshrrev_b32_e32 v133, 24, v133
	v_min_i32_e32 v135, 31, v132
	v_dual_cndmask_b32 v134, 3, v134 :: v_dual_and_b32 v133, 0x80, v133
	s_delay_alu instid0(VALU_DEP_1) | instskip(SKIP_1) | instid1(VALU_DEP_2)
	v_or_b32_e32 v132, v132, v134
	v_and_b32_e32 v144, 3, v134
	v_cmp_ne_u32_e32 vcc_lo, 0, v132
	v_lshlrev_b32_e32 v135, 2, v135
	s_delay_alu instid0(VALU_DEP_1) | instskip(NEXT) | instid1(VALU_DEP_1)
	v_or3_b32 v133, v135, v133, v144
	v_cndmask_b32_e32 v132, 0, v133, vcc_lo
.LBB2_5015:                             ;   in Loop: Header=BB2_4995 Depth=3
	s_or_b32 exec_lo, exec_lo, s34
.LBB2_5016:                             ;   in Loop: Header=BB2_4995 Depth=3
	s_delay_alu instid0(SALU_CYCLE_1) | instskip(SKIP_3) | instid1(VALU_DEP_1)
	s_or_b32 exec_lo, exec_lo, s31
	v_lshrrev_b16 v133, 8, v8
	s_mov_b32 s14, 0
	s_mov_b32 s34, exec_lo
                                        ; implicit-def: $sgpr31
	v_cmpx_lt_i16_e64 0x7f, v133
	s_xor_b32 s34, exec_lo, s34
	s_cbranch_execnz .LBB2_5454
; %bb.5017:                             ;   in Loop: Header=BB2_4995 Depth=3
	s_or_saveexec_b32 s34, s34
	v_mov_b32_e32 v134, s31
	s_xor_b32 exec_lo, exec_lo, s34
	s_cbranch_execnz .LBB2_5457
.LBB2_5018:                             ;   in Loop: Header=BB2_4995 Depth=3
	s_or_b32 exec_lo, exec_lo, s34
	s_and_saveexec_b32 s31, s14
	s_cbranch_execz .LBB2_5020
.LBB2_5019:                             ;   in Loop: Header=BB2_4995 Depth=3
	v_and_b32_e32 v134, 0xffff, v133
	v_lshlrev_b32_e32 v133, 24, v133
	s_delay_alu instid0(VALU_DEP_2) | instskip(NEXT) | instid1(VALU_DEP_2)
	v_and_b32_e32 v135, 3, v134
	v_and_b32_e32 v133, 0x80000000, v133
	s_delay_alu instid0(VALU_DEP_2) | instskip(NEXT) | instid1(VALU_DEP_1)
	v_clz_i32_u32_e32 v144, v135
	v_min_u32_e32 v144, 32, v144
	s_delay_alu instid0(VALU_DEP_1) | instskip(SKIP_1) | instid1(VALU_DEP_2)
	v_subrev_nc_u32_e32 v145, 29, v144
	v_sub_nc_u32_e32 v144, 30, v144
	v_lshlrev_b32_e32 v145, v145, v134
	v_bfe_u32 v134, v134, 2, 5
	s_delay_alu instid0(VALU_DEP_2) | instskip(NEXT) | instid1(VALU_DEP_2)
	v_and_b32_e32 v145, 3, v145
	v_cmp_eq_u32_e32 vcc_lo, 0, v134
	s_delay_alu instid0(VALU_DEP_2) | instskip(NEXT) | instid1(VALU_DEP_1)
	v_dual_cndmask_b32 v134, v134, v144 :: v_dual_cndmask_b32 v135, v135, v145
	v_lshl_add_u32 v134, v134, 23, 0x37800000
	s_delay_alu instid0(VALU_DEP_2) | instskip(NEXT) | instid1(VALU_DEP_1)
	v_lshlrev_b32_e32 v135, 21, v135
	v_or3_b32 v134, v133, v134, v135
.LBB2_5020:                             ;   in Loop: Header=BB2_4995 Depth=3
	s_or_b32 exec_lo, exec_lo, s31
	s_delay_alu instid0(VALU_DEP_1) | instskip(SKIP_1) | instid1(VALU_DEP_1)
	v_dual_mul_f32 v133, s30, v134 :: v_dual_mov_b32 v144, 0x80
	s_mov_b32 s31, exec_lo
	v_and_b32_e32 v134, 0x7f800000, v133
	s_delay_alu instid0(VALU_DEP_1)
	v_cmpx_ne_u32_e32 0x7f800000, v134
	s_cbranch_execz .LBB2_5028
; %bb.5021:                             ;   in Loop: Header=BB2_4995 Depth=3
	v_mov_b32_e32 v144, 0
	s_mov_b32 s34, exec_lo
	v_cmpx_ne_u32_e32 0, v133
	s_cbranch_execz .LBB2_5027
; %bb.5022:                             ;   in Loop: Header=BB2_4995 Depth=3
	v_bfe_u32 v134, v133, 23, 8
	s_delay_alu instid0(VALU_DEP_1) | instskip(SKIP_1) | instid1(VALU_DEP_2)
	v_sub_nc_u32_e32 v144, 0x70, v134
	v_cmp_gt_u32_e32 vcc_lo, 0x71, v134
	v_dual_cndmask_b32 v144, 0, v144 :: v_dual_and_b32 v135, 0x7fffff, v133
	s_delay_alu instid0(VALU_DEP_1) | instskip(SKIP_2) | instid1(VALU_DEP_4)
	v_or_b32_e32 v145, 0x800000, v135
	v_cmp_eq_u32_e32 vcc_lo, 0, v134
	v_add_nc_u32_e32 v134, 0xffffff91, v134
	v_cndmask_b32_e64 v144, v144, 0x6f, vcc_lo
	s_delay_alu instid0(VALU_DEP_4) | instskip(NEXT) | instid1(VALU_DEP_3)
	v_cndmask_b32_e32 v135, v145, v135, vcc_lo
	v_cndmask_b32_e64 v134, v134, 0xffffff92, vcc_lo
	s_delay_alu instid0(VALU_DEP_3) | instskip(NEXT) | instid1(VALU_DEP_3)
	v_lshl_add_u32 v145, 0x200000, v144, -1
	v_lshrrev_b32_e32 v146, v144, v135
	v_lshlrev_b32_e64 v148, v144, 0x100000
	s_delay_alu instid0(VALU_DEP_4) | instskip(NEXT) | instid1(VALU_DEP_4)
	v_add_nc_u32_e32 v144, v144, v134
	v_and_b32_e32 v135, v145, v135
	s_delay_alu instid0(VALU_DEP_4) | instskip(NEXT) | instid1(VALU_DEP_2)
	v_bfe_u32 v147, v146, 21, 1
	v_cmp_eq_u32_e64 s14, v135, v148
	s_delay_alu instid0(VALU_DEP_2) | instskip(NEXT) | instid1(VALU_DEP_1)
	v_add_nc_u32_e32 v145, -1, v147
	v_cndmask_b32_e64 v135, 0, v145, s14
	v_lshrrev_b32_e32 v145, 23, v146
	s_mov_b32 s14, exec_lo
	s_delay_alu instid0(VALU_DEP_2) | instskip(NEXT) | instid1(VALU_DEP_2)
	v_add_nc_u32_e32 v135, v135, v146
	v_xor_b32_e32 v145, 1, v145
	s_delay_alu instid0(VALU_DEP_2) | instskip(NEXT) | instid1(VALU_DEP_1)
	v_and_b32_e32 v134, 0x1fffff, v135
	v_add_nc_u32_e32 v135, v134, v146
                                        ; implicit-def: $vgpr134
	s_delay_alu instid0(VALU_DEP_3)
	v_cmpx_ne_u32_e64 v144, v145
	s_xor_b32 s14, exec_lo, s14
; %bb.5023:                             ;   in Loop: Header=BB2_4995 Depth=3
	s_delay_alu instid0(VALU_DEP_2) | instskip(SKIP_2) | instid1(VALU_DEP_2)
	v_cmp_lt_u32_e32 vcc_lo, 0xffffff, v135
	v_sub_nc_u32_e32 v134, v144, v145
	v_cndmask_b32_e64 v144, 0, 1, vcc_lo
	v_add_co_ci_u32_e32 v134, vcc_lo, 0, v134, vcc_lo
	s_delay_alu instid0(VALU_DEP_2)
	v_lshrrev_b32_e32 v135, v144, v135
; %bb.5024:                             ;   in Loop: Header=BB2_4995 Depth=3
	s_and_not1_saveexec_b32 s14, s14
; %bb.5025:                             ;   in Loop: Header=BB2_4995 Depth=3
	s_delay_alu instid0(VALU_DEP_1)
	v_bfe_u32 v134, v135, 23, 1
; %bb.5026:                             ;   in Loop: Header=BB2_4995 Depth=3
	s_or_b32 exec_lo, exec_lo, s14
	v_lshrrev_b32_e32 v135, 21, v135
	s_delay_alu instid0(VALU_DEP_2) | instskip(SKIP_2) | instid1(VALU_DEP_2)
	v_cmp_gt_i32_e32 vcc_lo, 32, v134
	v_min_i32_e32 v144, 31, v134
	v_lshrrev_b32_e32 v133, 24, v133
	v_dual_cndmask_b32 v135, 3, v135 :: v_dual_lshlrev_b32 v144, 2, v144
	s_delay_alu instid0(VALU_DEP_2) | instskip(NEXT) | instid1(VALU_DEP_2)
	v_and_b32_e32 v133, 0x80, v133
	v_or_b32_e32 v134, v134, v135
	s_delay_alu instid0(VALU_DEP_1) | instskip(SKIP_1) | instid1(VALU_DEP_1)
	v_cmp_ne_u32_e32 vcc_lo, 0, v134
	v_and_b32_e32 v145, 3, v135
	v_or3_b32 v133, v144, v133, v145
	s_delay_alu instid0(VALU_DEP_1)
	v_cndmask_b32_e32 v144, 0, v133, vcc_lo
.LBB2_5027:                             ;   in Loop: Header=BB2_4995 Depth=3
	s_or_b32 exec_lo, exec_lo, s34
.LBB2_5028:                             ;   in Loop: Header=BB2_4995 Depth=3
	s_delay_alu instid0(SALU_CYCLE_1) | instskip(SKIP_3) | instid1(VALU_DEP_1)
	s_or_b32 exec_lo, exec_lo, s31
	v_lshrrev_b32_e32 v133, 16, v8
	s_mov_b32 s14, 0
	s_mov_b32 s34, exec_lo
                                        ; implicit-def: $sgpr31
	v_and_b32_e32 v135, 0xff, v133
	s_delay_alu instid0(VALU_DEP_1)
	v_cmpx_lt_i16_e64 0x7f, v135
	s_xor_b32 s34, exec_lo, s34
	s_cbranch_execnz .LBB2_5458
; %bb.5029:                             ;   in Loop: Header=BB2_4995 Depth=3
	s_or_saveexec_b32 s34, s34
	v_mov_b32_e32 v134, s31
	s_xor_b32 exec_lo, exec_lo, s34
	s_cbranch_execnz .LBB2_5461
.LBB2_5030:                             ;   in Loop: Header=BB2_4995 Depth=3
	s_or_b32 exec_lo, exec_lo, s34
	s_and_saveexec_b32 s31, s14
	s_cbranch_execz .LBB2_5032
.LBB2_5031:                             ;   in Loop: Header=BB2_4995 Depth=3
	v_bfe_u32 v134, v8, 16, 2
	s_delay_alu instid0(VALU_DEP_1) | instskip(NEXT) | instid1(VALU_DEP_1)
	v_clz_i32_u32_e32 v135, v134
	v_min_u32_e32 v135, 32, v135
	s_delay_alu instid0(VALU_DEP_1) | instskip(SKIP_1) | instid1(VALU_DEP_2)
	v_subrev_nc_u32_e32 v145, 29, v135
	v_sub_nc_u32_e32 v135, 30, v135
	v_lshlrev_b32_e32 v133, v145, v133
	v_bfe_u32 v145, v8, 18, 5
	s_delay_alu instid0(VALU_DEP_2) | instskip(NEXT) | instid1(VALU_DEP_2)
	v_and_b32_e32 v133, 3, v133
	v_cmp_eq_u32_e32 vcc_lo, 0, v145
	v_dual_cndmask_b32 v135, v145, v135 :: v_dual_lshlrev_b32 v146, 8, v8
	s_delay_alu instid0(VALU_DEP_1) | instskip(NEXT) | instid1(VALU_DEP_2)
	v_dual_cndmask_b32 v133, v134, v133 :: v_dual_and_b32 v134, 0x80000000, v146
	v_lshl_add_u32 v135, v135, 23, 0x37800000
	s_delay_alu instid0(VALU_DEP_2) | instskip(NEXT) | instid1(VALU_DEP_1)
	v_lshlrev_b32_e32 v133, 21, v133
	v_or3_b32 v134, v134, v135, v133
.LBB2_5032:                             ;   in Loop: Header=BB2_4995 Depth=3
	s_or_b32 exec_lo, exec_lo, s31
	s_delay_alu instid0(VALU_DEP_1) | instskip(SKIP_1) | instid1(VALU_DEP_1)
	v_dual_mul_f32 v133, s30, v134 :: v_dual_mov_b32 v150, 0x80
	s_mov_b32 s31, exec_lo
	v_and_b32_e32 v134, 0x7f800000, v133
	s_delay_alu instid0(VALU_DEP_1)
	v_cmpx_ne_u32_e32 0x7f800000, v134
	s_cbranch_execz .LBB2_5040
; %bb.5033:                             ;   in Loop: Header=BB2_4995 Depth=3
	v_mov_b32_e32 v150, 0
	s_mov_b32 s34, exec_lo
	v_cmpx_ne_u32_e32 0, v133
	s_cbranch_execz .LBB2_5039
; %bb.5034:                             ;   in Loop: Header=BB2_4995 Depth=3
	v_bfe_u32 v134, v133, 23, 8
	v_and_b32_e32 v135, 0x7fffff, v133
	s_delay_alu instid0(VALU_DEP_2) | instskip(SKIP_1) | instid1(VALU_DEP_3)
	v_sub_nc_u32_e32 v145, 0x70, v134
	v_cmp_gt_u32_e32 vcc_lo, 0x71, v134
	v_or_b32_e32 v146, 0x800000, v135
	s_delay_alu instid0(VALU_DEP_3) | instskip(SKIP_2) | instid1(VALU_DEP_3)
	v_cndmask_b32_e32 v145, 0, v145, vcc_lo
	v_cmp_eq_u32_e32 vcc_lo, 0, v134
	v_add_nc_u32_e32 v134, 0xffffff91, v134
	v_cndmask_b32_e64 v145, v145, 0x6f, vcc_lo
	v_cndmask_b32_e32 v135, v146, v135, vcc_lo
	s_delay_alu instid0(VALU_DEP_3) | instskip(NEXT) | instid1(VALU_DEP_3)
	v_cndmask_b32_e64 v134, v134, 0xffffff92, vcc_lo
	v_lshl_add_u32 v146, 0x200000, v145, -1
	s_delay_alu instid0(VALU_DEP_3) | instskip(SKIP_1) | instid1(VALU_DEP_4)
	v_lshrrev_b32_e32 v147, v145, v135
	v_lshlrev_b32_e64 v149, v145, 0x100000
	v_add_nc_u32_e32 v145, v145, v134
	s_delay_alu instid0(VALU_DEP_4) | instskip(NEXT) | instid1(VALU_DEP_4)
	v_and_b32_e32 v135, v146, v135
	v_bfe_u32 v148, v147, 21, 1
	s_delay_alu instid0(VALU_DEP_2) | instskip(NEXT) | instid1(VALU_DEP_2)
	v_cmp_eq_u32_e64 s14, v135, v149
	v_add_nc_u32_e32 v146, -1, v148
	s_delay_alu instid0(VALU_DEP_1) | instskip(SKIP_2) | instid1(VALU_DEP_2)
	v_cndmask_b32_e64 v135, 0, v146, s14
	v_lshrrev_b32_e32 v146, 23, v147
	s_mov_b32 s14, exec_lo
	v_add_nc_u32_e32 v135, v135, v147
	s_delay_alu instid0(VALU_DEP_2) | instskip(NEXT) | instid1(VALU_DEP_2)
	v_xor_b32_e32 v146, 1, v146
	v_and_b32_e32 v134, 0x1fffff, v135
	s_delay_alu instid0(VALU_DEP_1) | instskip(NEXT) | instid1(VALU_DEP_3)
	v_add_nc_u32_e32 v135, v134, v147
                                        ; implicit-def: $vgpr134
	v_cmpx_ne_u32_e64 v145, v146
	s_xor_b32 s14, exec_lo, s14
; %bb.5035:                             ;   in Loop: Header=BB2_4995 Depth=3
	s_delay_alu instid0(VALU_DEP_2) | instskip(SKIP_2) | instid1(VALU_DEP_2)
	v_cmp_lt_u32_e32 vcc_lo, 0xffffff, v135
	v_sub_nc_u32_e32 v134, v145, v146
	v_cndmask_b32_e64 v145, 0, 1, vcc_lo
	v_add_co_ci_u32_e32 v134, vcc_lo, 0, v134, vcc_lo
	s_delay_alu instid0(VALU_DEP_2)
	v_lshrrev_b32_e32 v135, v145, v135
; %bb.5036:                             ;   in Loop: Header=BB2_4995 Depth=3
	s_and_not1_saveexec_b32 s14, s14
; %bb.5037:                             ;   in Loop: Header=BB2_4995 Depth=3
	s_delay_alu instid0(VALU_DEP_1)
	v_bfe_u32 v134, v135, 23, 1
; %bb.5038:                             ;   in Loop: Header=BB2_4995 Depth=3
	s_or_b32 exec_lo, exec_lo, s14
	v_lshrrev_b32_e32 v135, 21, v135
	s_delay_alu instid0(VALU_DEP_2) | instskip(SKIP_2) | instid1(VALU_DEP_4)
	v_cmp_gt_i32_e32 vcc_lo, 32, v134
	v_lshrrev_b32_e32 v133, 24, v133
	v_min_i32_e32 v145, 31, v134
	v_cndmask_b32_e32 v135, 3, v135, vcc_lo
	s_delay_alu instid0(VALU_DEP_3) | instskip(NEXT) | instid1(VALU_DEP_3)
	v_and_b32_e32 v133, 0x80, v133
	v_lshlrev_b32_e32 v145, 2, v145
	s_delay_alu instid0(VALU_DEP_3) | instskip(SKIP_1) | instid1(VALU_DEP_2)
	v_and_b32_e32 v146, 3, v135
	v_or_b32_e32 v134, v134, v135
	v_or3_b32 v133, v145, v133, v146
	s_delay_alu instid0(VALU_DEP_2) | instskip(NEXT) | instid1(VALU_DEP_2)
	v_cmp_ne_u32_e32 vcc_lo, 0, v134
	v_cndmask_b32_e32 v150, 0, v133, vcc_lo
.LBB2_5039:                             ;   in Loop: Header=BB2_4995 Depth=3
	s_or_b32 exec_lo, exec_lo, s34
.LBB2_5040:                             ;   in Loop: Header=BB2_4995 Depth=3
	s_delay_alu instid0(SALU_CYCLE_1) | instskip(SKIP_3) | instid1(VALU_DEP_1)
	s_or_b32 exec_lo, exec_lo, s31
	v_lshrrev_b32_e32 v133, 24, v8
	s_mov_b32 s14, 0
	s_mov_b32 s34, exec_lo
                                        ; implicit-def: $sgpr31
	v_cmpx_lt_i16_e64 0x7f, v133
	s_xor_b32 s34, exec_lo, s34
	s_cbranch_execnz .LBB2_5462
; %bb.5041:                             ;   in Loop: Header=BB2_4995 Depth=3
	s_or_saveexec_b32 s34, s34
	v_mov_b32_e32 v134, s31
	s_xor_b32 exec_lo, exec_lo, s34
	s_cbranch_execnz .LBB2_5465
.LBB2_5042:                             ;   in Loop: Header=BB2_4995 Depth=3
	s_or_b32 exec_lo, exec_lo, s34
	s_and_saveexec_b32 s31, s14
	s_cbranch_execz .LBB2_5044
.LBB2_5043:                             ;   in Loop: Header=BB2_4995 Depth=3
	v_bfe_u32 v134, v8, 24, 2
	s_delay_alu instid0(VALU_DEP_1) | instskip(NEXT) | instid1(VALU_DEP_1)
	v_clz_i32_u32_e32 v135, v134
	v_min_u32_e32 v135, 32, v135
	s_delay_alu instid0(VALU_DEP_1) | instskip(SKIP_1) | instid1(VALU_DEP_2)
	v_subrev_nc_u32_e32 v145, 29, v135
	v_sub_nc_u32_e32 v135, 30, v135
	v_lshlrev_b32_e32 v133, v145, v133
	v_bfe_u32 v145, v8, 26, 5
	v_and_b32_e32 v8, 0x80000000, v8
	s_delay_alu instid0(VALU_DEP_3) | instskip(NEXT) | instid1(VALU_DEP_3)
	v_and_b32_e32 v133, 3, v133
	v_cmp_eq_u32_e32 vcc_lo, 0, v145
	v_cndmask_b32_e32 v135, v145, v135, vcc_lo
	s_delay_alu instid0(VALU_DEP_3) | instskip(NEXT) | instid1(VALU_DEP_2)
	v_cndmask_b32_e32 v133, v134, v133, vcc_lo
	v_lshl_add_u32 v134, v135, 23, 0x37800000
	s_delay_alu instid0(VALU_DEP_2) | instskip(NEXT) | instid1(VALU_DEP_1)
	v_lshlrev_b32_e32 v133, 21, v133
	v_or3_b32 v134, v8, v134, v133
.LBB2_5044:                             ;   in Loop: Header=BB2_4995 Depth=3
	s_or_b32 exec_lo, exec_lo, s31
	s_delay_alu instid0(VALU_DEP_1) | instskip(SKIP_1) | instid1(VALU_DEP_1)
	v_dual_mul_f32 v8, s30, v134 :: v_dual_mov_b32 v161, 0x80
	s_mov_b32 s31, exec_lo
	v_and_b32_e32 v133, 0x7f800000, v8
	s_delay_alu instid0(VALU_DEP_1)
	v_cmpx_ne_u32_e32 0x7f800000, v133
	s_cbranch_execz .LBB2_5052
; %bb.5045:                             ;   in Loop: Header=BB2_4995 Depth=3
	v_mov_b32_e32 v161, 0
	s_mov_b32 s34, exec_lo
	v_cmpx_ne_u32_e32 0, v8
	s_cbranch_execz .LBB2_5051
; %bb.5046:                             ;   in Loop: Header=BB2_4995 Depth=3
	v_bfe_u32 v133, v8, 23, 8
	s_delay_alu instid0(VALU_DEP_1) | instskip(SKIP_1) | instid1(VALU_DEP_2)
	v_sub_nc_u32_e32 v135, 0x70, v133
	v_cmp_gt_u32_e32 vcc_lo, 0x71, v133
	v_dual_cndmask_b32 v135, 0, v135 :: v_dual_and_b32 v134, 0x7fffff, v8
	s_delay_alu instid0(VALU_DEP_1) | instskip(SKIP_2) | instid1(VALU_DEP_4)
	v_or_b32_e32 v145, 0x800000, v134
	v_cmp_eq_u32_e32 vcc_lo, 0, v133
	v_add_nc_u32_e32 v133, 0xffffff91, v133
	v_cndmask_b32_e64 v135, v135, 0x6f, vcc_lo
	s_delay_alu instid0(VALU_DEP_4) | instskip(NEXT) | instid1(VALU_DEP_3)
	v_cndmask_b32_e32 v134, v145, v134, vcc_lo
	v_cndmask_b32_e64 v133, v133, 0xffffff92, vcc_lo
	s_delay_alu instid0(VALU_DEP_3) | instskip(NEXT) | instid1(VALU_DEP_3)
	v_lshl_add_u32 v145, 0x200000, v135, -1
	v_lshrrev_b32_e32 v146, v135, v134
	v_lshlrev_b32_e64 v148, v135, 0x100000
	s_delay_alu instid0(VALU_DEP_4) | instskip(NEXT) | instid1(VALU_DEP_4)
	v_add_nc_u32_e32 v135, v135, v133
	v_and_b32_e32 v134, v145, v134
	s_delay_alu instid0(VALU_DEP_4) | instskip(NEXT) | instid1(VALU_DEP_2)
	v_bfe_u32 v147, v146, 21, 1
	v_cmp_eq_u32_e64 s14, v134, v148
	s_delay_alu instid0(VALU_DEP_2) | instskip(NEXT) | instid1(VALU_DEP_1)
	v_add_nc_u32_e32 v145, -1, v147
	v_cndmask_b32_e64 v134, 0, v145, s14
	v_lshrrev_b32_e32 v145, 23, v146
	s_mov_b32 s14, exec_lo
	s_delay_alu instid0(VALU_DEP_2) | instskip(NEXT) | instid1(VALU_DEP_2)
	v_add_nc_u32_e32 v134, v134, v146
	v_xor_b32_e32 v145, 1, v145
	s_delay_alu instid0(VALU_DEP_2) | instskip(NEXT) | instid1(VALU_DEP_1)
	v_and_b32_e32 v133, 0x1fffff, v134
	v_add_nc_u32_e32 v134, v133, v146
                                        ; implicit-def: $vgpr133
	s_delay_alu instid0(VALU_DEP_3)
	v_cmpx_ne_u32_e64 v135, v145
	s_xor_b32 s14, exec_lo, s14
; %bb.5047:                             ;   in Loop: Header=BB2_4995 Depth=3
	s_delay_alu instid0(VALU_DEP_2) | instskip(SKIP_2) | instid1(VALU_DEP_2)
	v_cmp_lt_u32_e32 vcc_lo, 0xffffff, v134
	v_sub_nc_u32_e32 v133, v135, v145
	v_cndmask_b32_e64 v135, 0, 1, vcc_lo
	v_add_co_ci_u32_e32 v133, vcc_lo, 0, v133, vcc_lo
	s_delay_alu instid0(VALU_DEP_2)
	v_lshrrev_b32_e32 v134, v135, v134
; %bb.5048:                             ;   in Loop: Header=BB2_4995 Depth=3
	s_and_not1_saveexec_b32 s14, s14
; %bb.5049:                             ;   in Loop: Header=BB2_4995 Depth=3
	s_delay_alu instid0(VALU_DEP_1)
	v_bfe_u32 v133, v134, 23, 1
; %bb.5050:                             ;   in Loop: Header=BB2_4995 Depth=3
	s_or_b32 exec_lo, exec_lo, s14
	v_lshrrev_b32_e32 v134, 21, v134
	s_delay_alu instid0(VALU_DEP_2) | instskip(SKIP_2) | instid1(VALU_DEP_4)
	v_cmp_gt_i32_e32 vcc_lo, 32, v133
	v_lshrrev_b32_e32 v8, 24, v8
	v_min_i32_e32 v135, 31, v133
	v_cndmask_b32_e32 v134, 3, v134, vcc_lo
	s_delay_alu instid0(VALU_DEP_3) | instskip(NEXT) | instid1(VALU_DEP_3)
	v_and_b32_e32 v8, 0x80, v8
	v_lshlrev_b32_e32 v135, 2, v135
	s_delay_alu instid0(VALU_DEP_3) | instskip(SKIP_1) | instid1(VALU_DEP_2)
	v_and_b32_e32 v145, 3, v134
	v_or_b32_e32 v133, v133, v134
	v_or3_b32 v8, v135, v8, v145
	s_delay_alu instid0(VALU_DEP_2) | instskip(NEXT) | instid1(VALU_DEP_2)
	v_cmp_ne_u32_e32 vcc_lo, 0, v133
	v_cndmask_b32_e32 v161, 0, v8, vcc_lo
.LBB2_5051:                             ;   in Loop: Header=BB2_4995 Depth=3
	s_or_b32 exec_lo, exec_lo, s34
.LBB2_5052:                             ;   in Loop: Header=BB2_4995 Depth=3
	s_delay_alu instid0(SALU_CYCLE_1) | instskip(SKIP_3) | instid1(VALU_DEP_1)
	s_or_b32 exec_lo, exec_lo, s31
	v_and_b32_e32 v133, 0xff, v9
	s_mov_b32 s14, 0
	s_mov_b32 s34, exec_lo
                                        ; implicit-def: $sgpr31
	v_cmpx_lt_i16_e64 0x7f, v133
	s_xor_b32 s34, exec_lo, s34
	s_cbranch_execnz .LBB2_5466
; %bb.5053:                             ;   in Loop: Header=BB2_4995 Depth=3
	s_or_saveexec_b32 s34, s34
	v_mov_b32_e32 v8, s31
	s_xor_b32 exec_lo, exec_lo, s34
	s_cbranch_execnz .LBB2_5469
.LBB2_5054:                             ;   in Loop: Header=BB2_4995 Depth=3
	s_or_b32 exec_lo, exec_lo, s34
	s_and_saveexec_b32 s31, s14
	s_cbranch_execz .LBB2_5056
.LBB2_5055:                             ;   in Loop: Header=BB2_4995 Depth=3
	v_and_b32_e32 v8, 3, v9
	v_bfe_u32 v135, v9, 2, 5
	s_delay_alu instid0(VALU_DEP_2) | instskip(NEXT) | instid1(VALU_DEP_2)
	v_clz_i32_u32_e32 v133, v8
	v_cmp_eq_u32_e32 vcc_lo, 0, v135
	s_delay_alu instid0(VALU_DEP_2) | instskip(NEXT) | instid1(VALU_DEP_1)
	v_min_u32_e32 v133, 32, v133
	v_subrev_nc_u32_e32 v134, 29, v133
	v_sub_nc_u32_e32 v133, 30, v133
	s_delay_alu instid0(VALU_DEP_2) | instskip(NEXT) | instid1(VALU_DEP_1)
	v_lshlrev_b32_e32 v134, v134, v9
	v_dual_cndmask_b32 v133, v135, v133 :: v_dual_and_b32 v134, 3, v134
	v_lshlrev_b32_e32 v145, 24, v9
	s_delay_alu instid0(VALU_DEP_2) | instskip(NEXT) | instid1(VALU_DEP_3)
	v_lshl_add_u32 v133, v133, 23, 0x37800000
	v_cndmask_b32_e32 v8, v8, v134, vcc_lo
	s_delay_alu instid0(VALU_DEP_3) | instskip(NEXT) | instid1(VALU_DEP_2)
	v_and_b32_e32 v134, 0x80000000, v145
	v_lshlrev_b32_e32 v8, 21, v8
	s_delay_alu instid0(VALU_DEP_1)
	v_or3_b32 v8, v134, v133, v8
.LBB2_5056:                             ;   in Loop: Header=BB2_4995 Depth=3
	s_or_b32 exec_lo, exec_lo, s31
	s_delay_alu instid0(VALU_DEP_1) | instskip(SKIP_2) | instid1(VALU_DEP_2)
	v_mul_f32_e32 v8, s30, v8
	v_mov_b32_e32 v160, 0x80
	s_mov_b32 s31, exec_lo
	v_and_b32_e32 v133, 0x7f800000, v8
	s_delay_alu instid0(VALU_DEP_1)
	v_cmpx_ne_u32_e32 0x7f800000, v133
	s_cbranch_execz .LBB2_5064
; %bb.5057:                             ;   in Loop: Header=BB2_4995 Depth=3
	v_mov_b32_e32 v160, 0
	s_mov_b32 s34, exec_lo
	v_cmpx_ne_u32_e32 0, v8
	s_cbranch_execz .LBB2_5063
; %bb.5058:                             ;   in Loop: Header=BB2_4995 Depth=3
	v_bfe_u32 v133, v8, 23, 8
	s_delay_alu instid0(VALU_DEP_1) | instskip(SKIP_1) | instid1(VALU_DEP_2)
	v_sub_nc_u32_e32 v135, 0x70, v133
	v_cmp_gt_u32_e32 vcc_lo, 0x71, v133
	v_dual_cndmask_b32 v135, 0, v135 :: v_dual_and_b32 v134, 0x7fffff, v8
	s_delay_alu instid0(VALU_DEP_1) | instskip(SKIP_2) | instid1(VALU_DEP_4)
	v_or_b32_e32 v145, 0x800000, v134
	v_cmp_eq_u32_e32 vcc_lo, 0, v133
	v_add_nc_u32_e32 v133, 0xffffff91, v133
	v_cndmask_b32_e64 v135, v135, 0x6f, vcc_lo
	s_delay_alu instid0(VALU_DEP_4) | instskip(NEXT) | instid1(VALU_DEP_3)
	v_cndmask_b32_e32 v134, v145, v134, vcc_lo
	v_cndmask_b32_e64 v133, v133, 0xffffff92, vcc_lo
	s_delay_alu instid0(VALU_DEP_3) | instskip(NEXT) | instid1(VALU_DEP_3)
	v_lshl_add_u32 v145, 0x200000, v135, -1
	v_lshrrev_b32_e32 v146, v135, v134
	v_lshlrev_b32_e64 v148, v135, 0x100000
	s_delay_alu instid0(VALU_DEP_4) | instskip(NEXT) | instid1(VALU_DEP_4)
	v_add_nc_u32_e32 v135, v135, v133
	v_and_b32_e32 v134, v145, v134
	s_delay_alu instid0(VALU_DEP_4) | instskip(NEXT) | instid1(VALU_DEP_2)
	v_bfe_u32 v147, v146, 21, 1
	v_cmp_eq_u32_e64 s14, v134, v148
	s_delay_alu instid0(VALU_DEP_2) | instskip(NEXT) | instid1(VALU_DEP_1)
	v_add_nc_u32_e32 v145, -1, v147
	v_cndmask_b32_e64 v134, 0, v145, s14
	v_lshrrev_b32_e32 v145, 23, v146
	s_mov_b32 s14, exec_lo
	s_delay_alu instid0(VALU_DEP_2) | instskip(NEXT) | instid1(VALU_DEP_2)
	v_add_nc_u32_e32 v134, v134, v146
	v_xor_b32_e32 v145, 1, v145
	s_delay_alu instid0(VALU_DEP_2) | instskip(NEXT) | instid1(VALU_DEP_1)
	v_and_b32_e32 v133, 0x1fffff, v134
	v_add_nc_u32_e32 v134, v133, v146
                                        ; implicit-def: $vgpr133
	s_delay_alu instid0(VALU_DEP_3)
	v_cmpx_ne_u32_e64 v135, v145
	s_xor_b32 s14, exec_lo, s14
; %bb.5059:                             ;   in Loop: Header=BB2_4995 Depth=3
	s_delay_alu instid0(VALU_DEP_2) | instskip(SKIP_2) | instid1(VALU_DEP_2)
	v_cmp_lt_u32_e32 vcc_lo, 0xffffff, v134
	v_sub_nc_u32_e32 v133, v135, v145
	v_cndmask_b32_e64 v135, 0, 1, vcc_lo
	v_add_co_ci_u32_e32 v133, vcc_lo, 0, v133, vcc_lo
	s_delay_alu instid0(VALU_DEP_2)
	v_lshrrev_b32_e32 v134, v135, v134
; %bb.5060:                             ;   in Loop: Header=BB2_4995 Depth=3
	s_and_not1_saveexec_b32 s14, s14
; %bb.5061:                             ;   in Loop: Header=BB2_4995 Depth=3
	s_delay_alu instid0(VALU_DEP_1)
	v_bfe_u32 v133, v134, 23, 1
; %bb.5062:                             ;   in Loop: Header=BB2_4995 Depth=3
	s_or_b32 exec_lo, exec_lo, s14
	v_lshrrev_b32_e32 v134, 21, v134
	s_delay_alu instid0(VALU_DEP_2) | instskip(SKIP_2) | instid1(VALU_DEP_2)
	v_cmp_gt_i32_e32 vcc_lo, 32, v133
	v_min_i32_e32 v135, 31, v133
	v_lshrrev_b32_e32 v8, 24, v8
	v_dual_cndmask_b32 v134, 3, v134 :: v_dual_lshlrev_b32 v135, 2, v135
	s_delay_alu instid0(VALU_DEP_2) | instskip(NEXT) | instid1(VALU_DEP_2)
	v_and_b32_e32 v8, 0x80, v8
	v_or_b32_e32 v133, v133, v134
	s_delay_alu instid0(VALU_DEP_3) | instskip(NEXT) | instid1(VALU_DEP_2)
	v_and_b32_e32 v135, 0xfc, v135
	v_cmp_ne_u32_e32 vcc_lo, 0, v133
	v_and_b32_e32 v145, 3, v134
	s_delay_alu instid0(VALU_DEP_1) | instskip(NEXT) | instid1(VALU_DEP_1)
	v_or3_b32 v8, v135, v8, v145
	v_cndmask_b32_e32 v160, 0, v8, vcc_lo
.LBB2_5063:                             ;   in Loop: Header=BB2_4995 Depth=3
	s_or_b32 exec_lo, exec_lo, s34
.LBB2_5064:                             ;   in Loop: Header=BB2_4995 Depth=3
	s_delay_alu instid0(SALU_CYCLE_1) | instskip(SKIP_3) | instid1(VALU_DEP_1)
	s_or_b32 exec_lo, exec_lo, s31
	v_lshrrev_b16 v8, 8, v9
	s_mov_b32 s14, 0
	s_mov_b32 s34, exec_lo
                                        ; implicit-def: $sgpr31
	v_cmpx_lt_i16_e32 0x7f, v8
	s_xor_b32 s34, exec_lo, s34
	s_cbranch_execnz .LBB2_5470
; %bb.5065:                             ;   in Loop: Header=BB2_4995 Depth=3
	s_or_saveexec_b32 s34, s34
	v_mov_b32_e32 v133, s31
	s_xor_b32 exec_lo, exec_lo, s34
	s_cbranch_execnz .LBB2_5473
.LBB2_5066:                             ;   in Loop: Header=BB2_4995 Depth=3
	s_or_b32 exec_lo, exec_lo, s34
	s_and_saveexec_b32 s31, s14
	s_cbranch_execz .LBB2_5068
.LBB2_5067:                             ;   in Loop: Header=BB2_4995 Depth=3
	v_and_b32_e32 v133, 0xffff, v8
	v_lshlrev_b32_e32 v8, 24, v8
	s_delay_alu instid0(VALU_DEP_2) | instskip(NEXT) | instid1(VALU_DEP_2)
	v_and_b32_e32 v134, 3, v133
	v_and_b32_e32 v8, 0x80000000, v8
	s_delay_alu instid0(VALU_DEP_2) | instskip(NEXT) | instid1(VALU_DEP_1)
	v_clz_i32_u32_e32 v135, v134
	v_min_u32_e32 v135, 32, v135
	s_delay_alu instid0(VALU_DEP_1) | instskip(SKIP_1) | instid1(VALU_DEP_2)
	v_subrev_nc_u32_e32 v145, 29, v135
	v_sub_nc_u32_e32 v135, 30, v135
	v_lshlrev_b32_e32 v145, v145, v133
	v_bfe_u32 v133, v133, 2, 5
	s_delay_alu instid0(VALU_DEP_2) | instskip(NEXT) | instid1(VALU_DEP_2)
	v_and_b32_e32 v145, 3, v145
	v_cmp_eq_u32_e32 vcc_lo, 0, v133
	s_delay_alu instid0(VALU_DEP_2) | instskip(NEXT) | instid1(VALU_DEP_1)
	v_dual_cndmask_b32 v133, v133, v135 :: v_dual_cndmask_b32 v134, v134, v145
	v_lshl_add_u32 v133, v133, 23, 0x37800000
	s_delay_alu instid0(VALU_DEP_2) | instskip(NEXT) | instid1(VALU_DEP_1)
	v_lshlrev_b32_e32 v134, 21, v134
	v_or3_b32 v133, v8, v133, v134
.LBB2_5068:                             ;   in Loop: Header=BB2_4995 Depth=3
	s_or_b32 exec_lo, exec_lo, s31
	s_delay_alu instid0(VALU_DEP_1) | instskip(SKIP_1) | instid1(VALU_DEP_1)
	v_dual_mul_f32 v8, s30, v133 :: v_dual_mov_b32 v163, 0x8000
	s_mov_b32 s31, exec_lo
	v_and_b32_e32 v133, 0x7f800000, v8
	s_delay_alu instid0(VALU_DEP_1)
	v_cmpx_ne_u32_e32 0x7f800000, v133
	s_cbranch_execz .LBB2_5076
; %bb.5069:                             ;   in Loop: Header=BB2_4995 Depth=3
	v_mov_b32_e32 v163, 0
	s_mov_b32 s34, exec_lo
	v_cmpx_ne_u32_e32 0, v8
	s_cbranch_execz .LBB2_5075
; %bb.5070:                             ;   in Loop: Header=BB2_4995 Depth=3
	v_bfe_u32 v133, v8, 23, 8
	s_delay_alu instid0(VALU_DEP_1) | instskip(SKIP_1) | instid1(VALU_DEP_2)
	v_sub_nc_u32_e32 v135, 0x70, v133
	v_cmp_gt_u32_e32 vcc_lo, 0x71, v133
	v_dual_cndmask_b32 v135, 0, v135 :: v_dual_and_b32 v134, 0x7fffff, v8
	s_delay_alu instid0(VALU_DEP_1) | instskip(SKIP_2) | instid1(VALU_DEP_4)
	v_or_b32_e32 v145, 0x800000, v134
	v_cmp_eq_u32_e32 vcc_lo, 0, v133
	v_add_nc_u32_e32 v133, 0xffffff91, v133
	v_cndmask_b32_e64 v135, v135, 0x6f, vcc_lo
	s_delay_alu instid0(VALU_DEP_4) | instskip(NEXT) | instid1(VALU_DEP_3)
	v_cndmask_b32_e32 v134, v145, v134, vcc_lo
	v_cndmask_b32_e64 v133, v133, 0xffffff92, vcc_lo
	s_delay_alu instid0(VALU_DEP_3) | instskip(NEXT) | instid1(VALU_DEP_3)
	v_lshl_add_u32 v145, 0x200000, v135, -1
	v_lshrrev_b32_e32 v146, v135, v134
	v_lshlrev_b32_e64 v148, v135, 0x100000
	s_delay_alu instid0(VALU_DEP_4) | instskip(NEXT) | instid1(VALU_DEP_4)
	v_add_nc_u32_e32 v135, v135, v133
	v_and_b32_e32 v134, v145, v134
	s_delay_alu instid0(VALU_DEP_4) | instskip(NEXT) | instid1(VALU_DEP_2)
	v_bfe_u32 v147, v146, 21, 1
	v_cmp_eq_u32_e64 s14, v134, v148
	s_delay_alu instid0(VALU_DEP_2) | instskip(NEXT) | instid1(VALU_DEP_1)
	v_add_nc_u32_e32 v145, -1, v147
	v_cndmask_b32_e64 v134, 0, v145, s14
	v_lshrrev_b32_e32 v145, 23, v146
	s_mov_b32 s14, exec_lo
	s_delay_alu instid0(VALU_DEP_2) | instskip(NEXT) | instid1(VALU_DEP_2)
	v_add_nc_u32_e32 v134, v134, v146
	v_xor_b32_e32 v145, 1, v145
	s_delay_alu instid0(VALU_DEP_2) | instskip(NEXT) | instid1(VALU_DEP_1)
	v_and_b32_e32 v133, 0x1fffff, v134
	v_add_nc_u32_e32 v134, v133, v146
                                        ; implicit-def: $vgpr133
	s_delay_alu instid0(VALU_DEP_3)
	v_cmpx_ne_u32_e64 v135, v145
	s_xor_b32 s14, exec_lo, s14
; %bb.5071:                             ;   in Loop: Header=BB2_4995 Depth=3
	s_delay_alu instid0(VALU_DEP_2) | instskip(SKIP_2) | instid1(VALU_DEP_2)
	v_cmp_lt_u32_e32 vcc_lo, 0xffffff, v134
	v_sub_nc_u32_e32 v133, v135, v145
	v_cndmask_b32_e64 v135, 0, 1, vcc_lo
	v_add_co_ci_u32_e32 v133, vcc_lo, 0, v133, vcc_lo
	s_delay_alu instid0(VALU_DEP_2)
	v_lshrrev_b32_e32 v134, v135, v134
; %bb.5072:                             ;   in Loop: Header=BB2_4995 Depth=3
	s_and_not1_saveexec_b32 s14, s14
; %bb.5073:                             ;   in Loop: Header=BB2_4995 Depth=3
	s_delay_alu instid0(VALU_DEP_1)
	v_bfe_u32 v133, v134, 23, 1
; %bb.5074:                             ;   in Loop: Header=BB2_4995 Depth=3
	s_or_b32 exec_lo, exec_lo, s14
	v_lshrrev_b32_e32 v134, 21, v134
	s_delay_alu instid0(VALU_DEP_2) | instskip(SKIP_2) | instid1(VALU_DEP_3)
	v_min_i32_e32 v135, 31, v133
	v_cmp_gt_i32_e32 vcc_lo, 32, v133
	v_lshrrev_b32_e32 v8, 24, v8
	v_dual_cndmask_b32 v134, 3, v134 :: v_dual_lshlrev_b32 v135, 2, v135
	s_delay_alu instid0(VALU_DEP_2) | instskip(NEXT) | instid1(VALU_DEP_2)
	v_and_b32_e32 v8, 0x80, v8
	v_and_b32_e32 v135, 0xfc, v135
	s_delay_alu instid0(VALU_DEP_3) | instskip(SKIP_1) | instid1(VALU_DEP_2)
	v_and_b32_e32 v145, 3, v134
	v_or_b32_e32 v133, v133, v134
	v_or3_b32 v8, v8, v135, v145
	s_delay_alu instid0(VALU_DEP_2) | instskip(NEXT) | instid1(VALU_DEP_2)
	v_cmp_ne_u32_e32 vcc_lo, 0, v133
	v_lshlrev_b32_e32 v8, 8, v8
	s_delay_alu instid0(VALU_DEP_1)
	v_cndmask_b32_e32 v163, 0, v8, vcc_lo
.LBB2_5075:                             ;   in Loop: Header=BB2_4995 Depth=3
	s_or_b32 exec_lo, exec_lo, s34
.LBB2_5076:                             ;   in Loop: Header=BB2_4995 Depth=3
	s_delay_alu instid0(SALU_CYCLE_1) | instskip(SKIP_3) | instid1(VALU_DEP_1)
	s_or_b32 exec_lo, exec_lo, s31
	v_lshrrev_b32_e32 v8, 16, v9
	s_mov_b32 s14, 0
	s_mov_b32 s34, exec_lo
                                        ; implicit-def: $sgpr31
	v_and_b32_e32 v134, 0xff, v8
	s_delay_alu instid0(VALU_DEP_1)
	v_cmpx_lt_i16_e64 0x7f, v134
	s_xor_b32 s34, exec_lo, s34
	s_cbranch_execnz .LBB2_5474
; %bb.5077:                             ;   in Loop: Header=BB2_4995 Depth=3
	s_or_saveexec_b32 s34, s34
	v_mov_b32_e32 v133, s31
	s_xor_b32 exec_lo, exec_lo, s34
	s_cbranch_execnz .LBB2_5477
.LBB2_5078:                             ;   in Loop: Header=BB2_4995 Depth=3
	s_or_b32 exec_lo, exec_lo, s34
	s_and_saveexec_b32 s31, s14
	s_cbranch_execz .LBB2_5080
.LBB2_5079:                             ;   in Loop: Header=BB2_4995 Depth=3
	v_bfe_u32 v133, v9, 16, 2
	s_delay_alu instid0(VALU_DEP_1) | instskip(NEXT) | instid1(VALU_DEP_1)
	v_clz_i32_u32_e32 v134, v133
	v_min_u32_e32 v134, 32, v134
	s_delay_alu instid0(VALU_DEP_1) | instskip(SKIP_1) | instid1(VALU_DEP_2)
	v_subrev_nc_u32_e32 v135, 29, v134
	v_sub_nc_u32_e32 v134, 30, v134
	v_lshlrev_b32_e32 v8, v135, v8
	v_bfe_u32 v135, v9, 18, 5
	s_delay_alu instid0(VALU_DEP_2) | instskip(NEXT) | instid1(VALU_DEP_2)
	v_and_b32_e32 v8, 3, v8
	v_cmp_eq_u32_e32 vcc_lo, 0, v135
	v_dual_cndmask_b32 v134, v135, v134 :: v_dual_lshlrev_b32 v145, 8, v9
	s_delay_alu instid0(VALU_DEP_1) | instskip(NEXT) | instid1(VALU_DEP_2)
	v_dual_cndmask_b32 v8, v133, v8 :: v_dual_and_b32 v133, 0x80000000, v145
	v_lshl_add_u32 v134, v134, 23, 0x37800000
	s_delay_alu instid0(VALU_DEP_2) | instskip(NEXT) | instid1(VALU_DEP_1)
	v_lshlrev_b32_e32 v8, 21, v8
	v_or3_b32 v133, v133, v134, v8
.LBB2_5080:                             ;   in Loop: Header=BB2_4995 Depth=3
	s_or_b32 exec_lo, exec_lo, s31
	s_delay_alu instid0(VALU_DEP_1) | instskip(SKIP_1) | instid1(VALU_DEP_1)
	v_dual_mul_f32 v8, s30, v133 :: v_dual_mov_b32 v151, 0x80
	s_mov_b32 s31, exec_lo
	v_and_b32_e32 v133, 0x7f800000, v8
	s_delay_alu instid0(VALU_DEP_1)
	v_cmpx_ne_u32_e32 0x7f800000, v133
	s_cbranch_execz .LBB2_5088
; %bb.5081:                             ;   in Loop: Header=BB2_4995 Depth=3
	v_mov_b32_e32 v151, 0
	s_mov_b32 s34, exec_lo
	v_cmpx_ne_u32_e32 0, v8
	s_cbranch_execz .LBB2_5087
; %bb.5082:                             ;   in Loop: Header=BB2_4995 Depth=3
	v_bfe_u32 v133, v8, 23, 8
	s_delay_alu instid0(VALU_DEP_1) | instskip(SKIP_1) | instid1(VALU_DEP_2)
	v_sub_nc_u32_e32 v135, 0x70, v133
	v_cmp_gt_u32_e32 vcc_lo, 0x71, v133
	v_dual_cndmask_b32 v135, 0, v135 :: v_dual_and_b32 v134, 0x7fffff, v8
	s_delay_alu instid0(VALU_DEP_1) | instskip(SKIP_2) | instid1(VALU_DEP_4)
	v_or_b32_e32 v145, 0x800000, v134
	v_cmp_eq_u32_e32 vcc_lo, 0, v133
	v_add_nc_u32_e32 v133, 0xffffff91, v133
	v_cndmask_b32_e64 v135, v135, 0x6f, vcc_lo
	s_delay_alu instid0(VALU_DEP_4) | instskip(NEXT) | instid1(VALU_DEP_3)
	v_cndmask_b32_e32 v134, v145, v134, vcc_lo
	v_cndmask_b32_e64 v133, v133, 0xffffff92, vcc_lo
	s_delay_alu instid0(VALU_DEP_3) | instskip(NEXT) | instid1(VALU_DEP_3)
	v_lshl_add_u32 v145, 0x200000, v135, -1
	v_lshrrev_b32_e32 v146, v135, v134
	v_lshlrev_b32_e64 v148, v135, 0x100000
	s_delay_alu instid0(VALU_DEP_4) | instskip(NEXT) | instid1(VALU_DEP_4)
	v_add_nc_u32_e32 v135, v135, v133
	v_and_b32_e32 v134, v145, v134
	s_delay_alu instid0(VALU_DEP_4) | instskip(NEXT) | instid1(VALU_DEP_2)
	v_bfe_u32 v147, v146, 21, 1
	v_cmp_eq_u32_e64 s14, v134, v148
	s_delay_alu instid0(VALU_DEP_2) | instskip(NEXT) | instid1(VALU_DEP_1)
	v_add_nc_u32_e32 v145, -1, v147
	v_cndmask_b32_e64 v134, 0, v145, s14
	v_lshrrev_b32_e32 v145, 23, v146
	s_mov_b32 s14, exec_lo
	s_delay_alu instid0(VALU_DEP_2) | instskip(NEXT) | instid1(VALU_DEP_2)
	v_add_nc_u32_e32 v134, v134, v146
	v_xor_b32_e32 v145, 1, v145
	s_delay_alu instid0(VALU_DEP_2) | instskip(NEXT) | instid1(VALU_DEP_1)
	v_and_b32_e32 v133, 0x1fffff, v134
	v_add_nc_u32_e32 v134, v133, v146
                                        ; implicit-def: $vgpr133
	s_delay_alu instid0(VALU_DEP_3)
	v_cmpx_ne_u32_e64 v135, v145
	s_xor_b32 s14, exec_lo, s14
; %bb.5083:                             ;   in Loop: Header=BB2_4995 Depth=3
	s_delay_alu instid0(VALU_DEP_2) | instskip(SKIP_2) | instid1(VALU_DEP_2)
	v_cmp_lt_u32_e32 vcc_lo, 0xffffff, v134
	v_sub_nc_u32_e32 v133, v135, v145
	v_cndmask_b32_e64 v135, 0, 1, vcc_lo
	v_add_co_ci_u32_e32 v133, vcc_lo, 0, v133, vcc_lo
	s_delay_alu instid0(VALU_DEP_2)
	v_lshrrev_b32_e32 v134, v135, v134
; %bb.5084:                             ;   in Loop: Header=BB2_4995 Depth=3
	s_and_not1_saveexec_b32 s14, s14
; %bb.5085:                             ;   in Loop: Header=BB2_4995 Depth=3
	s_delay_alu instid0(VALU_DEP_1)
	v_bfe_u32 v133, v134, 23, 1
; %bb.5086:                             ;   in Loop: Header=BB2_4995 Depth=3
	s_or_b32 exec_lo, exec_lo, s14
	v_lshrrev_b32_e32 v134, 21, v134
	s_delay_alu instid0(VALU_DEP_2) | instskip(SKIP_2) | instid1(VALU_DEP_3)
	v_min_i32_e32 v135, 31, v133
	v_cmp_gt_i32_e32 vcc_lo, 32, v133
	v_lshrrev_b32_e32 v8, 24, v8
	v_dual_cndmask_b32 v134, 3, v134 :: v_dual_lshlrev_b32 v135, 2, v135
	s_delay_alu instid0(VALU_DEP_2) | instskip(NEXT) | instid1(VALU_DEP_2)
	v_and_b32_e32 v8, 0x80, v8
	v_and_b32_e32 v135, 0xfc, v135
	s_delay_alu instid0(VALU_DEP_3) | instskip(SKIP_1) | instid1(VALU_DEP_2)
	v_and_b32_e32 v145, 3, v134
	v_or_b32_e32 v133, v133, v134
	v_or3_b32 v8, v135, v8, v145
	s_delay_alu instid0(VALU_DEP_2) | instskip(NEXT) | instid1(VALU_DEP_2)
	v_cmp_ne_u32_e32 vcc_lo, 0, v133
	v_cndmask_b32_e32 v151, 0, v8, vcc_lo
.LBB2_5087:                             ;   in Loop: Header=BB2_4995 Depth=3
	s_or_b32 exec_lo, exec_lo, s34
.LBB2_5088:                             ;   in Loop: Header=BB2_4995 Depth=3
	s_delay_alu instid0(SALU_CYCLE_1) | instskip(SKIP_3) | instid1(VALU_DEP_1)
	s_or_b32 exec_lo, exec_lo, s31
	v_lshrrev_b32_e32 v8, 24, v9
	s_mov_b32 s14, 0
	s_mov_b32 s34, exec_lo
                                        ; implicit-def: $sgpr31
	v_cmpx_lt_i16_e32 0x7f, v8
	s_xor_b32 s34, exec_lo, s34
	s_cbranch_execnz .LBB2_5478
; %bb.5089:                             ;   in Loop: Header=BB2_4995 Depth=3
	s_or_saveexec_b32 s34, s34
	v_mov_b32_e32 v133, s31
	s_xor_b32 exec_lo, exec_lo, s34
	s_cbranch_execnz .LBB2_5481
.LBB2_5090:                             ;   in Loop: Header=BB2_4995 Depth=3
	s_or_b32 exec_lo, exec_lo, s34
	s_and_saveexec_b32 s31, s14
	s_cbranch_execz .LBB2_5092
.LBB2_5091:                             ;   in Loop: Header=BB2_4995 Depth=3
	v_bfe_u32 v133, v9, 24, 2
	s_delay_alu instid0(VALU_DEP_1) | instskip(NEXT) | instid1(VALU_DEP_1)
	v_clz_i32_u32_e32 v134, v133
	v_min_u32_e32 v134, 32, v134
	s_delay_alu instid0(VALU_DEP_1) | instskip(SKIP_1) | instid1(VALU_DEP_2)
	v_subrev_nc_u32_e32 v135, 29, v134
	v_sub_nc_u32_e32 v134, 30, v134
	v_lshlrev_b32_e32 v8, v135, v8
	v_bfe_u32 v135, v9, 26, 5
	v_and_b32_e32 v9, 0x80000000, v9
	s_delay_alu instid0(VALU_DEP_3) | instskip(NEXT) | instid1(VALU_DEP_3)
	v_and_b32_e32 v8, 3, v8
	v_cmp_eq_u32_e32 vcc_lo, 0, v135
	v_cndmask_b32_e32 v134, v135, v134, vcc_lo
	s_delay_alu instid0(VALU_DEP_3) | instskip(NEXT) | instid1(VALU_DEP_2)
	v_cndmask_b32_e32 v8, v133, v8, vcc_lo
	v_lshl_add_u32 v133, v134, 23, 0x37800000
	s_delay_alu instid0(VALU_DEP_2) | instskip(NEXT) | instid1(VALU_DEP_1)
	v_lshlrev_b32_e32 v8, 21, v8
	v_or3_b32 v133, v9, v133, v8
.LBB2_5092:                             ;   in Loop: Header=BB2_4995 Depth=3
	s_or_b32 exec_lo, exec_lo, s31
	s_delay_alu instid0(VALU_DEP_1) | instskip(SKIP_2) | instid1(VALU_DEP_2)
	v_mul_f32_e32 v8, s30, v133
	v_mov_b32_e32 v162, 0x8000
	s_mov_b32 s31, exec_lo
	v_and_b32_e32 v9, 0x7f800000, v8
	s_delay_alu instid0(VALU_DEP_1)
	v_cmpx_ne_u32_e32 0x7f800000, v9
	s_cbranch_execz .LBB2_5100
; %bb.5093:                             ;   in Loop: Header=BB2_4995 Depth=3
	v_mov_b32_e32 v162, 0
	s_mov_b32 s34, exec_lo
	v_cmpx_ne_u32_e32 0, v8
	s_cbranch_execz .LBB2_5099
; %bb.5094:                             ;   in Loop: Header=BB2_4995 Depth=3
	v_bfe_u32 v9, v8, 23, 8
	s_delay_alu instid0(VALU_DEP_1) | instskip(SKIP_1) | instid1(VALU_DEP_2)
	v_sub_nc_u32_e32 v134, 0x70, v9
	v_cmp_gt_u32_e32 vcc_lo, 0x71, v9
	v_dual_cndmask_b32 v134, 0, v134 :: v_dual_and_b32 v133, 0x7fffff, v8
	s_delay_alu instid0(VALU_DEP_1) | instskip(SKIP_2) | instid1(VALU_DEP_4)
	v_or_b32_e32 v135, 0x800000, v133
	v_cmp_eq_u32_e32 vcc_lo, 0, v9
	v_add_nc_u32_e32 v9, 0xffffff91, v9
	v_cndmask_b32_e64 v134, v134, 0x6f, vcc_lo
	s_delay_alu instid0(VALU_DEP_4) | instskip(NEXT) | instid1(VALU_DEP_3)
	v_cndmask_b32_e32 v133, v135, v133, vcc_lo
	v_cndmask_b32_e64 v9, v9, 0xffffff92, vcc_lo
	s_delay_alu instid0(VALU_DEP_3) | instskip(NEXT) | instid1(VALU_DEP_3)
	v_lshl_add_u32 v135, 0x200000, v134, -1
	v_lshrrev_b32_e32 v145, v134, v133
	v_lshlrev_b32_e64 v147, v134, 0x100000
	s_delay_alu instid0(VALU_DEP_4) | instskip(NEXT) | instid1(VALU_DEP_4)
	v_add_nc_u32_e32 v134, v134, v9
	v_and_b32_e32 v133, v135, v133
	s_delay_alu instid0(VALU_DEP_4) | instskip(NEXT) | instid1(VALU_DEP_2)
	v_bfe_u32 v146, v145, 21, 1
	v_cmp_eq_u32_e64 s14, v133, v147
	s_delay_alu instid0(VALU_DEP_2) | instskip(NEXT) | instid1(VALU_DEP_1)
	v_add_nc_u32_e32 v135, -1, v146
	v_cndmask_b32_e64 v133, 0, v135, s14
	v_lshrrev_b32_e32 v135, 23, v145
	s_mov_b32 s14, exec_lo
	s_delay_alu instid0(VALU_DEP_2) | instskip(NEXT) | instid1(VALU_DEP_2)
	v_add_nc_u32_e32 v133, v133, v145
	v_xor_b32_e32 v135, 1, v135
	s_delay_alu instid0(VALU_DEP_2) | instskip(NEXT) | instid1(VALU_DEP_1)
	v_and_b32_e32 v9, 0x1fffff, v133
	v_add_nc_u32_e32 v133, v9, v145
                                        ; implicit-def: $vgpr9
	s_delay_alu instid0(VALU_DEP_3)
	v_cmpx_ne_u32_e64 v134, v135
	s_xor_b32 s14, exec_lo, s14
; %bb.5095:                             ;   in Loop: Header=BB2_4995 Depth=3
	s_delay_alu instid0(VALU_DEP_2) | instskip(SKIP_2) | instid1(VALU_DEP_2)
	v_cmp_lt_u32_e32 vcc_lo, 0xffffff, v133
	v_sub_nc_u32_e32 v9, v134, v135
	v_cndmask_b32_e64 v134, 0, 1, vcc_lo
	v_add_co_ci_u32_e32 v9, vcc_lo, 0, v9, vcc_lo
	s_delay_alu instid0(VALU_DEP_2)
	v_lshrrev_b32_e32 v133, v134, v133
; %bb.5096:                             ;   in Loop: Header=BB2_4995 Depth=3
	s_and_not1_saveexec_b32 s14, s14
; %bb.5097:                             ;   in Loop: Header=BB2_4995 Depth=3
	s_delay_alu instid0(VALU_DEP_1)
	v_bfe_u32 v9, v133, 23, 1
; %bb.5098:                             ;   in Loop: Header=BB2_4995 Depth=3
	s_or_b32 exec_lo, exec_lo, s14
	v_lshrrev_b32_e32 v133, 21, v133
	s_delay_alu instid0(VALU_DEP_2) | instskip(SKIP_2) | instid1(VALU_DEP_2)
	v_cmp_gt_i32_e32 vcc_lo, 32, v9
	v_min_i32_e32 v134, 31, v9
	v_lshrrev_b32_e32 v8, 24, v8
	v_dual_cndmask_b32 v133, 3, v133 :: v_dual_lshlrev_b32 v134, 2, v134
	s_delay_alu instid0(VALU_DEP_2) | instskip(NEXT) | instid1(VALU_DEP_2)
	v_and_b32_e32 v8, 0x80, v8
	v_or_b32_e32 v9, v9, v133
	s_delay_alu instid0(VALU_DEP_3) | instskip(NEXT) | instid1(VALU_DEP_2)
	v_and_b32_e32 v134, 0xfc, v134
	v_cmp_ne_u32_e32 vcc_lo, 0, v9
	v_and_b32_e32 v135, 3, v133
	s_delay_alu instid0(VALU_DEP_1) | instskip(NEXT) | instid1(VALU_DEP_1)
	v_or3_b32 v8, v8, v134, v135
	v_lshlrev_b32_e32 v8, 8, v8
	s_delay_alu instid0(VALU_DEP_1)
	v_cndmask_b32_e32 v162, 0, v8, vcc_lo
.LBB2_5099:                             ;   in Loop: Header=BB2_4995 Depth=3
	s_or_b32 exec_lo, exec_lo, s34
.LBB2_5100:                             ;   in Loop: Header=BB2_4995 Depth=3
	s_delay_alu instid0(SALU_CYCLE_1) | instskip(SKIP_3) | instid1(VALU_DEP_1)
	s_or_b32 exec_lo, exec_lo, s31
	v_and_b32_e32 v9, 0xff, v10
	s_mov_b32 s14, 0
	s_mov_b32 s34, exec_lo
                                        ; implicit-def: $sgpr31
	v_cmpx_lt_i16_e32 0x7f, v9
	s_xor_b32 s34, exec_lo, s34
	s_cbranch_execnz .LBB2_5482
; %bb.5101:                             ;   in Loop: Header=BB2_4995 Depth=3
	s_or_saveexec_b32 s34, s34
	v_mov_b32_e32 v8, s31
	s_xor_b32 exec_lo, exec_lo, s34
	s_cbranch_execnz .LBB2_5485
.LBB2_5102:                             ;   in Loop: Header=BB2_4995 Depth=3
	s_or_b32 exec_lo, exec_lo, s34
	s_and_saveexec_b32 s31, s14
	s_cbranch_execz .LBB2_5104
.LBB2_5103:                             ;   in Loop: Header=BB2_4995 Depth=3
	v_bfe_u32 v134, v10, 2, 5
	s_delay_alu instid0(VALU_DEP_1) | instskip(SKIP_1) | instid1(VALU_DEP_1)
	v_cmp_eq_u32_e32 vcc_lo, 0, v134
	v_and_b32_e32 v8, 3, v10
	v_clz_i32_u32_e32 v9, v8
	s_delay_alu instid0(VALU_DEP_1) | instskip(NEXT) | instid1(VALU_DEP_1)
	v_min_u32_e32 v9, 32, v9
	v_subrev_nc_u32_e32 v133, 29, v9
	v_sub_nc_u32_e32 v9, 30, v9
	s_delay_alu instid0(VALU_DEP_2) | instskip(NEXT) | instid1(VALU_DEP_2)
	v_lshlrev_b32_e32 v133, v133, v10
	v_cndmask_b32_e32 v9, v134, v9, vcc_lo
	s_delay_alu instid0(VALU_DEP_2) | instskip(SKIP_1) | instid1(VALU_DEP_3)
	v_and_b32_e32 v133, 3, v133
	v_lshlrev_b32_e32 v135, 24, v10
	v_lshl_add_u32 v9, v9, 23, 0x37800000
	s_delay_alu instid0(VALU_DEP_2) | instskip(NEXT) | instid1(VALU_DEP_1)
	v_dual_cndmask_b32 v8, v8, v133 :: v_dual_and_b32 v133, 0x80000000, v135
	v_lshlrev_b32_e32 v8, 21, v8
	s_delay_alu instid0(VALU_DEP_1)
	v_or3_b32 v8, v133, v9, v8
.LBB2_5104:                             ;   in Loop: Header=BB2_4995 Depth=3
	s_or_b32 exec_lo, exec_lo, s31
	s_delay_alu instid0(VALU_DEP_1) | instskip(SKIP_1) | instid1(VALU_DEP_1)
	v_dual_mul_f32 v8, s30, v8 :: v_dual_mov_b32 v149, 0x80
	s_mov_b32 s31, exec_lo
	v_and_b32_e32 v9, 0x7f800000, v8
	s_delay_alu instid0(VALU_DEP_1)
	v_cmpx_ne_u32_e32 0x7f800000, v9
	s_cbranch_execz .LBB2_5112
; %bb.5105:                             ;   in Loop: Header=BB2_4995 Depth=3
	v_mov_b32_e32 v149, 0
	s_mov_b32 s34, exec_lo
	v_cmpx_ne_u32_e32 0, v8
	s_cbranch_execz .LBB2_5111
; %bb.5106:                             ;   in Loop: Header=BB2_4995 Depth=3
	v_bfe_u32 v9, v8, 23, 8
	s_delay_alu instid0(VALU_DEP_1) | instskip(SKIP_1) | instid1(VALU_DEP_2)
	v_sub_nc_u32_e32 v134, 0x70, v9
	v_cmp_gt_u32_e32 vcc_lo, 0x71, v9
	v_dual_cndmask_b32 v134, 0, v134 :: v_dual_and_b32 v133, 0x7fffff, v8
	s_delay_alu instid0(VALU_DEP_1) | instskip(SKIP_2) | instid1(VALU_DEP_4)
	v_or_b32_e32 v135, 0x800000, v133
	v_cmp_eq_u32_e32 vcc_lo, 0, v9
	v_add_nc_u32_e32 v9, 0xffffff91, v9
	v_cndmask_b32_e64 v134, v134, 0x6f, vcc_lo
	s_delay_alu instid0(VALU_DEP_4) | instskip(NEXT) | instid1(VALU_DEP_3)
	v_cndmask_b32_e32 v133, v135, v133, vcc_lo
	v_cndmask_b32_e64 v9, v9, 0xffffff92, vcc_lo
	s_delay_alu instid0(VALU_DEP_3) | instskip(NEXT) | instid1(VALU_DEP_3)
	v_lshl_add_u32 v135, 0x200000, v134, -1
	v_lshrrev_b32_e32 v145, v134, v133
	v_lshlrev_b32_e64 v147, v134, 0x100000
	s_delay_alu instid0(VALU_DEP_4) | instskip(NEXT) | instid1(VALU_DEP_4)
	v_add_nc_u32_e32 v134, v134, v9
	v_and_b32_e32 v133, v135, v133
	s_delay_alu instid0(VALU_DEP_4) | instskip(NEXT) | instid1(VALU_DEP_2)
	v_bfe_u32 v146, v145, 21, 1
	v_cmp_eq_u32_e64 s14, v133, v147
	s_delay_alu instid0(VALU_DEP_2) | instskip(NEXT) | instid1(VALU_DEP_1)
	v_add_nc_u32_e32 v135, -1, v146
	v_cndmask_b32_e64 v133, 0, v135, s14
	v_lshrrev_b32_e32 v135, 23, v145
	s_mov_b32 s14, exec_lo
	s_delay_alu instid0(VALU_DEP_2) | instskip(NEXT) | instid1(VALU_DEP_2)
	v_add_nc_u32_e32 v133, v133, v145
	v_xor_b32_e32 v135, 1, v135
	s_delay_alu instid0(VALU_DEP_2) | instskip(NEXT) | instid1(VALU_DEP_1)
	v_and_b32_e32 v9, 0x1fffff, v133
	v_add_nc_u32_e32 v133, v9, v145
                                        ; implicit-def: $vgpr9
	s_delay_alu instid0(VALU_DEP_3)
	v_cmpx_ne_u32_e64 v134, v135
	s_xor_b32 s14, exec_lo, s14
; %bb.5107:                             ;   in Loop: Header=BB2_4995 Depth=3
	s_delay_alu instid0(VALU_DEP_2) | instskip(SKIP_2) | instid1(VALU_DEP_2)
	v_cmp_lt_u32_e32 vcc_lo, 0xffffff, v133
	v_sub_nc_u32_e32 v9, v134, v135
	v_cndmask_b32_e64 v134, 0, 1, vcc_lo
	v_add_co_ci_u32_e32 v9, vcc_lo, 0, v9, vcc_lo
	s_delay_alu instid0(VALU_DEP_2)
	v_lshrrev_b32_e32 v133, v134, v133
; %bb.5108:                             ;   in Loop: Header=BB2_4995 Depth=3
	s_and_not1_saveexec_b32 s14, s14
; %bb.5109:                             ;   in Loop: Header=BB2_4995 Depth=3
	s_delay_alu instid0(VALU_DEP_1)
	v_bfe_u32 v9, v133, 23, 1
; %bb.5110:                             ;   in Loop: Header=BB2_4995 Depth=3
	s_or_b32 exec_lo, exec_lo, s14
	v_lshrrev_b32_e32 v133, 21, v133
	s_delay_alu instid0(VALU_DEP_2) | instskip(SKIP_2) | instid1(VALU_DEP_2)
	v_cmp_gt_i32_e32 vcc_lo, 32, v9
	v_lshrrev_b32_e32 v8, 24, v8
	v_min_i32_e32 v134, 31, v9
	v_dual_cndmask_b32 v133, 3, v133 :: v_dual_and_b32 v8, 0x80, v8
	s_delay_alu instid0(VALU_DEP_1) | instskip(SKIP_1) | instid1(VALU_DEP_2)
	v_or_b32_e32 v9, v9, v133
	v_and_b32_e32 v135, 3, v133
	v_cmp_ne_u32_e32 vcc_lo, 0, v9
	v_lshlrev_b32_e32 v134, 2, v134
	s_delay_alu instid0(VALU_DEP_1) | instskip(NEXT) | instid1(VALU_DEP_1)
	v_or3_b32 v8, v134, v8, v135
	v_cndmask_b32_e32 v149, 0, v8, vcc_lo
.LBB2_5111:                             ;   in Loop: Header=BB2_4995 Depth=3
	s_or_b32 exec_lo, exec_lo, s34
.LBB2_5112:                             ;   in Loop: Header=BB2_4995 Depth=3
	s_delay_alu instid0(SALU_CYCLE_1) | instskip(SKIP_3) | instid1(VALU_DEP_1)
	s_or_b32 exec_lo, exec_lo, s31
	v_lshrrev_b16 v8, 8, v10
	s_mov_b32 s14, 0
	s_mov_b32 s34, exec_lo
                                        ; implicit-def: $sgpr31
	v_cmpx_lt_i16_e32 0x7f, v8
	s_xor_b32 s34, exec_lo, s34
	s_cbranch_execnz .LBB2_5486
; %bb.5113:                             ;   in Loop: Header=BB2_4995 Depth=3
	s_or_saveexec_b32 s34, s34
	v_mov_b32_e32 v9, s31
	s_xor_b32 exec_lo, exec_lo, s34
	s_cbranch_execnz .LBB2_5489
.LBB2_5114:                             ;   in Loop: Header=BB2_4995 Depth=3
	s_or_b32 exec_lo, exec_lo, s34
	s_and_saveexec_b32 s31, s14
	s_cbranch_execz .LBB2_5116
.LBB2_5115:                             ;   in Loop: Header=BB2_4995 Depth=3
	v_and_b32_e32 v9, 0xffff, v8
	s_delay_alu instid0(VALU_DEP_1) | instskip(NEXT) | instid1(VALU_DEP_1)
	v_and_b32_e32 v133, 3, v9
	v_clz_i32_u32_e32 v134, v133
	s_delay_alu instid0(VALU_DEP_1) | instskip(NEXT) | instid1(VALU_DEP_1)
	v_min_u32_e32 v134, 32, v134
	v_subrev_nc_u32_e32 v135, 29, v134
	v_sub_nc_u32_e32 v134, 30, v134
	s_delay_alu instid0(VALU_DEP_2) | instskip(SKIP_1) | instid1(VALU_DEP_2)
	v_lshlrev_b32_e32 v135, v135, v9
	v_bfe_u32 v9, v9, 2, 5
	v_and_b32_e32 v135, 3, v135
	s_delay_alu instid0(VALU_DEP_2) | instskip(SKIP_1) | instid1(VALU_DEP_1)
	v_cmp_eq_u32_e32 vcc_lo, 0, v9
	v_dual_cndmask_b32 v9, v9, v134 :: v_dual_lshlrev_b32 v8, 24, v8
	v_dual_cndmask_b32 v133, v133, v135 :: v_dual_and_b32 v8, 0x80000000, v8
	s_delay_alu instid0(VALU_DEP_2) | instskip(NEXT) | instid1(VALU_DEP_2)
	v_lshl_add_u32 v9, v9, 23, 0x37800000
	v_lshlrev_b32_e32 v133, 21, v133
	s_delay_alu instid0(VALU_DEP_1)
	v_or3_b32 v9, v8, v9, v133
.LBB2_5116:                             ;   in Loop: Header=BB2_4995 Depth=3
	s_or_b32 exec_lo, exec_lo, s31
	s_delay_alu instid0(VALU_DEP_1) | instskip(SKIP_1) | instid1(VALU_DEP_1)
	v_dual_mul_f32 v8, s30, v9 :: v_dual_mov_b32 v147, 0x80
	s_mov_b32 s31, exec_lo
	v_and_b32_e32 v9, 0x7f800000, v8
	s_delay_alu instid0(VALU_DEP_1)
	v_cmpx_ne_u32_e32 0x7f800000, v9
	s_cbranch_execz .LBB2_5124
; %bb.5117:                             ;   in Loop: Header=BB2_4995 Depth=3
	v_mov_b32_e32 v147, 0
	s_mov_b32 s34, exec_lo
	v_cmpx_ne_u32_e32 0, v8
	s_cbranch_execz .LBB2_5123
; %bb.5118:                             ;   in Loop: Header=BB2_4995 Depth=3
	v_bfe_u32 v9, v8, 23, 8
	s_delay_alu instid0(VALU_DEP_1) | instskip(SKIP_1) | instid1(VALU_DEP_2)
	v_sub_nc_u32_e32 v134, 0x70, v9
	v_cmp_gt_u32_e32 vcc_lo, 0x71, v9
	v_dual_cndmask_b32 v134, 0, v134 :: v_dual_and_b32 v133, 0x7fffff, v8
	s_delay_alu instid0(VALU_DEP_1) | instskip(SKIP_2) | instid1(VALU_DEP_4)
	v_or_b32_e32 v135, 0x800000, v133
	v_cmp_eq_u32_e32 vcc_lo, 0, v9
	v_add_nc_u32_e32 v9, 0xffffff91, v9
	v_cndmask_b32_e64 v134, v134, 0x6f, vcc_lo
	s_delay_alu instid0(VALU_DEP_4) | instskip(NEXT) | instid1(VALU_DEP_3)
	v_cndmask_b32_e32 v133, v135, v133, vcc_lo
	v_cndmask_b32_e64 v9, v9, 0xffffff92, vcc_lo
	s_delay_alu instid0(VALU_DEP_3) | instskip(NEXT) | instid1(VALU_DEP_3)
	v_lshl_add_u32 v135, 0x200000, v134, -1
	v_lshrrev_b32_e32 v145, v134, v133
	v_lshlrev_b32_e64 v147, v134, 0x100000
	s_delay_alu instid0(VALU_DEP_4) | instskip(NEXT) | instid1(VALU_DEP_4)
	v_add_nc_u32_e32 v134, v134, v9
	v_and_b32_e32 v133, v135, v133
	s_delay_alu instid0(VALU_DEP_4) | instskip(NEXT) | instid1(VALU_DEP_2)
	v_bfe_u32 v146, v145, 21, 1
	v_cmp_eq_u32_e64 s14, v133, v147
	s_delay_alu instid0(VALU_DEP_2) | instskip(NEXT) | instid1(VALU_DEP_1)
	v_add_nc_u32_e32 v135, -1, v146
	v_cndmask_b32_e64 v133, 0, v135, s14
	v_lshrrev_b32_e32 v135, 23, v145
	s_mov_b32 s14, exec_lo
	s_delay_alu instid0(VALU_DEP_2) | instskip(NEXT) | instid1(VALU_DEP_2)
	v_add_nc_u32_e32 v133, v133, v145
	v_xor_b32_e32 v135, 1, v135
	s_delay_alu instid0(VALU_DEP_2) | instskip(NEXT) | instid1(VALU_DEP_1)
	v_and_b32_e32 v9, 0x1fffff, v133
	v_add_nc_u32_e32 v133, v9, v145
                                        ; implicit-def: $vgpr9
	s_delay_alu instid0(VALU_DEP_3)
	v_cmpx_ne_u32_e64 v134, v135
	s_xor_b32 s14, exec_lo, s14
; %bb.5119:                             ;   in Loop: Header=BB2_4995 Depth=3
	s_delay_alu instid0(VALU_DEP_2) | instskip(SKIP_2) | instid1(VALU_DEP_2)
	v_cmp_lt_u32_e32 vcc_lo, 0xffffff, v133
	v_sub_nc_u32_e32 v9, v134, v135
	v_cndmask_b32_e64 v134, 0, 1, vcc_lo
	v_add_co_ci_u32_e32 v9, vcc_lo, 0, v9, vcc_lo
	s_delay_alu instid0(VALU_DEP_2)
	v_lshrrev_b32_e32 v133, v134, v133
; %bb.5120:                             ;   in Loop: Header=BB2_4995 Depth=3
	s_and_not1_saveexec_b32 s14, s14
; %bb.5121:                             ;   in Loop: Header=BB2_4995 Depth=3
	s_delay_alu instid0(VALU_DEP_1)
	v_bfe_u32 v9, v133, 23, 1
; %bb.5122:                             ;   in Loop: Header=BB2_4995 Depth=3
	s_or_b32 exec_lo, exec_lo, s14
	v_lshrrev_b32_e32 v133, 21, v133
	s_delay_alu instid0(VALU_DEP_2) | instskip(SKIP_2) | instid1(VALU_DEP_2)
	v_cmp_gt_i32_e32 vcc_lo, 32, v9
	v_lshrrev_b32_e32 v8, 24, v8
	v_min_i32_e32 v134, 31, v9
	v_dual_cndmask_b32 v133, 3, v133 :: v_dual_and_b32 v8, 0x80, v8
	s_delay_alu instid0(VALU_DEP_1) | instskip(SKIP_1) | instid1(VALU_DEP_2)
	v_or_b32_e32 v9, v9, v133
	v_and_b32_e32 v135, 3, v133
	v_cmp_ne_u32_e32 vcc_lo, 0, v9
	v_lshlrev_b32_e32 v134, 2, v134
	s_delay_alu instid0(VALU_DEP_1) | instskip(NEXT) | instid1(VALU_DEP_1)
	v_or3_b32 v8, v134, v8, v135
	v_cndmask_b32_e32 v147, 0, v8, vcc_lo
.LBB2_5123:                             ;   in Loop: Header=BB2_4995 Depth=3
	s_or_b32 exec_lo, exec_lo, s34
.LBB2_5124:                             ;   in Loop: Header=BB2_4995 Depth=3
	s_delay_alu instid0(SALU_CYCLE_1) | instskip(SKIP_3) | instid1(VALU_DEP_1)
	s_or_b32 exec_lo, exec_lo, s31
	v_lshrrev_b32_e32 v8, 16, v10
	s_mov_b32 s14, 0
	s_mov_b32 s34, exec_lo
                                        ; implicit-def: $sgpr31
	v_and_b32_e32 v133, 0xff, v8
	s_delay_alu instid0(VALU_DEP_1)
	v_cmpx_lt_i16_e64 0x7f, v133
	s_xor_b32 s34, exec_lo, s34
	s_cbranch_execnz .LBB2_5490
; %bb.5125:                             ;   in Loop: Header=BB2_4995 Depth=3
	s_or_saveexec_b32 s34, s34
	v_mov_b32_e32 v9, s31
	s_xor_b32 exec_lo, exec_lo, s34
	s_cbranch_execnz .LBB2_5493
.LBB2_5126:                             ;   in Loop: Header=BB2_4995 Depth=3
	s_or_b32 exec_lo, exec_lo, s34
	s_and_saveexec_b32 s31, s14
	s_cbranch_execz .LBB2_5128
.LBB2_5127:                             ;   in Loop: Header=BB2_4995 Depth=3
	v_bfe_u32 v9, v10, 16, 2
	s_delay_alu instid0(VALU_DEP_1) | instskip(NEXT) | instid1(VALU_DEP_1)
	v_clz_i32_u32_e32 v133, v9
	v_min_u32_e32 v133, 32, v133
	s_delay_alu instid0(VALU_DEP_1) | instskip(SKIP_1) | instid1(VALU_DEP_2)
	v_subrev_nc_u32_e32 v134, 29, v133
	v_sub_nc_u32_e32 v133, 30, v133
	v_lshlrev_b32_e32 v8, v134, v8
	v_bfe_u32 v134, v10, 18, 5
	s_delay_alu instid0(VALU_DEP_1) | instskip(NEXT) | instid1(VALU_DEP_3)
	v_cmp_eq_u32_e32 vcc_lo, 0, v134
	v_dual_cndmask_b32 v133, v134, v133 :: v_dual_and_b32 v8, 3, v8
	s_delay_alu instid0(VALU_DEP_1) | instskip(NEXT) | instid1(VALU_DEP_2)
	v_dual_cndmask_b32 v8, v9, v8 :: v_dual_lshlrev_b32 v135, 8, v10
	v_lshl_add_u32 v133, v133, 23, 0x37800000
	s_delay_alu instid0(VALU_DEP_2) | instskip(NEXT) | instid1(VALU_DEP_3)
	v_and_b32_e32 v9, 0x80000000, v135
	v_lshlrev_b32_e32 v8, 21, v8
	s_delay_alu instid0(VALU_DEP_1)
	v_or3_b32 v9, v9, v133, v8
.LBB2_5128:                             ;   in Loop: Header=BB2_4995 Depth=3
	s_or_b32 exec_lo, exec_lo, s31
	s_delay_alu instid0(VALU_DEP_1) | instskip(SKIP_2) | instid1(VALU_DEP_2)
	v_mul_f32_e32 v8, s30, v9
	v_mov_b32_e32 v146, 0x80
	s_mov_b32 s31, exec_lo
	v_and_b32_e32 v9, 0x7f800000, v8
	s_delay_alu instid0(VALU_DEP_1)
	v_cmpx_ne_u32_e32 0x7f800000, v9
	s_cbranch_execz .LBB2_5136
; %bb.5129:                             ;   in Loop: Header=BB2_4995 Depth=3
	v_mov_b32_e32 v146, 0
	s_mov_b32 s34, exec_lo
	v_cmpx_ne_u32_e32 0, v8
	s_cbranch_execz .LBB2_5135
; %bb.5130:                             ;   in Loop: Header=BB2_4995 Depth=3
	v_bfe_u32 v9, v8, 23, 8
	s_delay_alu instid0(VALU_DEP_1) | instskip(SKIP_1) | instid1(VALU_DEP_2)
	v_sub_nc_u32_e32 v134, 0x70, v9
	v_cmp_gt_u32_e32 vcc_lo, 0x71, v9
	v_dual_cndmask_b32 v134, 0, v134 :: v_dual_and_b32 v133, 0x7fffff, v8
	s_delay_alu instid0(VALU_DEP_1) | instskip(SKIP_2) | instid1(VALU_DEP_4)
	v_or_b32_e32 v135, 0x800000, v133
	v_cmp_eq_u32_e32 vcc_lo, 0, v9
	v_add_nc_u32_e32 v9, 0xffffff91, v9
	v_cndmask_b32_e64 v134, v134, 0x6f, vcc_lo
	s_delay_alu instid0(VALU_DEP_4) | instskip(NEXT) | instid1(VALU_DEP_3)
	v_cndmask_b32_e32 v133, v135, v133, vcc_lo
	v_cndmask_b32_e64 v9, v9, 0xffffff92, vcc_lo
	s_delay_alu instid0(VALU_DEP_3) | instskip(NEXT) | instid1(VALU_DEP_3)
	v_lshl_add_u32 v135, 0x200000, v134, -1
	v_lshrrev_b32_e32 v145, v134, v133
	v_lshlrev_b32_e64 v148, v134, 0x100000
	s_delay_alu instid0(VALU_DEP_4) | instskip(NEXT) | instid1(VALU_DEP_4)
	v_add_nc_u32_e32 v134, v134, v9
	v_and_b32_e32 v133, v135, v133
	s_delay_alu instid0(VALU_DEP_4) | instskip(NEXT) | instid1(VALU_DEP_2)
	v_bfe_u32 v146, v145, 21, 1
	v_cmp_eq_u32_e64 s14, v133, v148
	s_delay_alu instid0(VALU_DEP_2) | instskip(NEXT) | instid1(VALU_DEP_1)
	v_add_nc_u32_e32 v135, -1, v146
	v_cndmask_b32_e64 v133, 0, v135, s14
	v_lshrrev_b32_e32 v135, 23, v145
	s_mov_b32 s14, exec_lo
	s_delay_alu instid0(VALU_DEP_2) | instskip(NEXT) | instid1(VALU_DEP_2)
	v_add_nc_u32_e32 v133, v133, v145
	v_xor_b32_e32 v135, 1, v135
	s_delay_alu instid0(VALU_DEP_2) | instskip(NEXT) | instid1(VALU_DEP_1)
	v_and_b32_e32 v9, 0x1fffff, v133
	v_add_nc_u32_e32 v133, v9, v145
                                        ; implicit-def: $vgpr9
	s_delay_alu instid0(VALU_DEP_3)
	v_cmpx_ne_u32_e64 v134, v135
	s_xor_b32 s14, exec_lo, s14
; %bb.5131:                             ;   in Loop: Header=BB2_4995 Depth=3
	s_delay_alu instid0(VALU_DEP_2) | instskip(SKIP_2) | instid1(VALU_DEP_2)
	v_cmp_lt_u32_e32 vcc_lo, 0xffffff, v133
	v_sub_nc_u32_e32 v9, v134, v135
	v_cndmask_b32_e64 v134, 0, 1, vcc_lo
	v_add_co_ci_u32_e32 v9, vcc_lo, 0, v9, vcc_lo
	s_delay_alu instid0(VALU_DEP_2)
	v_lshrrev_b32_e32 v133, v134, v133
; %bb.5132:                             ;   in Loop: Header=BB2_4995 Depth=3
	s_and_not1_saveexec_b32 s14, s14
; %bb.5133:                             ;   in Loop: Header=BB2_4995 Depth=3
	s_delay_alu instid0(VALU_DEP_1)
	v_bfe_u32 v9, v133, 23, 1
; %bb.5134:                             ;   in Loop: Header=BB2_4995 Depth=3
	s_or_b32 exec_lo, exec_lo, s14
	v_lshrrev_b32_e32 v133, 21, v133
	s_delay_alu instid0(VALU_DEP_2) | instskip(SKIP_2) | instid1(VALU_DEP_2)
	v_cmp_gt_i32_e32 vcc_lo, 32, v9
	v_lshrrev_b32_e32 v8, 24, v8
	v_min_i32_e32 v134, 31, v9
	v_dual_cndmask_b32 v133, 3, v133 :: v_dual_and_b32 v8, 0x80, v8
	s_delay_alu instid0(VALU_DEP_2) | instskip(NEXT) | instid1(VALU_DEP_2)
	v_lshlrev_b32_e32 v134, 2, v134
	v_or_b32_e32 v9, v9, v133
	s_delay_alu instid0(VALU_DEP_1) | instskip(SKIP_1) | instid1(VALU_DEP_1)
	v_cmp_ne_u32_e32 vcc_lo, 0, v9
	v_and_b32_e32 v135, 3, v133
	v_or3_b32 v8, v134, v8, v135
	s_delay_alu instid0(VALU_DEP_1)
	v_cndmask_b32_e32 v146, 0, v8, vcc_lo
.LBB2_5135:                             ;   in Loop: Header=BB2_4995 Depth=3
	s_or_b32 exec_lo, exec_lo, s34
.LBB2_5136:                             ;   in Loop: Header=BB2_4995 Depth=3
	s_delay_alu instid0(SALU_CYCLE_1) | instskip(SKIP_3) | instid1(VALU_DEP_1)
	s_or_b32 exec_lo, exec_lo, s31
	v_lshrrev_b32_e32 v8, 24, v10
	s_mov_b32 s14, 0
	s_mov_b32 s34, exec_lo
                                        ; implicit-def: $sgpr31
	v_cmpx_lt_i16_e32 0x7f, v8
	s_xor_b32 s34, exec_lo, s34
	s_cbranch_execnz .LBB2_5494
; %bb.5137:                             ;   in Loop: Header=BB2_4995 Depth=3
	s_or_saveexec_b32 s34, s34
	v_mov_b32_e32 v9, s31
	s_xor_b32 exec_lo, exec_lo, s34
	s_cbranch_execnz .LBB2_5497
.LBB2_5138:                             ;   in Loop: Header=BB2_4995 Depth=3
	s_or_b32 exec_lo, exec_lo, s34
	s_and_saveexec_b32 s31, s14
	s_cbranch_execz .LBB2_5140
.LBB2_5139:                             ;   in Loop: Header=BB2_4995 Depth=3
	v_bfe_u32 v9, v10, 24, 2
	s_delay_alu instid0(VALU_DEP_1) | instskip(NEXT) | instid1(VALU_DEP_1)
	v_clz_i32_u32_e32 v133, v9
	v_min_u32_e32 v133, 32, v133
	s_delay_alu instid0(VALU_DEP_1) | instskip(SKIP_1) | instid1(VALU_DEP_2)
	v_subrev_nc_u32_e32 v134, 29, v133
	v_sub_nc_u32_e32 v133, 30, v133
	v_lshlrev_b32_e32 v8, v134, v8
	v_bfe_u32 v134, v10, 26, 5
	s_delay_alu instid0(VALU_DEP_1) | instskip(NEXT) | instid1(VALU_DEP_3)
	v_cmp_eq_u32_e32 vcc_lo, 0, v134
	v_dual_cndmask_b32 v133, v134, v133 :: v_dual_and_b32 v8, 3, v8
	s_delay_alu instid0(VALU_DEP_1) | instskip(NEXT) | instid1(VALU_DEP_2)
	v_dual_cndmask_b32 v8, v9, v8 :: v_dual_and_b32 v9, 0x80000000, v10
	v_lshl_add_u32 v10, v133, 23, 0x37800000
	s_delay_alu instid0(VALU_DEP_2) | instskip(NEXT) | instid1(VALU_DEP_1)
	v_lshlrev_b32_e32 v8, 21, v8
	v_or3_b32 v9, v9, v10, v8
.LBB2_5140:                             ;   in Loop: Header=BB2_4995 Depth=3
	s_or_b32 exec_lo, exec_lo, s31
	s_delay_alu instid0(VALU_DEP_1) | instskip(SKIP_1) | instid1(VALU_DEP_1)
	v_dual_mul_f32 v8, s30, v9 :: v_dual_mov_b32 v135, 0x80
	s_mov_b32 s31, exec_lo
	v_and_b32_e32 v9, 0x7f800000, v8
	s_delay_alu instid0(VALU_DEP_1)
	v_cmpx_ne_u32_e32 0x7f800000, v9
	s_cbranch_execz .LBB2_5148
; %bb.5141:                             ;   in Loop: Header=BB2_4995 Depth=3
	v_mov_b32_e32 v135, 0
	s_mov_b32 s34, exec_lo
	v_cmpx_ne_u32_e32 0, v8
	s_cbranch_execz .LBB2_5147
; %bb.5142:                             ;   in Loop: Header=BB2_4995 Depth=3
	v_bfe_u32 v9, v8, 23, 8
	s_delay_alu instid0(VALU_DEP_1) | instskip(SKIP_1) | instid1(VALU_DEP_2)
	v_sub_nc_u32_e32 v133, 0x70, v9
	v_cmp_gt_u32_e32 vcc_lo, 0x71, v9
	v_dual_cndmask_b32 v133, 0, v133 :: v_dual_and_b32 v10, 0x7fffff, v8
	s_delay_alu instid0(VALU_DEP_1) | instskip(SKIP_2) | instid1(VALU_DEP_4)
	v_or_b32_e32 v134, 0x800000, v10
	v_cmp_eq_u32_e32 vcc_lo, 0, v9
	v_add_nc_u32_e32 v9, 0xffffff91, v9
	v_cndmask_b32_e64 v133, v133, 0x6f, vcc_lo
	s_delay_alu instid0(VALU_DEP_4) | instskip(NEXT) | instid1(VALU_DEP_3)
	v_cndmask_b32_e32 v10, v134, v10, vcc_lo
	v_cndmask_b32_e64 v9, v9, 0xffffff92, vcc_lo
	s_delay_alu instid0(VALU_DEP_3) | instskip(NEXT) | instid1(VALU_DEP_3)
	v_lshl_add_u32 v134, 0x200000, v133, -1
	v_lshrrev_b32_e32 v135, v133, v10
	v_lshlrev_b32_e64 v148, v133, 0x100000
	s_delay_alu instid0(VALU_DEP_4) | instskip(NEXT) | instid1(VALU_DEP_4)
	v_add_nc_u32_e32 v133, v133, v9
	v_and_b32_e32 v10, v134, v10
	s_delay_alu instid0(VALU_DEP_4) | instskip(NEXT) | instid1(VALU_DEP_2)
	v_bfe_u32 v145, v135, 21, 1
	v_cmp_eq_u32_e64 s14, v10, v148
	s_delay_alu instid0(VALU_DEP_2) | instskip(NEXT) | instid1(VALU_DEP_1)
	v_add_nc_u32_e32 v134, -1, v145
	v_cndmask_b32_e64 v10, 0, v134, s14
	v_lshrrev_b32_e32 v134, 23, v135
	s_mov_b32 s14, exec_lo
	s_delay_alu instid0(VALU_DEP_2) | instskip(NEXT) | instid1(VALU_DEP_2)
	v_add_nc_u32_e32 v10, v10, v135
	v_xor_b32_e32 v134, 1, v134
	s_delay_alu instid0(VALU_DEP_2) | instskip(NEXT) | instid1(VALU_DEP_1)
	v_and_b32_e32 v9, 0x1fffff, v10
	v_add_nc_u32_e32 v10, v9, v135
                                        ; implicit-def: $vgpr9
	s_delay_alu instid0(VALU_DEP_3)
	v_cmpx_ne_u32_e64 v133, v134
	s_xor_b32 s14, exec_lo, s14
; %bb.5143:                             ;   in Loop: Header=BB2_4995 Depth=3
	s_delay_alu instid0(VALU_DEP_2) | instskip(SKIP_2) | instid1(VALU_DEP_2)
	v_cmp_lt_u32_e32 vcc_lo, 0xffffff, v10
	v_sub_nc_u32_e32 v9, v133, v134
	v_cndmask_b32_e64 v133, 0, 1, vcc_lo
	v_add_co_ci_u32_e32 v9, vcc_lo, 0, v9, vcc_lo
	s_delay_alu instid0(VALU_DEP_2)
	v_lshrrev_b32_e32 v10, v133, v10
; %bb.5144:                             ;   in Loop: Header=BB2_4995 Depth=3
	s_and_not1_saveexec_b32 s14, s14
; %bb.5145:                             ;   in Loop: Header=BB2_4995 Depth=3
	s_delay_alu instid0(VALU_DEP_1)
	v_bfe_u32 v9, v10, 23, 1
; %bb.5146:                             ;   in Loop: Header=BB2_4995 Depth=3
	s_or_b32 exec_lo, exec_lo, s14
	v_lshrrev_b32_e32 v10, 21, v10
	s_delay_alu instid0(VALU_DEP_2) | instskip(SKIP_2) | instid1(VALU_DEP_2)
	v_cmp_gt_i32_e32 vcc_lo, 32, v9
	v_min_i32_e32 v133, 31, v9
	v_lshrrev_b32_e32 v8, 24, v8
	v_dual_cndmask_b32 v10, 3, v10 :: v_dual_lshlrev_b32 v133, 2, v133
	s_delay_alu instid0(VALU_DEP_2) | instskip(NEXT) | instid1(VALU_DEP_2)
	v_and_b32_e32 v8, 0x80, v8
	v_or_b32_e32 v9, v9, v10
	s_delay_alu instid0(VALU_DEP_1) | instskip(SKIP_1) | instid1(VALU_DEP_1)
	v_cmp_ne_u32_e32 vcc_lo, 0, v9
	v_and_b32_e32 v134, 3, v10
	v_or3_b32 v8, v133, v8, v134
	s_delay_alu instid0(VALU_DEP_1)
	v_cndmask_b32_e32 v135, 0, v8, vcc_lo
.LBB2_5147:                             ;   in Loop: Header=BB2_4995 Depth=3
	s_or_b32 exec_lo, exec_lo, s34
.LBB2_5148:                             ;   in Loop: Header=BB2_4995 Depth=3
	s_delay_alu instid0(SALU_CYCLE_1) | instskip(SKIP_3) | instid1(VALU_DEP_1)
	s_or_b32 exec_lo, exec_lo, s31
	v_and_b32_e32 v9, 0xff, v11
	s_mov_b32 s14, 0
	s_mov_b32 s34, exec_lo
                                        ; implicit-def: $sgpr31
	v_cmpx_lt_i16_e32 0x7f, v9
	s_xor_b32 s34, exec_lo, s34
	s_cbranch_execnz .LBB2_5498
; %bb.5149:                             ;   in Loop: Header=BB2_4995 Depth=3
	s_or_saveexec_b32 s34, s34
	v_mov_b32_e32 v8, s31
	s_xor_b32 exec_lo, exec_lo, s34
	s_cbranch_execnz .LBB2_5501
.LBB2_5150:                             ;   in Loop: Header=BB2_4995 Depth=3
	s_or_b32 exec_lo, exec_lo, s34
	s_and_saveexec_b32 s31, s14
	s_cbranch_execz .LBB2_5152
.LBB2_5151:                             ;   in Loop: Header=BB2_4995 Depth=3
	v_bfe_u32 v133, v11, 2, 5
	v_lshlrev_b32_e32 v134, 24, v11
	s_delay_alu instid0(VALU_DEP_2) | instskip(SKIP_1) | instid1(VALU_DEP_1)
	v_cmp_eq_u32_e32 vcc_lo, 0, v133
	v_and_b32_e32 v8, 3, v11
	v_clz_i32_u32_e32 v9, v8
	s_delay_alu instid0(VALU_DEP_1) | instskip(NEXT) | instid1(VALU_DEP_1)
	v_min_u32_e32 v9, 32, v9
	v_subrev_nc_u32_e32 v10, 29, v9
	v_sub_nc_u32_e32 v9, 30, v9
	s_delay_alu instid0(VALU_DEP_1) | instskip(NEXT) | instid1(VALU_DEP_1)
	v_dual_cndmask_b32 v9, v133, v9 :: v_dual_lshlrev_b32 v10, v10, v11
	v_and_b32_e32 v10, 3, v10
	s_delay_alu instid0(VALU_DEP_2) | instskip(NEXT) | instid1(VALU_DEP_2)
	v_lshl_add_u32 v9, v9, 23, 0x37800000
	v_cndmask_b32_e32 v8, v8, v10, vcc_lo
	v_and_b32_e32 v10, 0x80000000, v134
	s_delay_alu instid0(VALU_DEP_2) | instskip(NEXT) | instid1(VALU_DEP_1)
	v_lshlrev_b32_e32 v8, 21, v8
	v_or3_b32 v8, v10, v9, v8
.LBB2_5152:                             ;   in Loop: Header=BB2_4995 Depth=3
	s_or_b32 exec_lo, exec_lo, s31
	s_delay_alu instid0(VALU_DEP_1) | instskip(SKIP_2) | instid1(VALU_DEP_2)
	v_mul_f32_e32 v8, s30, v8
	v_mov_b32_e32 v134, 0x80
	s_mov_b32 s31, exec_lo
	v_and_b32_e32 v9, 0x7f800000, v8
	s_delay_alu instid0(VALU_DEP_1)
	v_cmpx_ne_u32_e32 0x7f800000, v9
	s_cbranch_execz .LBB2_5160
; %bb.5153:                             ;   in Loop: Header=BB2_4995 Depth=3
	v_mov_b32_e32 v134, 0
	s_mov_b32 s34, exec_lo
	v_cmpx_ne_u32_e32 0, v8
	s_cbranch_execz .LBB2_5159
; %bb.5154:                             ;   in Loop: Header=BB2_4995 Depth=3
	v_bfe_u32 v9, v8, 23, 8
	s_delay_alu instid0(VALU_DEP_1) | instskip(SKIP_1) | instid1(VALU_DEP_2)
	v_sub_nc_u32_e32 v133, 0x70, v9
	v_cmp_gt_u32_e32 vcc_lo, 0x71, v9
	v_dual_cndmask_b32 v133, 0, v133 :: v_dual_and_b32 v10, 0x7fffff, v8
	s_delay_alu instid0(VALU_DEP_1) | instskip(SKIP_2) | instid1(VALU_DEP_4)
	v_or_b32_e32 v134, 0x800000, v10
	v_cmp_eq_u32_e32 vcc_lo, 0, v9
	v_add_nc_u32_e32 v9, 0xffffff91, v9
	v_cndmask_b32_e64 v133, v133, 0x6f, vcc_lo
	s_delay_alu instid0(VALU_DEP_4) | instskip(NEXT) | instid1(VALU_DEP_3)
	v_cndmask_b32_e32 v10, v134, v10, vcc_lo
	v_cndmask_b32_e64 v9, v9, 0xffffff92, vcc_lo
	s_delay_alu instid0(VALU_DEP_3) | instskip(NEXT) | instid1(VALU_DEP_3)
	v_lshl_add_u32 v134, 0x200000, v133, -1
	v_lshrrev_b32_e32 v145, v133, v10
	v_lshlrev_b32_e64 v164, v133, 0x100000
	s_delay_alu instid0(VALU_DEP_4) | instskip(NEXT) | instid1(VALU_DEP_4)
	v_add_nc_u32_e32 v133, v133, v9
	v_and_b32_e32 v10, v134, v10
	s_delay_alu instid0(VALU_DEP_4) | instskip(NEXT) | instid1(VALU_DEP_2)
	v_bfe_u32 v148, v145, 21, 1
	v_cmp_eq_u32_e64 s14, v10, v164
	s_delay_alu instid0(VALU_DEP_2) | instskip(NEXT) | instid1(VALU_DEP_1)
	v_add_nc_u32_e32 v134, -1, v148
	v_cndmask_b32_e64 v10, 0, v134, s14
	v_lshrrev_b32_e32 v134, 23, v145
	s_mov_b32 s14, exec_lo
	s_delay_alu instid0(VALU_DEP_2) | instskip(NEXT) | instid1(VALU_DEP_2)
	v_add_nc_u32_e32 v10, v10, v145
	v_xor_b32_e32 v134, 1, v134
	s_delay_alu instid0(VALU_DEP_2) | instskip(NEXT) | instid1(VALU_DEP_1)
	v_and_b32_e32 v9, 0x1fffff, v10
	v_add_nc_u32_e32 v10, v9, v145
                                        ; implicit-def: $vgpr9
	s_delay_alu instid0(VALU_DEP_3)
	v_cmpx_ne_u32_e64 v133, v134
	s_xor_b32 s14, exec_lo, s14
; %bb.5155:                             ;   in Loop: Header=BB2_4995 Depth=3
	s_delay_alu instid0(VALU_DEP_2) | instskip(SKIP_2) | instid1(VALU_DEP_2)
	v_cmp_lt_u32_e32 vcc_lo, 0xffffff, v10
	v_sub_nc_u32_e32 v9, v133, v134
	v_cndmask_b32_e64 v133, 0, 1, vcc_lo
	v_add_co_ci_u32_e32 v9, vcc_lo, 0, v9, vcc_lo
	s_delay_alu instid0(VALU_DEP_2)
	v_lshrrev_b32_e32 v10, v133, v10
; %bb.5156:                             ;   in Loop: Header=BB2_4995 Depth=3
	s_and_not1_saveexec_b32 s14, s14
; %bb.5157:                             ;   in Loop: Header=BB2_4995 Depth=3
	s_delay_alu instid0(VALU_DEP_1)
	v_bfe_u32 v9, v10, 23, 1
; %bb.5158:                             ;   in Loop: Header=BB2_4995 Depth=3
	s_or_b32 exec_lo, exec_lo, s14
	v_lshrrev_b32_e32 v10, 21, v10
	s_delay_alu instid0(VALU_DEP_2) | instskip(SKIP_2) | instid1(VALU_DEP_2)
	v_cmp_gt_i32_e32 vcc_lo, 32, v9
	v_min_i32_e32 v133, 31, v9
	v_lshrrev_b32_e32 v8, 24, v8
	v_dual_cndmask_b32 v10, 3, v10 :: v_dual_lshlrev_b32 v133, 2, v133
	s_delay_alu instid0(VALU_DEP_2) | instskip(NEXT) | instid1(VALU_DEP_2)
	v_and_b32_e32 v8, 0x80, v8
	v_or_b32_e32 v9, v9, v10
	v_and_b32_e32 v134, 3, v10
	s_delay_alu instid0(VALU_DEP_2) | instskip(SKIP_1) | instid1(VALU_DEP_1)
	v_cmp_ne_u32_e32 vcc_lo, 0, v9
	v_and_b32_e32 v133, 0xfc, v133
	v_or3_b32 v8, v133, v8, v134
	s_delay_alu instid0(VALU_DEP_1)
	v_cndmask_b32_e32 v134, 0, v8, vcc_lo
.LBB2_5159:                             ;   in Loop: Header=BB2_4995 Depth=3
	s_or_b32 exec_lo, exec_lo, s34
.LBB2_5160:                             ;   in Loop: Header=BB2_4995 Depth=3
	s_delay_alu instid0(SALU_CYCLE_1) | instskip(SKIP_3) | instid1(VALU_DEP_1)
	s_or_b32 exec_lo, exec_lo, s31
	v_lshrrev_b16 v8, 8, v11
	s_mov_b32 s14, 0
	s_mov_b32 s34, exec_lo
                                        ; implicit-def: $sgpr31
	v_cmpx_lt_i16_e32 0x7f, v8
	s_xor_b32 s34, exec_lo, s34
	s_cbranch_execnz .LBB2_5502
; %bb.5161:                             ;   in Loop: Header=BB2_4995 Depth=3
	s_or_saveexec_b32 s34, s34
	v_mov_b32_e32 v9, s31
	s_xor_b32 exec_lo, exec_lo, s34
	s_cbranch_execnz .LBB2_5505
.LBB2_5162:                             ;   in Loop: Header=BB2_4995 Depth=3
	s_or_b32 exec_lo, exec_lo, s34
	s_and_saveexec_b32 s31, s14
	s_cbranch_execz .LBB2_5164
.LBB2_5163:                             ;   in Loop: Header=BB2_4995 Depth=3
	v_and_b32_e32 v9, 0xffff, v8
	s_delay_alu instid0(VALU_DEP_1) | instskip(NEXT) | instid1(VALU_DEP_1)
	v_and_b32_e32 v10, 3, v9
	v_clz_i32_u32_e32 v133, v10
	s_delay_alu instid0(VALU_DEP_1) | instskip(NEXT) | instid1(VALU_DEP_1)
	v_min_u32_e32 v133, 32, v133
	v_subrev_nc_u32_e32 v145, 29, v133
	v_sub_nc_u32_e32 v133, 30, v133
	s_delay_alu instid0(VALU_DEP_2) | instskip(SKIP_1) | instid1(VALU_DEP_2)
	v_lshlrev_b32_e32 v145, v145, v9
	v_bfe_u32 v9, v9, 2, 5
	v_and_b32_e32 v145, 3, v145
	s_delay_alu instid0(VALU_DEP_2) | instskip(SKIP_1) | instid1(VALU_DEP_3)
	v_cmp_eq_u32_e32 vcc_lo, 0, v9
	v_dual_cndmask_b32 v9, v9, v133 :: v_dual_lshlrev_b32 v8, 24, v8
	v_cndmask_b32_e32 v10, v10, v145, vcc_lo
	s_delay_alu instid0(VALU_DEP_2) | instskip(NEXT) | instid1(VALU_DEP_3)
	v_and_b32_e32 v8, 0x80000000, v8
	v_lshl_add_u32 v9, v9, 23, 0x37800000
	s_delay_alu instid0(VALU_DEP_3) | instskip(NEXT) | instid1(VALU_DEP_1)
	v_lshlrev_b32_e32 v10, 21, v10
	v_or3_b32 v9, v8, v9, v10
.LBB2_5164:                             ;   in Loop: Header=BB2_4995 Depth=3
	s_or_b32 exec_lo, exec_lo, s31
	s_delay_alu instid0(VALU_DEP_1) | instskip(SKIP_2) | instid1(VALU_DEP_2)
	v_mul_f32_e32 v8, s30, v9
	v_mov_b32_e32 v148, 0x8000
	s_mov_b32 s31, exec_lo
	v_and_b32_e32 v9, 0x7f800000, v8
	s_delay_alu instid0(VALU_DEP_1)
	v_cmpx_ne_u32_e32 0x7f800000, v9
	s_cbranch_execz .LBB2_5172
; %bb.5165:                             ;   in Loop: Header=BB2_4995 Depth=3
	v_mov_b32_e32 v148, 0
	s_mov_b32 s34, exec_lo
	v_cmpx_ne_u32_e32 0, v8
	s_cbranch_execz .LBB2_5171
; %bb.5166:                             ;   in Loop: Header=BB2_4995 Depth=3
	v_bfe_u32 v9, v8, 23, 8
	s_delay_alu instid0(VALU_DEP_1) | instskip(SKIP_1) | instid1(VALU_DEP_2)
	v_sub_nc_u32_e32 v133, 0x70, v9
	v_cmp_gt_u32_e32 vcc_lo, 0x71, v9
	v_dual_cndmask_b32 v133, 0, v133 :: v_dual_and_b32 v10, 0x7fffff, v8
	s_delay_alu instid0(VALU_DEP_1) | instskip(SKIP_2) | instid1(VALU_DEP_4)
	v_or_b32_e32 v145, 0x800000, v10
	v_cmp_eq_u32_e32 vcc_lo, 0, v9
	v_add_nc_u32_e32 v9, 0xffffff91, v9
	v_cndmask_b32_e64 v133, v133, 0x6f, vcc_lo
	s_delay_alu instid0(VALU_DEP_4) | instskip(NEXT) | instid1(VALU_DEP_3)
	v_cndmask_b32_e32 v10, v145, v10, vcc_lo
	v_cndmask_b32_e64 v9, v9, 0xffffff92, vcc_lo
	s_delay_alu instid0(VALU_DEP_3) | instskip(NEXT) | instid1(VALU_DEP_3)
	v_lshl_add_u32 v145, 0x200000, v133, -1
	v_lshrrev_b32_e32 v148, v133, v10
	v_lshlrev_b32_e64 v165, v133, 0x100000
	s_delay_alu instid0(VALU_DEP_4) | instskip(NEXT) | instid1(VALU_DEP_4)
	v_add_nc_u32_e32 v133, v133, v9
	v_and_b32_e32 v10, v145, v10
	s_delay_alu instid0(VALU_DEP_4) | instskip(NEXT) | instid1(VALU_DEP_2)
	v_bfe_u32 v164, v148, 21, 1
	v_cmp_eq_u32_e64 s14, v10, v165
	s_delay_alu instid0(VALU_DEP_2) | instskip(NEXT) | instid1(VALU_DEP_1)
	v_add_nc_u32_e32 v145, -1, v164
	v_cndmask_b32_e64 v10, 0, v145, s14
	v_lshrrev_b32_e32 v145, 23, v148
	s_mov_b32 s14, exec_lo
	s_delay_alu instid0(VALU_DEP_2) | instskip(NEXT) | instid1(VALU_DEP_2)
	v_add_nc_u32_e32 v10, v10, v148
	v_xor_b32_e32 v145, 1, v145
	s_delay_alu instid0(VALU_DEP_2) | instskip(NEXT) | instid1(VALU_DEP_1)
	v_and_b32_e32 v9, 0x1fffff, v10
	v_add_nc_u32_e32 v10, v9, v148
                                        ; implicit-def: $vgpr9
	s_delay_alu instid0(VALU_DEP_3)
	v_cmpx_ne_u32_e64 v133, v145
	s_xor_b32 s14, exec_lo, s14
; %bb.5167:                             ;   in Loop: Header=BB2_4995 Depth=3
	s_delay_alu instid0(VALU_DEP_2) | instskip(SKIP_2) | instid1(VALU_DEP_2)
	v_cmp_lt_u32_e32 vcc_lo, 0xffffff, v10
	v_sub_nc_u32_e32 v9, v133, v145
	v_cndmask_b32_e64 v133, 0, 1, vcc_lo
	v_add_co_ci_u32_e32 v9, vcc_lo, 0, v9, vcc_lo
	s_delay_alu instid0(VALU_DEP_2)
	v_lshrrev_b32_e32 v10, v133, v10
; %bb.5168:                             ;   in Loop: Header=BB2_4995 Depth=3
	s_and_not1_saveexec_b32 s14, s14
; %bb.5169:                             ;   in Loop: Header=BB2_4995 Depth=3
	s_delay_alu instid0(VALU_DEP_1)
	v_bfe_u32 v9, v10, 23, 1
; %bb.5170:                             ;   in Loop: Header=BB2_4995 Depth=3
	s_or_b32 exec_lo, exec_lo, s14
	v_lshrrev_b32_e32 v10, 21, v10
	s_delay_alu instid0(VALU_DEP_2) | instskip(SKIP_2) | instid1(VALU_DEP_2)
	v_cmp_gt_i32_e32 vcc_lo, 32, v9
	v_min_i32_e32 v133, 31, v9
	v_lshrrev_b32_e32 v8, 24, v8
	v_dual_cndmask_b32 v10, 3, v10 :: v_dual_lshlrev_b32 v133, 2, v133
	s_delay_alu instid0(VALU_DEP_2) | instskip(NEXT) | instid1(VALU_DEP_2)
	v_and_b32_e32 v8, 0x80, v8
	v_or_b32_e32 v9, v9, v10
	s_delay_alu instid0(VALU_DEP_3) | instskip(NEXT) | instid1(VALU_DEP_2)
	v_and_b32_e32 v133, 0xfc, v133
	v_cmp_ne_u32_e32 vcc_lo, 0, v9
	v_and_b32_e32 v145, 3, v10
	s_delay_alu instid0(VALU_DEP_1) | instskip(NEXT) | instid1(VALU_DEP_1)
	v_or3_b32 v8, v8, v133, v145
	v_lshlrev_b32_e32 v8, 8, v8
	s_delay_alu instid0(VALU_DEP_1)
	v_cndmask_b32_e32 v148, 0, v8, vcc_lo
.LBB2_5171:                             ;   in Loop: Header=BB2_4995 Depth=3
	s_or_b32 exec_lo, exec_lo, s34
.LBB2_5172:                             ;   in Loop: Header=BB2_4995 Depth=3
	s_delay_alu instid0(SALU_CYCLE_1) | instskip(SKIP_3) | instid1(VALU_DEP_1)
	s_or_b32 exec_lo, exec_lo, s31
	v_lshrrev_b32_e32 v8, 16, v11
	s_mov_b32 s14, 0
	s_mov_b32 s34, exec_lo
                                        ; implicit-def: $sgpr31
	v_and_b32_e32 v10, 0xff, v8
	s_delay_alu instid0(VALU_DEP_1)
	v_cmpx_lt_i16_e32 0x7f, v10
	s_xor_b32 s34, exec_lo, s34
	s_cbranch_execnz .LBB2_5506
; %bb.5173:                             ;   in Loop: Header=BB2_4995 Depth=3
	s_or_saveexec_b32 s34, s34
	v_mov_b32_e32 v9, s31
	s_xor_b32 exec_lo, exec_lo, s34
	s_cbranch_execnz .LBB2_5509
.LBB2_5174:                             ;   in Loop: Header=BB2_4995 Depth=3
	s_or_b32 exec_lo, exec_lo, s34
	s_and_saveexec_b32 s31, s14
	s_cbranch_execz .LBB2_5176
.LBB2_5175:                             ;   in Loop: Header=BB2_4995 Depth=3
	v_bfe_u32 v9, v11, 16, 2
	s_delay_alu instid0(VALU_DEP_1) | instskip(NEXT) | instid1(VALU_DEP_1)
	v_clz_i32_u32_e32 v10, v9
	v_min_u32_e32 v10, 32, v10
	s_delay_alu instid0(VALU_DEP_1) | instskip(SKIP_1) | instid1(VALU_DEP_2)
	v_subrev_nc_u32_e32 v133, 29, v10
	v_sub_nc_u32_e32 v10, 30, v10
	v_lshlrev_b32_e32 v8, v133, v8
	v_bfe_u32 v133, v11, 18, 5
	s_delay_alu instid0(VALU_DEP_2) | instskip(NEXT) | instid1(VALU_DEP_2)
	v_and_b32_e32 v8, 3, v8
	v_cmp_eq_u32_e32 vcc_lo, 0, v133
	v_dual_cndmask_b32 v10, v133, v10 :: v_dual_lshlrev_b32 v145, 8, v11
	s_delay_alu instid0(VALU_DEP_1) | instskip(NEXT) | instid1(VALU_DEP_2)
	v_dual_cndmask_b32 v8, v9, v8 :: v_dual_and_b32 v9, 0x80000000, v145
	v_lshl_add_u32 v10, v10, 23, 0x37800000
	s_delay_alu instid0(VALU_DEP_2) | instskip(NEXT) | instid1(VALU_DEP_1)
	v_lshlrev_b32_e32 v8, 21, v8
	v_or3_b32 v9, v9, v10, v8
.LBB2_5176:                             ;   in Loop: Header=BB2_4995 Depth=3
	s_or_b32 exec_lo, exec_lo, s31
	s_delay_alu instid0(VALU_DEP_1) | instskip(SKIP_1) | instid1(VALU_DEP_1)
	v_dual_mul_f32 v8, s30, v9 :: v_dual_mov_b32 v133, 0x80
	s_mov_b32 s31, exec_lo
	v_and_b32_e32 v9, 0x7f800000, v8
	s_delay_alu instid0(VALU_DEP_1)
	v_cmpx_ne_u32_e32 0x7f800000, v9
	s_cbranch_execz .LBB2_5184
; %bb.5177:                             ;   in Loop: Header=BB2_4995 Depth=3
	v_mov_b32_e32 v133, 0
	s_mov_b32 s34, exec_lo
	v_cmpx_ne_u32_e32 0, v8
	s_cbranch_execz .LBB2_5183
; %bb.5178:                             ;   in Loop: Header=BB2_4995 Depth=3
	v_bfe_u32 v9, v8, 23, 8
	s_delay_alu instid0(VALU_DEP_1) | instskip(SKIP_1) | instid1(VALU_DEP_2)
	v_sub_nc_u32_e32 v133, 0x70, v9
	v_cmp_gt_u32_e32 vcc_lo, 0x71, v9
	v_dual_cndmask_b32 v133, 0, v133 :: v_dual_and_b32 v10, 0x7fffff, v8
	s_delay_alu instid0(VALU_DEP_1) | instskip(SKIP_2) | instid1(VALU_DEP_4)
	v_or_b32_e32 v145, 0x800000, v10
	v_cmp_eq_u32_e32 vcc_lo, 0, v9
	v_add_nc_u32_e32 v9, 0xffffff91, v9
	v_cndmask_b32_e64 v133, v133, 0x6f, vcc_lo
	s_delay_alu instid0(VALU_DEP_4) | instskip(NEXT) | instid1(VALU_DEP_3)
	v_cndmask_b32_e32 v10, v145, v10, vcc_lo
	v_cndmask_b32_e64 v9, v9, 0xffffff92, vcc_lo
	s_delay_alu instid0(VALU_DEP_3) | instskip(NEXT) | instid1(VALU_DEP_3)
	v_lshl_add_u32 v145, 0x200000, v133, -1
	v_lshrrev_b32_e32 v164, v133, v10
	v_lshlrev_b32_e64 v166, v133, 0x100000
	s_delay_alu instid0(VALU_DEP_4) | instskip(NEXT) | instid1(VALU_DEP_4)
	v_add_nc_u32_e32 v133, v133, v9
	v_and_b32_e32 v10, v145, v10
	s_delay_alu instid0(VALU_DEP_4) | instskip(NEXT) | instid1(VALU_DEP_2)
	v_bfe_u32 v165, v164, 21, 1
	v_cmp_eq_u32_e64 s14, v10, v166
	s_delay_alu instid0(VALU_DEP_2) | instskip(NEXT) | instid1(VALU_DEP_1)
	v_add_nc_u32_e32 v145, -1, v165
	v_cndmask_b32_e64 v10, 0, v145, s14
	v_lshrrev_b32_e32 v145, 23, v164
	s_mov_b32 s14, exec_lo
	s_delay_alu instid0(VALU_DEP_2) | instskip(NEXT) | instid1(VALU_DEP_2)
	v_add_nc_u32_e32 v10, v10, v164
	v_xor_b32_e32 v145, 1, v145
	s_delay_alu instid0(VALU_DEP_2) | instskip(NEXT) | instid1(VALU_DEP_1)
	v_and_b32_e32 v9, 0x1fffff, v10
	v_add_nc_u32_e32 v10, v9, v164
                                        ; implicit-def: $vgpr9
	s_delay_alu instid0(VALU_DEP_3)
	v_cmpx_ne_u32_e64 v133, v145
	s_xor_b32 s14, exec_lo, s14
; %bb.5179:                             ;   in Loop: Header=BB2_4995 Depth=3
	s_delay_alu instid0(VALU_DEP_2) | instskip(SKIP_2) | instid1(VALU_DEP_2)
	v_cmp_lt_u32_e32 vcc_lo, 0xffffff, v10
	v_sub_nc_u32_e32 v9, v133, v145
	v_cndmask_b32_e64 v133, 0, 1, vcc_lo
	v_add_co_ci_u32_e32 v9, vcc_lo, 0, v9, vcc_lo
	s_delay_alu instid0(VALU_DEP_2)
	v_lshrrev_b32_e32 v10, v133, v10
; %bb.5180:                             ;   in Loop: Header=BB2_4995 Depth=3
	s_and_not1_saveexec_b32 s14, s14
; %bb.5181:                             ;   in Loop: Header=BB2_4995 Depth=3
	s_delay_alu instid0(VALU_DEP_1)
	v_bfe_u32 v9, v10, 23, 1
; %bb.5182:                             ;   in Loop: Header=BB2_4995 Depth=3
	s_or_b32 exec_lo, exec_lo, s14
	v_lshrrev_b32_e32 v10, 21, v10
	s_delay_alu instid0(VALU_DEP_2) | instskip(SKIP_2) | instid1(VALU_DEP_3)
	v_min_i32_e32 v133, 31, v9
	v_cmp_gt_i32_e32 vcc_lo, 32, v9
	v_lshrrev_b32_e32 v8, 24, v8
	v_dual_cndmask_b32 v10, 3, v10 :: v_dual_lshlrev_b32 v133, 2, v133
	s_delay_alu instid0(VALU_DEP_2) | instskip(NEXT) | instid1(VALU_DEP_2)
	v_and_b32_e32 v8, 0x80, v8
	v_and_b32_e32 v133, 0xfc, v133
	s_delay_alu instid0(VALU_DEP_3) | instskip(SKIP_1) | instid1(VALU_DEP_2)
	v_and_b32_e32 v145, 3, v10
	v_or_b32_e32 v9, v9, v10
	v_or3_b32 v8, v133, v8, v145
	s_delay_alu instid0(VALU_DEP_2) | instskip(NEXT) | instid1(VALU_DEP_2)
	v_cmp_ne_u32_e32 vcc_lo, 0, v9
	v_cndmask_b32_e32 v133, 0, v8, vcc_lo
.LBB2_5183:                             ;   in Loop: Header=BB2_4995 Depth=3
	s_or_b32 exec_lo, exec_lo, s34
.LBB2_5184:                             ;   in Loop: Header=BB2_4995 Depth=3
	s_delay_alu instid0(SALU_CYCLE_1) | instskip(SKIP_3) | instid1(VALU_DEP_1)
	s_or_b32 exec_lo, exec_lo, s31
	v_lshrrev_b32_e32 v8, 24, v11
	s_mov_b32 s14, 0
	s_mov_b32 s34, exec_lo
                                        ; implicit-def: $sgpr31
	v_cmpx_lt_i16_e32 0x7f, v8
	s_xor_b32 s34, exec_lo, s34
	s_cbranch_execnz .LBB2_5510
; %bb.5185:                             ;   in Loop: Header=BB2_4995 Depth=3
	s_or_saveexec_b32 s34, s34
	v_mov_b32_e32 v9, s31
	s_xor_b32 exec_lo, exec_lo, s34
	s_cbranch_execnz .LBB2_5513
.LBB2_5186:                             ;   in Loop: Header=BB2_4995 Depth=3
	s_or_b32 exec_lo, exec_lo, s34
	s_and_saveexec_b32 s31, s14
	s_cbranch_execz .LBB2_5188
.LBB2_5187:                             ;   in Loop: Header=BB2_4995 Depth=3
	v_bfe_u32 v9, v11, 24, 2
	s_delay_alu instid0(VALU_DEP_1) | instskip(NEXT) | instid1(VALU_DEP_1)
	v_clz_i32_u32_e32 v10, v9
	v_min_u32_e32 v10, 32, v10
	s_delay_alu instid0(VALU_DEP_1) | instskip(SKIP_1) | instid1(VALU_DEP_2)
	v_subrev_nc_u32_e32 v145, 29, v10
	v_sub_nc_u32_e32 v10, 30, v10
	v_lshlrev_b32_e32 v8, v145, v8
	v_bfe_u32 v145, v11, 26, 5
	s_delay_alu instid0(VALU_DEP_2) | instskip(NEXT) | instid1(VALU_DEP_2)
	v_and_b32_e32 v8, 3, v8
	v_cmp_eq_u32_e32 vcc_lo, 0, v145
	v_cndmask_b32_e32 v10, v145, v10, vcc_lo
	s_delay_alu instid0(VALU_DEP_3) | instskip(NEXT) | instid1(VALU_DEP_2)
	v_dual_cndmask_b32 v8, v9, v8 :: v_dual_and_b32 v9, 0x80000000, v11
	v_lshl_add_u32 v10, v10, 23, 0x37800000
	s_delay_alu instid0(VALU_DEP_2) | instskip(NEXT) | instid1(VALU_DEP_1)
	v_lshlrev_b32_e32 v8, 21, v8
	v_or3_b32 v9, v9, v10, v8
.LBB2_5188:                             ;   in Loop: Header=BB2_4995 Depth=3
	s_or_b32 exec_lo, exec_lo, s31
	s_delay_alu instid0(VALU_DEP_1) | instskip(SKIP_1) | instid1(VALU_DEP_1)
	v_dual_mul_f32 v8, s30, v9 :: v_dual_mov_b32 v145, 0x8000
	s_mov_b32 s30, exec_lo
	v_and_b32_e32 v9, 0x7f800000, v8
	s_delay_alu instid0(VALU_DEP_1)
	v_cmpx_ne_u32_e32 0x7f800000, v9
	s_cbranch_execz .LBB2_5196
; %bb.5189:                             ;   in Loop: Header=BB2_4995 Depth=3
	v_mov_b32_e32 v145, 0
	s_mov_b32 s31, exec_lo
	v_cmpx_ne_u32_e32 0, v8
	s_cbranch_execz .LBB2_5195
; %bb.5190:                             ;   in Loop: Header=BB2_4995 Depth=3
	v_bfe_u32 v9, v8, 23, 8
	s_delay_alu instid0(VALU_DEP_1) | instskip(SKIP_1) | instid1(VALU_DEP_2)
	v_sub_nc_u32_e32 v11, 0x70, v9
	v_cmp_gt_u32_e32 vcc_lo, 0x71, v9
	v_dual_cndmask_b32 v11, 0, v11 :: v_dual_and_b32 v10, 0x7fffff, v8
	s_delay_alu instid0(VALU_DEP_1) | instskip(SKIP_2) | instid1(VALU_DEP_4)
	v_or_b32_e32 v145, 0x800000, v10
	v_cmp_eq_u32_e32 vcc_lo, 0, v9
	v_add_nc_u32_e32 v9, 0xffffff91, v9
	v_cndmask_b32_e64 v11, v11, 0x6f, vcc_lo
	s_delay_alu instid0(VALU_DEP_4) | instskip(NEXT) | instid1(VALU_DEP_3)
	v_cndmask_b32_e32 v10, v145, v10, vcc_lo
	v_cndmask_b32_e64 v9, v9, 0xffffff92, vcc_lo
	s_delay_alu instid0(VALU_DEP_3) | instskip(NEXT) | instid1(VALU_DEP_3)
	v_lshl_add_u32 v145, 0x200000, v11, -1
	v_lshrrev_b32_e32 v164, v11, v10
	v_lshlrev_b32_e64 v166, v11, 0x100000
	s_delay_alu instid0(VALU_DEP_4) | instskip(NEXT) | instid1(VALU_DEP_4)
	v_add_nc_u32_e32 v11, v11, v9
	v_and_b32_e32 v10, v145, v10
	s_delay_alu instid0(VALU_DEP_4) | instskip(NEXT) | instid1(VALU_DEP_2)
	v_bfe_u32 v165, v164, 21, 1
	v_cmp_eq_u32_e64 s14, v10, v166
	s_delay_alu instid0(VALU_DEP_2) | instskip(NEXT) | instid1(VALU_DEP_1)
	v_add_nc_u32_e32 v145, -1, v165
	v_cndmask_b32_e64 v10, 0, v145, s14
	v_lshrrev_b32_e32 v145, 23, v164
	s_mov_b32 s14, exec_lo
	s_delay_alu instid0(VALU_DEP_2) | instskip(NEXT) | instid1(VALU_DEP_2)
	v_add_nc_u32_e32 v10, v10, v164
	v_xor_b32_e32 v145, 1, v145
	s_delay_alu instid0(VALU_DEP_2) | instskip(NEXT) | instid1(VALU_DEP_1)
	v_and_b32_e32 v9, 0x1fffff, v10
	v_add_nc_u32_e32 v10, v9, v164
                                        ; implicit-def: $vgpr9
	s_delay_alu instid0(VALU_DEP_3)
	v_cmpx_ne_u32_e64 v11, v145
	s_xor_b32 s14, exec_lo, s14
; %bb.5191:                             ;   in Loop: Header=BB2_4995 Depth=3
	s_delay_alu instid0(VALU_DEP_2) | instskip(SKIP_2) | instid1(VALU_DEP_2)
	v_cmp_lt_u32_e32 vcc_lo, 0xffffff, v10
	v_sub_nc_u32_e32 v9, v11, v145
	v_cndmask_b32_e64 v11, 0, 1, vcc_lo
	v_add_co_ci_u32_e32 v9, vcc_lo, 0, v9, vcc_lo
	s_delay_alu instid0(VALU_DEP_2)
	v_lshrrev_b32_e32 v10, v11, v10
; %bb.5192:                             ;   in Loop: Header=BB2_4995 Depth=3
	s_and_not1_saveexec_b32 s14, s14
; %bb.5193:                             ;   in Loop: Header=BB2_4995 Depth=3
	s_delay_alu instid0(VALU_DEP_1)
	v_bfe_u32 v9, v10, 23, 1
; %bb.5194:                             ;   in Loop: Header=BB2_4995 Depth=3
	s_or_b32 exec_lo, exec_lo, s14
	v_lshrrev_b32_e32 v10, 21, v10
	s_delay_alu instid0(VALU_DEP_2) | instskip(SKIP_2) | instid1(VALU_DEP_3)
	v_min_i32_e32 v11, 31, v9
	v_cmp_gt_i32_e32 vcc_lo, 32, v9
	v_lshrrev_b32_e32 v8, 24, v8
	v_dual_cndmask_b32 v10, 3, v10 :: v_dual_lshlrev_b32 v11, 2, v11
	s_delay_alu instid0(VALU_DEP_2) | instskip(NEXT) | instid1(VALU_DEP_2)
	v_and_b32_e32 v8, 0x80, v8
	v_and_b32_e32 v11, 0xfc, v11
	s_delay_alu instid0(VALU_DEP_3) | instskip(SKIP_1) | instid1(VALU_DEP_2)
	v_and_b32_e32 v145, 3, v10
	v_or_b32_e32 v9, v9, v10
	v_or3_b32 v8, v8, v11, v145
	s_delay_alu instid0(VALU_DEP_2) | instskip(NEXT) | instid1(VALU_DEP_2)
	v_cmp_ne_u32_e32 vcc_lo, 0, v9
	v_lshlrev_b32_e32 v8, 8, v8
	s_delay_alu instid0(VALU_DEP_1)
	v_cndmask_b32_e32 v145, 0, v8, vcc_lo
.LBB2_5195:                             ;   in Loop: Header=BB2_4995 Depth=3
	s_or_b32 exec_lo, exec_lo, s31
.LBB2_5196:                             ;   in Loop: Header=BB2_4995 Depth=3
	s_delay_alu instid0(SALU_CYCLE_1) | instskip(SKIP_4) | instid1(VALU_DEP_1)
	s_or_b32 exec_lo, exec_lo, s30
	global_load_b128 v[8:11], v[53:54], off slc dlc
	v_and_b32_e32 v165, 0xff, v132
	s_mov_b32 s14, 0
	s_mov_b32 s31, exec_lo
                                        ; implicit-def: $sgpr30
	v_cmpx_lt_i16_e64 0x7f, v165
	s_xor_b32 s31, exec_lo, s31
	s_cbranch_execnz .LBB2_5514
; %bb.5197:                             ;   in Loop: Header=BB2_4995 Depth=3
	s_or_saveexec_b32 s31, s31
	v_mov_b32_e32 v164, s30
	s_xor_b32 exec_lo, exec_lo, s31
	s_cbranch_execnz .LBB2_5517
.LBB2_5198:                             ;   in Loop: Header=BB2_4995 Depth=3
	s_or_b32 exec_lo, exec_lo, s31
	s_and_saveexec_b32 s30, s14
	s_cbranch_execz .LBB2_5200
.LBB2_5199:                             ;   in Loop: Header=BB2_4995 Depth=3
	v_bfe_u32 v167, v132, 2, 5
	s_delay_alu instid0(VALU_DEP_1) | instskip(SKIP_1) | instid1(VALU_DEP_1)
	v_cmp_eq_u32_e32 vcc_lo, 0, v167
	v_and_b32_e32 v164, 3, v132
	v_clz_i32_u32_e32 v165, v164
	s_delay_alu instid0(VALU_DEP_1) | instskip(NEXT) | instid1(VALU_DEP_1)
	v_min_u32_e32 v165, 32, v165
	v_subrev_nc_u32_e32 v166, 29, v165
	v_sub_nc_u32_e32 v165, 30, v165
	s_delay_alu instid0(VALU_DEP_1) | instskip(SKIP_1) | instid1(VALU_DEP_2)
	v_dual_cndmask_b32 v165, v167, v165 :: v_dual_lshlrev_b32 v166, v166, v132
	v_lshlrev_b32_e32 v132, 24, v132
	v_and_b32_e32 v166, 3, v166
	s_delay_alu instid0(VALU_DEP_3) | instskip(NEXT) | instid1(VALU_DEP_3)
	v_lshl_add_u32 v165, v165, 23, 0x37800000
	v_and_b32_e32 v132, 0x80000000, v132
	s_delay_alu instid0(VALU_DEP_3) | instskip(NEXT) | instid1(VALU_DEP_1)
	v_cndmask_b32_e32 v164, v164, v166, vcc_lo
	v_lshlrev_b32_e32 v164, 21, v164
	s_delay_alu instid0(VALU_DEP_1)
	v_or3_b32 v164, v132, v165, v164
.LBB2_5200:                             ;   in Loop: Header=BB2_4995 Depth=3
	s_or_b32 exec_lo, exec_lo, s30
	s_waitcnt vmcnt(0)
	v_and_b32_e32 v165, 0xff, v8
	s_mov_b32 s14, 0
	s_mov_b32 s31, exec_lo
                                        ; implicit-def: $sgpr30
	s_delay_alu instid0(VALU_DEP_1)
	v_cmpx_lt_i16_e64 0x7f, v165
	s_xor_b32 s31, exec_lo, s31
	s_cbranch_execnz .LBB2_5518
; %bb.5201:                             ;   in Loop: Header=BB2_4995 Depth=3
	s_or_saveexec_b32 s31, s31
	v_mov_b32_e32 v132, s30
	s_xor_b32 exec_lo, exec_lo, s31
	s_cbranch_execnz .LBB2_5521
.LBB2_5202:                             ;   in Loop: Header=BB2_4995 Depth=3
	s_or_b32 exec_lo, exec_lo, s31
	s_and_saveexec_b32 s30, s14
	s_cbranch_execz .LBB2_5204
.LBB2_5203:                             ;   in Loop: Header=BB2_4995 Depth=3
	v_bfe_u32 v167, v8, 2, 5
	v_lshlrev_b32_e32 v176, 24, v8
	s_delay_alu instid0(VALU_DEP_2) | instskip(SKIP_1) | instid1(VALU_DEP_1)
	v_cmp_eq_u32_e32 vcc_lo, 0, v167
	v_and_b32_e32 v132, 3, v8
	v_clz_i32_u32_e32 v165, v132
	s_delay_alu instid0(VALU_DEP_1) | instskip(NEXT) | instid1(VALU_DEP_1)
	v_min_u32_e32 v165, 32, v165
	v_subrev_nc_u32_e32 v166, 29, v165
	v_sub_nc_u32_e32 v165, 30, v165
	s_delay_alu instid0(VALU_DEP_1) | instskip(NEXT) | instid1(VALU_DEP_1)
	v_dual_cndmask_b32 v165, v167, v165 :: v_dual_lshlrev_b32 v166, v166, v8
	v_and_b32_e32 v166, 3, v166
	s_delay_alu instid0(VALU_DEP_2) | instskip(NEXT) | instid1(VALU_DEP_2)
	v_lshl_add_u32 v165, v165, 23, 0x37800000
	v_cndmask_b32_e32 v132, v132, v166, vcc_lo
	v_and_b32_e32 v166, 0x80000000, v176
	s_delay_alu instid0(VALU_DEP_2) | instskip(NEXT) | instid1(VALU_DEP_1)
	v_lshlrev_b32_e32 v132, 21, v132
	v_or3_b32 v132, v166, v165, v132
.LBB2_5204:                             ;   in Loop: Header=BB2_4995 Depth=3
	s_or_b32 exec_lo, exec_lo, s30
	s_delay_alu instid0(VALU_DEP_1) | instskip(NEXT) | instid1(VALU_DEP_1)
	v_add_f32_e32 v164, v164, v132
	v_and_b32_e32 v132, 0x7f800000, v164
	s_delay_alu instid0(VALU_DEP_1)
	v_cmp_ne_u32_e32 vcc_lo, 0x7f800000, v132
	v_mov_b32_e32 v132, 0x80
	s_and_saveexec_b32 s30, vcc_lo
	s_cbranch_execz .LBB2_5212
; %bb.5205:                             ;   in Loop: Header=BB2_4995 Depth=3
	v_mov_b32_e32 v132, 0
	s_mov_b32 s31, exec_lo
	v_cmpx_ne_u32_e32 0, v164
	s_cbranch_execz .LBB2_5211
; %bb.5206:                             ;   in Loop: Header=BB2_4995 Depth=3
	v_bfe_u32 v132, v164, 23, 8
	s_delay_alu instid0(VALU_DEP_1) | instskip(SKIP_1) | instid1(VALU_DEP_2)
	v_sub_nc_u32_e32 v166, 0x70, v132
	v_cmp_gt_u32_e32 vcc_lo, 0x71, v132
	v_dual_cndmask_b32 v166, 0, v166 :: v_dual_and_b32 v165, 0x7fffff, v164
	s_delay_alu instid0(VALU_DEP_1) | instskip(SKIP_2) | instid1(VALU_DEP_4)
	v_or_b32_e32 v167, 0x800000, v165
	v_cmp_eq_u32_e32 vcc_lo, 0, v132
	v_add_nc_u32_e32 v132, 0xffffff91, v132
	v_cndmask_b32_e64 v166, v166, 0x6f, vcc_lo
	s_delay_alu instid0(VALU_DEP_4) | instskip(NEXT) | instid1(VALU_DEP_3)
	v_cndmask_b32_e32 v165, v167, v165, vcc_lo
	v_cndmask_b32_e64 v132, v132, 0xffffff92, vcc_lo
	s_delay_alu instid0(VALU_DEP_3) | instskip(NEXT) | instid1(VALU_DEP_3)
	v_lshl_add_u32 v167, 0x200000, v166, -1
	v_lshrrev_b32_e32 v176, v166, v165
	v_lshlrev_b32_e64 v178, v166, 0x100000
	s_delay_alu instid0(VALU_DEP_4) | instskip(NEXT) | instid1(VALU_DEP_4)
	v_add_nc_u32_e32 v166, v166, v132
	v_and_b32_e32 v165, v167, v165
	s_delay_alu instid0(VALU_DEP_4) | instskip(NEXT) | instid1(VALU_DEP_2)
	v_bfe_u32 v177, v176, 21, 1
	v_cmp_eq_u32_e64 s14, v165, v178
	s_delay_alu instid0(VALU_DEP_2) | instskip(NEXT) | instid1(VALU_DEP_1)
	v_add_nc_u32_e32 v167, -1, v177
	v_cndmask_b32_e64 v165, 0, v167, s14
	v_lshrrev_b32_e32 v167, 23, v176
	s_mov_b32 s14, exec_lo
	s_delay_alu instid0(VALU_DEP_2) | instskip(NEXT) | instid1(VALU_DEP_2)
	v_add_nc_u32_e32 v165, v165, v176
	v_xor_b32_e32 v167, 1, v167
	s_delay_alu instid0(VALU_DEP_2) | instskip(NEXT) | instid1(VALU_DEP_1)
	v_and_b32_e32 v132, 0x1fffff, v165
	v_add_nc_u32_e32 v165, v132, v176
                                        ; implicit-def: $vgpr132
	s_delay_alu instid0(VALU_DEP_3)
	v_cmpx_ne_u32_e64 v166, v167
	s_xor_b32 s14, exec_lo, s14
; %bb.5207:                             ;   in Loop: Header=BB2_4995 Depth=3
	s_delay_alu instid0(VALU_DEP_2) | instskip(SKIP_2) | instid1(VALU_DEP_2)
	v_cmp_lt_u32_e32 vcc_lo, 0xffffff, v165
	v_sub_nc_u32_e32 v132, v166, v167
	v_cndmask_b32_e64 v166, 0, 1, vcc_lo
	v_add_co_ci_u32_e32 v132, vcc_lo, 0, v132, vcc_lo
	s_delay_alu instid0(VALU_DEP_2)
	v_lshrrev_b32_e32 v165, v166, v165
; %bb.5208:                             ;   in Loop: Header=BB2_4995 Depth=3
	s_and_not1_saveexec_b32 s14, s14
; %bb.5209:                             ;   in Loop: Header=BB2_4995 Depth=3
	s_delay_alu instid0(VALU_DEP_1)
	v_bfe_u32 v132, v165, 23, 1
; %bb.5210:                             ;   in Loop: Header=BB2_4995 Depth=3
	s_or_b32 exec_lo, exec_lo, s14
	v_lshrrev_b32_e32 v165, 21, v165
	s_delay_alu instid0(VALU_DEP_2) | instskip(SKIP_2) | instid1(VALU_DEP_2)
	v_cmp_gt_i32_e32 vcc_lo, 32, v132
	v_lshrrev_b32_e32 v164, 24, v164
	v_min_i32_e32 v166, 31, v132
	v_dual_cndmask_b32 v165, 3, v165 :: v_dual_and_b32 v164, 0x80, v164
	s_delay_alu instid0(VALU_DEP_2) | instskip(NEXT) | instid1(VALU_DEP_2)
	v_lshlrev_b32_e32 v166, 2, v166
	v_or_b32_e32 v132, v132, v165
	s_delay_alu instid0(VALU_DEP_1) | instskip(SKIP_1) | instid1(VALU_DEP_1)
	v_cmp_ne_u32_e32 vcc_lo, 0, v132
	v_and_b32_e32 v167, 3, v165
	v_or3_b32 v164, v166, v164, v167
	s_delay_alu instid0(VALU_DEP_1)
	v_cndmask_b32_e32 v132, 0, v164, vcc_lo
.LBB2_5211:                             ;   in Loop: Header=BB2_4995 Depth=3
	s_or_b32 exec_lo, exec_lo, s31
.LBB2_5212:                             ;   in Loop: Header=BB2_4995 Depth=3
	s_delay_alu instid0(SALU_CYCLE_1) | instskip(SKIP_3) | instid1(VALU_DEP_1)
	s_or_b32 exec_lo, exec_lo, s30
	v_and_b32_e32 v165, 0xff, v144
	s_mov_b32 s14, 0
	s_mov_b32 s31, exec_lo
                                        ; implicit-def: $sgpr30
	v_cmpx_lt_i16_e64 0x7f, v165
	s_xor_b32 s31, exec_lo, s31
	s_cbranch_execnz .LBB2_5522
; %bb.5213:                             ;   in Loop: Header=BB2_4995 Depth=3
	s_or_saveexec_b32 s31, s31
	v_mov_b32_e32 v164, s30
	s_xor_b32 exec_lo, exec_lo, s31
	s_cbranch_execnz .LBB2_5525
.LBB2_5214:                             ;   in Loop: Header=BB2_4995 Depth=3
	s_or_b32 exec_lo, exec_lo, s31
	s_and_saveexec_b32 s30, s14
	s_cbranch_execz .LBB2_5216
.LBB2_5215:                             ;   in Loop: Header=BB2_4995 Depth=3
	v_bfe_u32 v167, v144, 2, 5
	s_delay_alu instid0(VALU_DEP_1) | instskip(SKIP_1) | instid1(VALU_DEP_1)
	v_cmp_eq_u32_e32 vcc_lo, 0, v167
	v_and_b32_e32 v164, 3, v144
	v_clz_i32_u32_e32 v165, v164
	s_delay_alu instid0(VALU_DEP_1) | instskip(NEXT) | instid1(VALU_DEP_1)
	v_min_u32_e32 v165, 32, v165
	v_subrev_nc_u32_e32 v166, 29, v165
	v_sub_nc_u32_e32 v165, 30, v165
	s_delay_alu instid0(VALU_DEP_1) | instskip(SKIP_1) | instid1(VALU_DEP_2)
	v_dual_cndmask_b32 v165, v167, v165 :: v_dual_lshlrev_b32 v166, v166, v144
	v_lshlrev_b32_e32 v144, 24, v144
	v_and_b32_e32 v166, 3, v166
	s_delay_alu instid0(VALU_DEP_3) | instskip(NEXT) | instid1(VALU_DEP_3)
	v_lshl_add_u32 v165, v165, 23, 0x37800000
	v_and_b32_e32 v144, 0x80000000, v144
	s_delay_alu instid0(VALU_DEP_3) | instskip(NEXT) | instid1(VALU_DEP_1)
	v_cndmask_b32_e32 v164, v164, v166, vcc_lo
	v_lshlrev_b32_e32 v164, 21, v164
	s_delay_alu instid0(VALU_DEP_1)
	v_or3_b32 v164, v144, v165, v164
.LBB2_5216:                             ;   in Loop: Header=BB2_4995 Depth=3
	s_or_b32 exec_lo, exec_lo, s30
	v_lshrrev_b16 v144, 8, v8
	s_mov_b32 s14, 0
	s_mov_b32 s31, exec_lo
                                        ; implicit-def: $sgpr30
	s_delay_alu instid0(VALU_DEP_1)
	v_cmpx_lt_i16_e64 0x7f, v144
	s_xor_b32 s31, exec_lo, s31
	s_cbranch_execnz .LBB2_5526
; %bb.5217:                             ;   in Loop: Header=BB2_4995 Depth=3
	s_or_saveexec_b32 s31, s31
	v_mov_b32_e32 v165, s30
	s_xor_b32 exec_lo, exec_lo, s31
	s_cbranch_execnz .LBB2_5529
.LBB2_5218:                             ;   in Loop: Header=BB2_4995 Depth=3
	s_or_b32 exec_lo, exec_lo, s31
	s_and_saveexec_b32 s30, s14
	s_cbranch_execz .LBB2_5220
.LBB2_5219:                             ;   in Loop: Header=BB2_4995 Depth=3
	v_and_b32_e32 v165, 0xffff, v144
	v_lshlrev_b32_e32 v144, 24, v144
	s_delay_alu instid0(VALU_DEP_2) | instskip(NEXT) | instid1(VALU_DEP_2)
	v_and_b32_e32 v166, 3, v165
	v_and_b32_e32 v144, 0x80000000, v144
	s_delay_alu instid0(VALU_DEP_2) | instskip(NEXT) | instid1(VALU_DEP_1)
	v_clz_i32_u32_e32 v167, v166
	v_min_u32_e32 v167, 32, v167
	s_delay_alu instid0(VALU_DEP_1) | instskip(SKIP_1) | instid1(VALU_DEP_2)
	v_subrev_nc_u32_e32 v176, 29, v167
	v_sub_nc_u32_e32 v167, 30, v167
	v_lshlrev_b32_e32 v176, v176, v165
	v_bfe_u32 v165, v165, 2, 5
	s_delay_alu instid0(VALU_DEP_2) | instskip(NEXT) | instid1(VALU_DEP_2)
	v_and_b32_e32 v176, 3, v176
	v_cmp_eq_u32_e32 vcc_lo, 0, v165
	s_delay_alu instid0(VALU_DEP_2) | instskip(NEXT) | instid1(VALU_DEP_1)
	v_dual_cndmask_b32 v165, v165, v167 :: v_dual_cndmask_b32 v166, v166, v176
	v_lshl_add_u32 v165, v165, 23, 0x37800000
	s_delay_alu instid0(VALU_DEP_2) | instskip(NEXT) | instid1(VALU_DEP_1)
	v_lshlrev_b32_e32 v166, 21, v166
	v_or3_b32 v165, v144, v165, v166
.LBB2_5220:                             ;   in Loop: Header=BB2_4995 Depth=3
	s_or_b32 exec_lo, exec_lo, s30
	s_delay_alu instid0(VALU_DEP_1) | instskip(NEXT) | instid1(VALU_DEP_1)
	v_add_f32_e32 v164, v164, v165
	v_and_b32_e32 v144, 0x7f800000, v164
	s_delay_alu instid0(VALU_DEP_1)
	v_cmp_ne_u32_e32 vcc_lo, 0x7f800000, v144
	v_mov_b32_e32 v144, 0x80
	s_and_saveexec_b32 s30, vcc_lo
	s_cbranch_execz .LBB2_5228
; %bb.5221:                             ;   in Loop: Header=BB2_4995 Depth=3
	v_mov_b32_e32 v144, 0
	s_mov_b32 s31, exec_lo
	v_cmpx_ne_u32_e32 0, v164
	s_cbranch_execz .LBB2_5227
; %bb.5222:                             ;   in Loop: Header=BB2_4995 Depth=3
	v_bfe_u32 v144, v164, 23, 8
	s_delay_alu instid0(VALU_DEP_1) | instskip(SKIP_1) | instid1(VALU_DEP_2)
	v_sub_nc_u32_e32 v166, 0x70, v144
	v_cmp_gt_u32_e32 vcc_lo, 0x71, v144
	v_dual_cndmask_b32 v166, 0, v166 :: v_dual_and_b32 v165, 0x7fffff, v164
	s_delay_alu instid0(VALU_DEP_1) | instskip(SKIP_2) | instid1(VALU_DEP_4)
	v_or_b32_e32 v167, 0x800000, v165
	v_cmp_eq_u32_e32 vcc_lo, 0, v144
	v_add_nc_u32_e32 v144, 0xffffff91, v144
	v_cndmask_b32_e64 v166, v166, 0x6f, vcc_lo
	s_delay_alu instid0(VALU_DEP_4) | instskip(NEXT) | instid1(VALU_DEP_3)
	v_cndmask_b32_e32 v165, v167, v165, vcc_lo
	v_cndmask_b32_e64 v144, v144, 0xffffff92, vcc_lo
	s_delay_alu instid0(VALU_DEP_3) | instskip(NEXT) | instid1(VALU_DEP_3)
	v_lshl_add_u32 v167, 0x200000, v166, -1
	v_lshrrev_b32_e32 v176, v166, v165
	v_lshlrev_b32_e64 v178, v166, 0x100000
	s_delay_alu instid0(VALU_DEP_4) | instskip(NEXT) | instid1(VALU_DEP_4)
	v_add_nc_u32_e32 v166, v166, v144
	v_and_b32_e32 v165, v167, v165
	s_delay_alu instid0(VALU_DEP_4) | instskip(NEXT) | instid1(VALU_DEP_2)
	v_bfe_u32 v177, v176, 21, 1
	v_cmp_eq_u32_e64 s14, v165, v178
	s_delay_alu instid0(VALU_DEP_2) | instskip(NEXT) | instid1(VALU_DEP_1)
	v_add_nc_u32_e32 v167, -1, v177
	v_cndmask_b32_e64 v165, 0, v167, s14
	v_lshrrev_b32_e32 v167, 23, v176
	s_mov_b32 s14, exec_lo
	s_delay_alu instid0(VALU_DEP_2) | instskip(NEXT) | instid1(VALU_DEP_2)
	v_add_nc_u32_e32 v165, v165, v176
	v_xor_b32_e32 v167, 1, v167
	s_delay_alu instid0(VALU_DEP_2) | instskip(NEXT) | instid1(VALU_DEP_1)
	v_and_b32_e32 v144, 0x1fffff, v165
	v_add_nc_u32_e32 v165, v144, v176
                                        ; implicit-def: $vgpr144
	s_delay_alu instid0(VALU_DEP_3)
	v_cmpx_ne_u32_e64 v166, v167
	s_xor_b32 s14, exec_lo, s14
; %bb.5223:                             ;   in Loop: Header=BB2_4995 Depth=3
	s_delay_alu instid0(VALU_DEP_2) | instskip(SKIP_2) | instid1(VALU_DEP_2)
	v_cmp_lt_u32_e32 vcc_lo, 0xffffff, v165
	v_sub_nc_u32_e32 v144, v166, v167
	v_cndmask_b32_e64 v166, 0, 1, vcc_lo
	v_add_co_ci_u32_e32 v144, vcc_lo, 0, v144, vcc_lo
	s_delay_alu instid0(VALU_DEP_2)
	v_lshrrev_b32_e32 v165, v166, v165
; %bb.5224:                             ;   in Loop: Header=BB2_4995 Depth=3
	s_and_not1_saveexec_b32 s14, s14
; %bb.5225:                             ;   in Loop: Header=BB2_4995 Depth=3
	s_delay_alu instid0(VALU_DEP_1)
	v_bfe_u32 v144, v165, 23, 1
; %bb.5226:                             ;   in Loop: Header=BB2_4995 Depth=3
	s_or_b32 exec_lo, exec_lo, s14
	v_lshrrev_b32_e32 v165, 21, v165
	s_delay_alu instid0(VALU_DEP_2) | instskip(SKIP_2) | instid1(VALU_DEP_2)
	v_cmp_gt_i32_e32 vcc_lo, 32, v144
	v_lshrrev_b32_e32 v164, 24, v164
	v_min_i32_e32 v166, 31, v144
	v_dual_cndmask_b32 v165, 3, v165 :: v_dual_and_b32 v164, 0x80, v164
	s_delay_alu instid0(VALU_DEP_2) | instskip(NEXT) | instid1(VALU_DEP_2)
	v_lshlrev_b32_e32 v166, 2, v166
	v_or_b32_e32 v144, v144, v165
	s_delay_alu instid0(VALU_DEP_1) | instskip(SKIP_1) | instid1(VALU_DEP_1)
	v_cmp_ne_u32_e32 vcc_lo, 0, v144
	v_and_b32_e32 v167, 3, v165
	v_or3_b32 v164, v166, v164, v167
	s_delay_alu instid0(VALU_DEP_1)
	v_cndmask_b32_e32 v144, 0, v164, vcc_lo
.LBB2_5227:                             ;   in Loop: Header=BB2_4995 Depth=3
	s_or_b32 exec_lo, exec_lo, s31
.LBB2_5228:                             ;   in Loop: Header=BB2_4995 Depth=3
	s_delay_alu instid0(SALU_CYCLE_1) | instskip(SKIP_3) | instid1(VALU_DEP_1)
	s_or_b32 exec_lo, exec_lo, s30
	v_and_b32_e32 v165, 0xff, v150
	s_mov_b32 s14, 0
	s_mov_b32 s31, exec_lo
                                        ; implicit-def: $sgpr30
	v_cmpx_lt_i16_e64 0x7f, v165
	s_xor_b32 s31, exec_lo, s31
	s_cbranch_execnz .LBB2_5530
; %bb.5229:                             ;   in Loop: Header=BB2_4995 Depth=3
	s_or_saveexec_b32 s31, s31
	v_mov_b32_e32 v164, s30
	s_xor_b32 exec_lo, exec_lo, s31
	s_cbranch_execnz .LBB2_5533
.LBB2_5230:                             ;   in Loop: Header=BB2_4995 Depth=3
	s_or_b32 exec_lo, exec_lo, s31
	s_and_saveexec_b32 s30, s14
	s_cbranch_execz .LBB2_5232
.LBB2_5231:                             ;   in Loop: Header=BB2_4995 Depth=3
	v_bfe_u32 v167, v150, 2, 5
	s_delay_alu instid0(VALU_DEP_1) | instskip(SKIP_1) | instid1(VALU_DEP_1)
	v_cmp_eq_u32_e32 vcc_lo, 0, v167
	v_and_b32_e32 v164, 3, v150
	v_clz_i32_u32_e32 v165, v164
	s_delay_alu instid0(VALU_DEP_1) | instskip(NEXT) | instid1(VALU_DEP_1)
	v_min_u32_e32 v165, 32, v165
	v_subrev_nc_u32_e32 v166, 29, v165
	v_sub_nc_u32_e32 v165, 30, v165
	s_delay_alu instid0(VALU_DEP_1) | instskip(SKIP_1) | instid1(VALU_DEP_2)
	v_dual_cndmask_b32 v165, v167, v165 :: v_dual_lshlrev_b32 v166, v166, v150
	v_lshlrev_b32_e32 v150, 24, v150
	v_and_b32_e32 v166, 3, v166
	s_delay_alu instid0(VALU_DEP_3) | instskip(NEXT) | instid1(VALU_DEP_3)
	v_lshl_add_u32 v165, v165, 23, 0x37800000
	v_and_b32_e32 v150, 0x80000000, v150
	s_delay_alu instid0(VALU_DEP_3) | instskip(NEXT) | instid1(VALU_DEP_1)
	v_cndmask_b32_e32 v164, v164, v166, vcc_lo
	v_lshlrev_b32_e32 v164, 21, v164
	s_delay_alu instid0(VALU_DEP_1)
	v_or3_b32 v164, v150, v165, v164
.LBB2_5232:                             ;   in Loop: Header=BB2_4995 Depth=3
	s_or_b32 exec_lo, exec_lo, s30
	v_lshrrev_b32_e32 v150, 16, v8
	s_mov_b32 s14, 0
	s_mov_b32 s31, exec_lo
                                        ; implicit-def: $sgpr30
	s_delay_alu instid0(VALU_DEP_1) | instskip(NEXT) | instid1(VALU_DEP_1)
	v_and_b32_e32 v166, 0xff, v150
	v_cmpx_lt_i16_e64 0x7f, v166
	s_xor_b32 s31, exec_lo, s31
	s_cbranch_execnz .LBB2_5534
; %bb.5233:                             ;   in Loop: Header=BB2_4995 Depth=3
	s_or_saveexec_b32 s31, s31
	v_mov_b32_e32 v165, s30
	s_xor_b32 exec_lo, exec_lo, s31
	s_cbranch_execnz .LBB2_5537
.LBB2_5234:                             ;   in Loop: Header=BB2_4995 Depth=3
	s_or_b32 exec_lo, exec_lo, s31
	s_and_saveexec_b32 s30, s14
	s_cbranch_execz .LBB2_5236
.LBB2_5235:                             ;   in Loop: Header=BB2_4995 Depth=3
	v_bfe_u32 v165, v8, 16, 2
	v_lshlrev_b32_e32 v176, 8, v8
	s_delay_alu instid0(VALU_DEP_2) | instskip(NEXT) | instid1(VALU_DEP_1)
	v_clz_i32_u32_e32 v166, v165
	v_min_u32_e32 v166, 32, v166
	s_delay_alu instid0(VALU_DEP_1) | instskip(SKIP_1) | instid1(VALU_DEP_2)
	v_subrev_nc_u32_e32 v167, 29, v166
	v_sub_nc_u32_e32 v166, 30, v166
	v_lshlrev_b32_e32 v150, v167, v150
	v_bfe_u32 v167, v8, 18, 5
	s_delay_alu instid0(VALU_DEP_2) | instskip(NEXT) | instid1(VALU_DEP_2)
	v_and_b32_e32 v150, 3, v150
	v_cmp_eq_u32_e32 vcc_lo, 0, v167
	v_cndmask_b32_e32 v166, v167, v166, vcc_lo
	s_delay_alu instid0(VALU_DEP_3) | instskip(NEXT) | instid1(VALU_DEP_2)
	v_dual_cndmask_b32 v150, v165, v150 :: v_dual_and_b32 v165, 0x80000000, v176
	v_lshl_add_u32 v166, v166, 23, 0x37800000
	s_delay_alu instid0(VALU_DEP_2) | instskip(NEXT) | instid1(VALU_DEP_1)
	v_lshlrev_b32_e32 v150, 21, v150
	v_or3_b32 v165, v165, v166, v150
.LBB2_5236:                             ;   in Loop: Header=BB2_4995 Depth=3
	s_or_b32 exec_lo, exec_lo, s30
	s_delay_alu instid0(VALU_DEP_1) | instskip(NEXT) | instid1(VALU_DEP_1)
	v_add_f32_e32 v164, v164, v165
	v_and_b32_e32 v150, 0x7f800000, v164
	s_delay_alu instid0(VALU_DEP_1)
	v_cmp_ne_u32_e32 vcc_lo, 0x7f800000, v150
	v_mov_b32_e32 v150, 0x80
	s_and_saveexec_b32 s30, vcc_lo
	s_cbranch_execz .LBB2_5244
; %bb.5237:                             ;   in Loop: Header=BB2_4995 Depth=3
	v_mov_b32_e32 v150, 0
	s_mov_b32 s31, exec_lo
	v_cmpx_ne_u32_e32 0, v164
	s_cbranch_execz .LBB2_5243
; %bb.5238:                             ;   in Loop: Header=BB2_4995 Depth=3
	v_bfe_u32 v150, v164, 23, 8
	s_delay_alu instid0(VALU_DEP_1) | instskip(SKIP_1) | instid1(VALU_DEP_2)
	v_sub_nc_u32_e32 v166, 0x70, v150
	v_cmp_gt_u32_e32 vcc_lo, 0x71, v150
	v_dual_cndmask_b32 v166, 0, v166 :: v_dual_and_b32 v165, 0x7fffff, v164
	s_delay_alu instid0(VALU_DEP_1) | instskip(SKIP_2) | instid1(VALU_DEP_4)
	v_or_b32_e32 v167, 0x800000, v165
	v_cmp_eq_u32_e32 vcc_lo, 0, v150
	v_add_nc_u32_e32 v150, 0xffffff91, v150
	v_cndmask_b32_e64 v166, v166, 0x6f, vcc_lo
	s_delay_alu instid0(VALU_DEP_4) | instskip(NEXT) | instid1(VALU_DEP_3)
	v_cndmask_b32_e32 v165, v167, v165, vcc_lo
	v_cndmask_b32_e64 v150, v150, 0xffffff92, vcc_lo
	s_delay_alu instid0(VALU_DEP_3) | instskip(NEXT) | instid1(VALU_DEP_3)
	v_lshl_add_u32 v167, 0x200000, v166, -1
	v_lshrrev_b32_e32 v176, v166, v165
	v_lshlrev_b32_e64 v178, v166, 0x100000
	s_delay_alu instid0(VALU_DEP_4) | instskip(NEXT) | instid1(VALU_DEP_4)
	v_add_nc_u32_e32 v166, v166, v150
	v_and_b32_e32 v165, v167, v165
	s_delay_alu instid0(VALU_DEP_4) | instskip(NEXT) | instid1(VALU_DEP_2)
	v_bfe_u32 v177, v176, 21, 1
	v_cmp_eq_u32_e64 s14, v165, v178
	s_delay_alu instid0(VALU_DEP_2) | instskip(NEXT) | instid1(VALU_DEP_1)
	v_add_nc_u32_e32 v167, -1, v177
	v_cndmask_b32_e64 v165, 0, v167, s14
	v_lshrrev_b32_e32 v167, 23, v176
	s_mov_b32 s14, exec_lo
	s_delay_alu instid0(VALU_DEP_2) | instskip(NEXT) | instid1(VALU_DEP_2)
	v_add_nc_u32_e32 v165, v165, v176
	v_xor_b32_e32 v167, 1, v167
	s_delay_alu instid0(VALU_DEP_2) | instskip(NEXT) | instid1(VALU_DEP_1)
	v_and_b32_e32 v150, 0x1fffff, v165
	v_add_nc_u32_e32 v165, v150, v176
                                        ; implicit-def: $vgpr150
	s_delay_alu instid0(VALU_DEP_3)
	v_cmpx_ne_u32_e64 v166, v167
	s_xor_b32 s14, exec_lo, s14
; %bb.5239:                             ;   in Loop: Header=BB2_4995 Depth=3
	s_delay_alu instid0(VALU_DEP_2) | instskip(SKIP_2) | instid1(VALU_DEP_2)
	v_cmp_lt_u32_e32 vcc_lo, 0xffffff, v165
	v_sub_nc_u32_e32 v150, v166, v167
	v_cndmask_b32_e64 v166, 0, 1, vcc_lo
	v_add_co_ci_u32_e32 v150, vcc_lo, 0, v150, vcc_lo
	s_delay_alu instid0(VALU_DEP_2)
	v_lshrrev_b32_e32 v165, v166, v165
; %bb.5240:                             ;   in Loop: Header=BB2_4995 Depth=3
	s_and_not1_saveexec_b32 s14, s14
; %bb.5241:                             ;   in Loop: Header=BB2_4995 Depth=3
	s_delay_alu instid0(VALU_DEP_1)
	v_bfe_u32 v150, v165, 23, 1
; %bb.5242:                             ;   in Loop: Header=BB2_4995 Depth=3
	s_or_b32 exec_lo, exec_lo, s14
	v_lshrrev_b32_e32 v165, 21, v165
	s_delay_alu instid0(VALU_DEP_2) | instskip(SKIP_2) | instid1(VALU_DEP_2)
	v_cmp_gt_i32_e32 vcc_lo, 32, v150
	v_lshrrev_b32_e32 v164, 24, v164
	v_min_i32_e32 v166, 31, v150
	v_dual_cndmask_b32 v165, 3, v165 :: v_dual_and_b32 v164, 0x80, v164
	s_delay_alu instid0(VALU_DEP_2) | instskip(NEXT) | instid1(VALU_DEP_2)
	v_lshlrev_b32_e32 v166, 2, v166
	v_or_b32_e32 v150, v150, v165
	s_delay_alu instid0(VALU_DEP_1) | instskip(SKIP_1) | instid1(VALU_DEP_1)
	v_cmp_ne_u32_e32 vcc_lo, 0, v150
	v_and_b32_e32 v167, 3, v165
	v_or3_b32 v164, v166, v164, v167
	s_delay_alu instid0(VALU_DEP_1)
	v_cndmask_b32_e32 v150, 0, v164, vcc_lo
.LBB2_5243:                             ;   in Loop: Header=BB2_4995 Depth=3
	s_or_b32 exec_lo, exec_lo, s31
.LBB2_5244:                             ;   in Loop: Header=BB2_4995 Depth=3
	s_delay_alu instid0(SALU_CYCLE_1) | instskip(SKIP_3) | instid1(VALU_DEP_1)
	s_or_b32 exec_lo, exec_lo, s30
	v_and_b32_e32 v165, 0xff, v161
	s_mov_b32 s14, 0
	s_mov_b32 s31, exec_lo
                                        ; implicit-def: $sgpr30
	v_cmpx_lt_i16_e64 0x7f, v165
	s_xor_b32 s31, exec_lo, s31
	s_cbranch_execnz .LBB2_5538
; %bb.5245:                             ;   in Loop: Header=BB2_4995 Depth=3
	s_or_saveexec_b32 s31, s31
	v_mov_b32_e32 v164, s30
	s_xor_b32 exec_lo, exec_lo, s31
	s_cbranch_execnz .LBB2_5541
.LBB2_5246:                             ;   in Loop: Header=BB2_4995 Depth=3
	s_or_b32 exec_lo, exec_lo, s31
	s_and_saveexec_b32 s30, s14
	s_cbranch_execz .LBB2_5248
.LBB2_5247:                             ;   in Loop: Header=BB2_4995 Depth=3
	v_lshlrev_b32_e32 v161, 8, v161
	s_delay_alu instid0(VALU_DEP_1) | instskip(SKIP_1) | instid1(VALU_DEP_2)
	v_and_b32_e32 v164, 0xff00, v161
	v_bfe_u32 v161, v161, 10, 5
	v_bfe_u32 v166, v164, 8, 2
	s_delay_alu instid0(VALU_DEP_2) | instskip(NEXT) | instid1(VALU_DEP_2)
	v_cmp_eq_u32_e32 vcc_lo, 0, v161
	v_clz_i32_u32_e32 v167, v166
	s_delay_alu instid0(VALU_DEP_1) | instskip(NEXT) | instid1(VALU_DEP_1)
	v_min_u32_e32 v167, 32, v167
	v_subrev_nc_u32_e32 v176, 29, v167
	v_sub_nc_u32_e32 v167, 30, v167
	s_delay_alu instid0(VALU_DEP_2) | instskip(NEXT) | instid1(VALU_DEP_2)
	v_lshlrev_b32_e32 v165, v176, v165
	v_cndmask_b32_e32 v161, v161, v167, vcc_lo
	s_delay_alu instid0(VALU_DEP_2) | instskip(SKIP_1) | instid1(VALU_DEP_3)
	v_and_b32_e32 v165, 3, v165
	v_lshlrev_b32_e32 v164, 16, v164
	v_lshl_add_u32 v161, v161, 23, 0x37800000
	s_delay_alu instid0(VALU_DEP_2) | instskip(NEXT) | instid1(VALU_DEP_1)
	v_dual_cndmask_b32 v165, v166, v165 :: v_dual_and_b32 v164, 0x80000000, v164
	v_lshlrev_b32_e32 v165, 21, v165
	s_delay_alu instid0(VALU_DEP_1)
	v_or3_b32 v164, v164, v161, v165
.LBB2_5248:                             ;   in Loop: Header=BB2_4995 Depth=3
	s_or_b32 exec_lo, exec_lo, s30
	v_lshrrev_b32_e32 v161, 24, v8
	s_mov_b32 s14, 0
	s_mov_b32 s31, exec_lo
                                        ; implicit-def: $sgpr30
	s_delay_alu instid0(VALU_DEP_1)
	v_cmpx_lt_i16_e64 0x7f, v161
	s_xor_b32 s31, exec_lo, s31
	s_cbranch_execnz .LBB2_5542
; %bb.5249:                             ;   in Loop: Header=BB2_4995 Depth=3
	s_or_saveexec_b32 s31, s31
	v_mov_b32_e32 v165, s30
	s_xor_b32 exec_lo, exec_lo, s31
	s_cbranch_execnz .LBB2_5545
.LBB2_5250:                             ;   in Loop: Header=BB2_4995 Depth=3
	s_or_b32 exec_lo, exec_lo, s31
	s_and_saveexec_b32 s30, s14
	s_cbranch_execz .LBB2_5252
.LBB2_5251:                             ;   in Loop: Header=BB2_4995 Depth=3
	v_bfe_u32 v165, v8, 24, 2
	s_delay_alu instid0(VALU_DEP_1) | instskip(NEXT) | instid1(VALU_DEP_1)
	v_clz_i32_u32_e32 v166, v165
	v_min_u32_e32 v166, 32, v166
	s_delay_alu instid0(VALU_DEP_1) | instskip(SKIP_1) | instid1(VALU_DEP_2)
	v_subrev_nc_u32_e32 v167, 29, v166
	v_sub_nc_u32_e32 v166, 30, v166
	v_lshlrev_b32_e32 v161, v167, v161
	v_bfe_u32 v167, v8, 26, 5
	v_and_b32_e32 v8, 0x80000000, v8
	s_delay_alu instid0(VALU_DEP_2) | instskip(NEXT) | instid1(VALU_DEP_4)
	v_cmp_eq_u32_e32 vcc_lo, 0, v167
	v_dual_cndmask_b32 v166, v167, v166 :: v_dual_and_b32 v161, 3, v161
	s_delay_alu instid0(VALU_DEP_1) | instskip(NEXT) | instid1(VALU_DEP_2)
	v_cndmask_b32_e32 v161, v165, v161, vcc_lo
	v_lshl_add_u32 v165, v166, 23, 0x37800000
	s_delay_alu instid0(VALU_DEP_2) | instskip(NEXT) | instid1(VALU_DEP_1)
	v_lshlrev_b32_e32 v161, 21, v161
	v_or3_b32 v165, v8, v165, v161
.LBB2_5252:                             ;   in Loop: Header=BB2_4995 Depth=3
	s_or_b32 exec_lo, exec_lo, s30
	s_delay_alu instid0(VALU_DEP_1) | instskip(NEXT) | instid1(VALU_DEP_1)
	v_add_f32_e32 v161, v164, v165
	v_and_b32_e32 v8, 0x7f800000, v161
	s_delay_alu instid0(VALU_DEP_1)
	v_cmp_ne_u32_e32 vcc_lo, 0x7f800000, v8
	v_mov_b32_e32 v8, 0x80
	s_and_saveexec_b32 s30, vcc_lo
	s_cbranch_execz .LBB2_5260
; %bb.5253:                             ;   in Loop: Header=BB2_4995 Depth=3
	v_mov_b32_e32 v8, 0
	s_mov_b32 s31, exec_lo
	v_cmpx_ne_u32_e32 0, v161
	s_cbranch_execz .LBB2_5259
; %bb.5254:                             ;   in Loop: Header=BB2_4995 Depth=3
	v_bfe_u32 v8, v161, 23, 8
	v_and_b32_e32 v164, 0x7fffff, v161
	s_delay_alu instid0(VALU_DEP_2) | instskip(SKIP_1) | instid1(VALU_DEP_3)
	v_sub_nc_u32_e32 v165, 0x70, v8
	v_cmp_gt_u32_e32 vcc_lo, 0x71, v8
	v_or_b32_e32 v166, 0x800000, v164
	s_delay_alu instid0(VALU_DEP_3) | instskip(SKIP_2) | instid1(VALU_DEP_4)
	v_cndmask_b32_e32 v165, 0, v165, vcc_lo
	v_cmp_eq_u32_e32 vcc_lo, 0, v8
	v_add_nc_u32_e32 v8, 0xffffff91, v8
	v_cndmask_b32_e32 v164, v166, v164, vcc_lo
	s_delay_alu instid0(VALU_DEP_4) | instskip(NEXT) | instid1(VALU_DEP_3)
	v_cndmask_b32_e64 v165, v165, 0x6f, vcc_lo
	v_cndmask_b32_e64 v8, v8, 0xffffff92, vcc_lo
	s_delay_alu instid0(VALU_DEP_2) | instskip(SKIP_2) | instid1(VALU_DEP_4)
	v_lshrrev_b32_e32 v167, v165, v164
	v_lshl_add_u32 v166, 0x200000, v165, -1
	v_lshlrev_b32_e64 v177, v165, 0x100000
	v_add_nc_u32_e32 v165, v165, v8
	s_delay_alu instid0(VALU_DEP_4) | instskip(NEXT) | instid1(VALU_DEP_4)
	v_bfe_u32 v176, v167, 21, 1
	v_and_b32_e32 v164, v166, v164
	s_delay_alu instid0(VALU_DEP_2) | instskip(NEXT) | instid1(VALU_DEP_2)
	v_add_nc_u32_e32 v166, -1, v176
	v_cmp_eq_u32_e64 s14, v164, v177
	s_delay_alu instid0(VALU_DEP_1) | instskip(SKIP_2) | instid1(VALU_DEP_2)
	v_cndmask_b32_e64 v164, 0, v166, s14
	v_lshrrev_b32_e32 v166, 23, v167
	s_mov_b32 s14, exec_lo
	v_add_nc_u32_e32 v164, v164, v167
	s_delay_alu instid0(VALU_DEP_2) | instskip(NEXT) | instid1(VALU_DEP_2)
	v_xor_b32_e32 v166, 1, v166
	v_and_b32_e32 v8, 0x1fffff, v164
	s_delay_alu instid0(VALU_DEP_1) | instskip(NEXT) | instid1(VALU_DEP_3)
	v_add_nc_u32_e32 v164, v8, v167
                                        ; implicit-def: $vgpr8
	v_cmpx_ne_u32_e64 v165, v166
	s_xor_b32 s14, exec_lo, s14
; %bb.5255:                             ;   in Loop: Header=BB2_4995 Depth=3
	s_delay_alu instid0(VALU_DEP_2) | instskip(SKIP_2) | instid1(VALU_DEP_2)
	v_cmp_lt_u32_e32 vcc_lo, 0xffffff, v164
	v_sub_nc_u32_e32 v8, v165, v166
	v_cndmask_b32_e64 v165, 0, 1, vcc_lo
	v_add_co_ci_u32_e32 v8, vcc_lo, 0, v8, vcc_lo
	s_delay_alu instid0(VALU_DEP_2)
	v_lshrrev_b32_e32 v164, v165, v164
; %bb.5256:                             ;   in Loop: Header=BB2_4995 Depth=3
	s_and_not1_saveexec_b32 s14, s14
; %bb.5257:                             ;   in Loop: Header=BB2_4995 Depth=3
	s_delay_alu instid0(VALU_DEP_1)
	v_bfe_u32 v8, v164, 23, 1
; %bb.5258:                             ;   in Loop: Header=BB2_4995 Depth=3
	s_or_b32 exec_lo, exec_lo, s14
	v_lshrrev_b32_e32 v164, 21, v164
	s_delay_alu instid0(VALU_DEP_2) | instskip(SKIP_2) | instid1(VALU_DEP_2)
	v_cmp_gt_i32_e32 vcc_lo, 32, v8
	v_lshrrev_b32_e32 v161, 24, v161
	v_min_i32_e32 v165, 31, v8
	v_dual_cndmask_b32 v164, 3, v164 :: v_dual_and_b32 v161, 0x80, v161
	s_delay_alu instid0(VALU_DEP_2) | instskip(NEXT) | instid1(VALU_DEP_2)
	v_lshlrev_b32_e32 v165, 2, v165
	v_and_b32_e32 v166, 3, v164
	v_or_b32_e32 v8, v8, v164
	s_delay_alu instid0(VALU_DEP_2) | instskip(NEXT) | instid1(VALU_DEP_2)
	v_or3_b32 v161, v165, v161, v166
	v_cmp_ne_u32_e32 vcc_lo, 0, v8
	s_delay_alu instid0(VALU_DEP_2)
	v_cndmask_b32_e32 v8, 0, v161, vcc_lo
.LBB2_5259:                             ;   in Loop: Header=BB2_4995 Depth=3
	s_or_b32 exec_lo, exec_lo, s31
.LBB2_5260:                             ;   in Loop: Header=BB2_4995 Depth=3
	s_delay_alu instid0(SALU_CYCLE_1) | instskip(SKIP_3) | instid1(VALU_DEP_1)
	s_or_b32 exec_lo, exec_lo, s30
	v_or_b32_e32 v163, v163, v160
	s_mov_b32 s14, 0
	s_mov_b32 s31, exec_lo
                                        ; implicit-def: $sgpr30
	v_and_b32_e32 v161, 0xff, v163
	s_delay_alu instid0(VALU_DEP_1)
	v_cmpx_lt_i16_e64 0x7f, v161
	s_xor_b32 s31, exec_lo, s31
	s_cbranch_execnz .LBB2_5546
; %bb.5261:                             ;   in Loop: Header=BB2_4995 Depth=3
	s_or_saveexec_b32 s31, s31
	v_mov_b32_e32 v160, s30
	s_xor_b32 exec_lo, exec_lo, s31
	s_cbranch_execnz .LBB2_5549
.LBB2_5262:                             ;   in Loop: Header=BB2_4995 Depth=3
	s_or_b32 exec_lo, exec_lo, s31
	s_and_saveexec_b32 s30, s14
	s_cbranch_execz .LBB2_5264
.LBB2_5263:                             ;   in Loop: Header=BB2_4995 Depth=3
	v_bfe_u32 v165, v163, 2, 5
	v_lshlrev_b32_e32 v166, 24, v163
	s_delay_alu instid0(VALU_DEP_2) | instskip(SKIP_1) | instid1(VALU_DEP_1)
	v_cmp_eq_u32_e32 vcc_lo, 0, v165
	v_and_b32_e32 v160, 3, v163
	v_clz_i32_u32_e32 v161, v160
	s_delay_alu instid0(VALU_DEP_1) | instskip(NEXT) | instid1(VALU_DEP_1)
	v_min_u32_e32 v161, 32, v161
	v_subrev_nc_u32_e32 v164, 29, v161
	v_sub_nc_u32_e32 v161, 30, v161
	s_delay_alu instid0(VALU_DEP_1) | instskip(NEXT) | instid1(VALU_DEP_1)
	v_dual_cndmask_b32 v161, v165, v161 :: v_dual_lshlrev_b32 v164, v164, v163
	v_and_b32_e32 v164, 3, v164
	s_delay_alu instid0(VALU_DEP_2) | instskip(NEXT) | instid1(VALU_DEP_2)
	v_lshl_add_u32 v161, v161, 23, 0x37800000
	v_cndmask_b32_e32 v160, v160, v164, vcc_lo
	v_and_b32_e32 v164, 0x80000000, v166
	s_delay_alu instid0(VALU_DEP_2) | instskip(NEXT) | instid1(VALU_DEP_1)
	v_lshlrev_b32_e32 v160, 21, v160
	v_or3_b32 v160, v164, v161, v160
.LBB2_5264:                             ;   in Loop: Header=BB2_4995 Depth=3
	s_or_b32 exec_lo, exec_lo, s30
	v_and_b32_e32 v164, 0xff, v9
	s_mov_b32 s14, 0
	s_mov_b32 s31, exec_lo
                                        ; implicit-def: $sgpr30
	s_delay_alu instid0(VALU_DEP_1)
	v_cmpx_lt_i16_e64 0x7f, v164
	s_xor_b32 s31, exec_lo, s31
	s_cbranch_execnz .LBB2_5550
; %bb.5265:                             ;   in Loop: Header=BB2_4995 Depth=3
	s_or_saveexec_b32 s31, s31
	v_mov_b32_e32 v161, s30
	s_xor_b32 exec_lo, exec_lo, s31
	s_cbranch_execnz .LBB2_5553
.LBB2_5266:                             ;   in Loop: Header=BB2_4995 Depth=3
	s_or_b32 exec_lo, exec_lo, s31
	s_and_saveexec_b32 s30, s14
	s_cbranch_execz .LBB2_5268
.LBB2_5267:                             ;   in Loop: Header=BB2_4995 Depth=3
	v_bfe_u32 v166, v9, 2, 5
	v_lshlrev_b32_e32 v167, 24, v9
	s_delay_alu instid0(VALU_DEP_2) | instskip(SKIP_1) | instid1(VALU_DEP_1)
	v_cmp_eq_u32_e32 vcc_lo, 0, v166
	v_and_b32_e32 v161, 3, v9
	v_clz_i32_u32_e32 v164, v161
	s_delay_alu instid0(VALU_DEP_1) | instskip(NEXT) | instid1(VALU_DEP_1)
	v_min_u32_e32 v164, 32, v164
	v_subrev_nc_u32_e32 v165, 29, v164
	v_sub_nc_u32_e32 v164, 30, v164
	s_delay_alu instid0(VALU_DEP_1) | instskip(NEXT) | instid1(VALU_DEP_1)
	v_dual_cndmask_b32 v164, v166, v164 :: v_dual_lshlrev_b32 v165, v165, v9
	v_and_b32_e32 v165, 3, v165
	s_delay_alu instid0(VALU_DEP_2) | instskip(NEXT) | instid1(VALU_DEP_2)
	v_lshl_add_u32 v164, v164, 23, 0x37800000
	v_cndmask_b32_e32 v161, v161, v165, vcc_lo
	v_and_b32_e32 v165, 0x80000000, v167
	s_delay_alu instid0(VALU_DEP_2) | instskip(NEXT) | instid1(VALU_DEP_1)
	v_lshlrev_b32_e32 v161, 21, v161
	v_or3_b32 v161, v165, v164, v161
.LBB2_5268:                             ;   in Loop: Header=BB2_4995 Depth=3
	s_or_b32 exec_lo, exec_lo, s30
	s_delay_alu instid0(VALU_DEP_1) | instskip(NEXT) | instid1(VALU_DEP_1)
	v_add_f32_e32 v161, v160, v161
	v_and_b32_e32 v160, 0x7f800000, v161
	s_delay_alu instid0(VALU_DEP_1)
	v_cmp_ne_u32_e32 vcc_lo, 0x7f800000, v160
	v_mov_b32_e32 v160, 0x80
	s_and_saveexec_b32 s30, vcc_lo
	s_cbranch_execz .LBB2_5276
; %bb.5269:                             ;   in Loop: Header=BB2_4995 Depth=3
	v_mov_b32_e32 v160, 0
	s_mov_b32 s31, exec_lo
	v_cmpx_ne_u32_e32 0, v161
	s_cbranch_execz .LBB2_5275
; %bb.5270:                             ;   in Loop: Header=BB2_4995 Depth=3
	v_bfe_u32 v160, v161, 23, 8
	v_and_b32_e32 v164, 0x7fffff, v161
	s_delay_alu instid0(VALU_DEP_2) | instskip(SKIP_1) | instid1(VALU_DEP_3)
	v_sub_nc_u32_e32 v165, 0x70, v160
	v_cmp_gt_u32_e32 vcc_lo, 0x71, v160
	v_or_b32_e32 v166, 0x800000, v164
	s_delay_alu instid0(VALU_DEP_3) | instskip(SKIP_2) | instid1(VALU_DEP_4)
	v_cndmask_b32_e32 v165, 0, v165, vcc_lo
	v_cmp_eq_u32_e32 vcc_lo, 0, v160
	v_add_nc_u32_e32 v160, 0xffffff91, v160
	v_cndmask_b32_e32 v164, v166, v164, vcc_lo
	s_delay_alu instid0(VALU_DEP_4) | instskip(NEXT) | instid1(VALU_DEP_3)
	v_cndmask_b32_e64 v165, v165, 0x6f, vcc_lo
	v_cndmask_b32_e64 v160, v160, 0xffffff92, vcc_lo
	s_delay_alu instid0(VALU_DEP_2) | instskip(SKIP_2) | instid1(VALU_DEP_4)
	v_lshrrev_b32_e32 v167, v165, v164
	v_lshl_add_u32 v166, 0x200000, v165, -1
	v_lshlrev_b32_e64 v177, v165, 0x100000
	v_add_nc_u32_e32 v165, v165, v160
	s_delay_alu instid0(VALU_DEP_4) | instskip(NEXT) | instid1(VALU_DEP_4)
	v_bfe_u32 v176, v167, 21, 1
	v_and_b32_e32 v164, v166, v164
	s_delay_alu instid0(VALU_DEP_2) | instskip(NEXT) | instid1(VALU_DEP_2)
	v_add_nc_u32_e32 v166, -1, v176
	v_cmp_eq_u32_e64 s14, v164, v177
	s_delay_alu instid0(VALU_DEP_1) | instskip(SKIP_2) | instid1(VALU_DEP_2)
	v_cndmask_b32_e64 v164, 0, v166, s14
	v_lshrrev_b32_e32 v166, 23, v167
	s_mov_b32 s14, exec_lo
	v_add_nc_u32_e32 v164, v164, v167
	s_delay_alu instid0(VALU_DEP_2) | instskip(NEXT) | instid1(VALU_DEP_2)
	v_xor_b32_e32 v166, 1, v166
	v_and_b32_e32 v160, 0x1fffff, v164
	s_delay_alu instid0(VALU_DEP_1) | instskip(NEXT) | instid1(VALU_DEP_3)
	v_add_nc_u32_e32 v164, v160, v167
                                        ; implicit-def: $vgpr160
	v_cmpx_ne_u32_e64 v165, v166
	s_xor_b32 s14, exec_lo, s14
; %bb.5271:                             ;   in Loop: Header=BB2_4995 Depth=3
	s_delay_alu instid0(VALU_DEP_2) | instskip(SKIP_2) | instid1(VALU_DEP_2)
	v_cmp_lt_u32_e32 vcc_lo, 0xffffff, v164
	v_sub_nc_u32_e32 v160, v165, v166
	v_cndmask_b32_e64 v165, 0, 1, vcc_lo
	v_add_co_ci_u32_e32 v160, vcc_lo, 0, v160, vcc_lo
	s_delay_alu instid0(VALU_DEP_2)
	v_lshrrev_b32_e32 v164, v165, v164
; %bb.5272:                             ;   in Loop: Header=BB2_4995 Depth=3
	s_and_not1_saveexec_b32 s14, s14
; %bb.5273:                             ;   in Loop: Header=BB2_4995 Depth=3
	s_delay_alu instid0(VALU_DEP_1)
	v_bfe_u32 v160, v164, 23, 1
; %bb.5274:                             ;   in Loop: Header=BB2_4995 Depth=3
	s_or_b32 exec_lo, exec_lo, s14
	v_lshrrev_b32_e32 v164, 21, v164
	s_delay_alu instid0(VALU_DEP_2) | instskip(SKIP_2) | instid1(VALU_DEP_2)
	v_cmp_gt_i32_e32 vcc_lo, 32, v160
	v_lshrrev_b32_e32 v161, 24, v161
	v_min_i32_e32 v165, 31, v160
	v_dual_cndmask_b32 v164, 3, v164 :: v_dual_and_b32 v161, 0x80, v161
	s_delay_alu instid0(VALU_DEP_2) | instskip(NEXT) | instid1(VALU_DEP_2)
	v_lshlrev_b32_e32 v165, 2, v165
	v_and_b32_e32 v166, 3, v164
	v_or_b32_e32 v160, v160, v164
	s_delay_alu instid0(VALU_DEP_2) | instskip(NEXT) | instid1(VALU_DEP_2)
	v_or3_b32 v161, v165, v161, v166
	v_cmp_ne_u32_e32 vcc_lo, 0, v160
	s_delay_alu instid0(VALU_DEP_2)
	v_cndmask_b32_e32 v160, 0, v161, vcc_lo
.LBB2_5275:                             ;   in Loop: Header=BB2_4995 Depth=3
	s_or_b32 exec_lo, exec_lo, s31
.LBB2_5276:                             ;   in Loop: Header=BB2_4995 Depth=3
	s_delay_alu instid0(SALU_CYCLE_1) | instskip(SKIP_3) | instid1(VALU_DEP_1)
	s_or_b32 exec_lo, exec_lo, s30
	v_lshrrev_b16 v164, 8, v163
	s_mov_b32 s14, 0
	s_mov_b32 s31, exec_lo
                                        ; implicit-def: $sgpr30
	v_cmpx_lt_i16_e64 0x7f, v164
	s_xor_b32 s31, exec_lo, s31
	s_cbranch_execnz .LBB2_5554
; %bb.5277:                             ;   in Loop: Header=BB2_4995 Depth=3
	s_or_saveexec_b32 s31, s31
	v_mov_b32_e32 v161, s30
	s_xor_b32 exec_lo, exec_lo, s31
	s_cbranch_execnz .LBB2_5557
.LBB2_5278:                             ;   in Loop: Header=BB2_4995 Depth=3
	s_or_b32 exec_lo, exec_lo, s31
	s_and_saveexec_b32 s30, s14
	s_cbranch_execz .LBB2_5280
.LBB2_5279:                             ;   in Loop: Header=BB2_4995 Depth=3
	v_and_b32_e32 v161, 0xffff, v164
	s_delay_alu instid0(VALU_DEP_1) | instskip(NEXT) | instid1(VALU_DEP_1)
	v_and_b32_e32 v165, 3, v161
	v_clz_i32_u32_e32 v166, v165
	s_delay_alu instid0(VALU_DEP_1) | instskip(NEXT) | instid1(VALU_DEP_1)
	v_min_u32_e32 v166, 32, v166
	v_subrev_nc_u32_e32 v167, 29, v166
	v_sub_nc_u32_e32 v166, 30, v166
	s_delay_alu instid0(VALU_DEP_2) | instskip(SKIP_1) | instid1(VALU_DEP_2)
	v_lshlrev_b32_e32 v167, v167, v161
	v_bfe_u32 v161, v161, 2, 5
	v_and_b32_e32 v167, 3, v167
	s_delay_alu instid0(VALU_DEP_2) | instskip(SKIP_1) | instid1(VALU_DEP_1)
	v_cmp_eq_u32_e32 vcc_lo, 0, v161
	v_dual_cndmask_b32 v161, v161, v166 :: v_dual_lshlrev_b32 v164, 24, v164
	v_dual_cndmask_b32 v165, v165, v167 :: v_dual_and_b32 v164, 0x80000000, v164
	s_delay_alu instid0(VALU_DEP_2) | instskip(NEXT) | instid1(VALU_DEP_2)
	v_lshl_add_u32 v161, v161, 23, 0x37800000
	v_lshlrev_b32_e32 v165, 21, v165
	s_delay_alu instid0(VALU_DEP_1)
	v_or3_b32 v161, v164, v161, v165
.LBB2_5280:                             ;   in Loop: Header=BB2_4995 Depth=3
	s_or_b32 exec_lo, exec_lo, s30
	v_lshrrev_b16 v164, 8, v9
	s_mov_b32 s14, 0
	s_mov_b32 s31, exec_lo
                                        ; implicit-def: $sgpr30
	s_delay_alu instid0(VALU_DEP_1)
	v_cmpx_lt_i16_e64 0x7f, v164
	s_xor_b32 s31, exec_lo, s31
	s_cbranch_execnz .LBB2_5558
; %bb.5281:                             ;   in Loop: Header=BB2_4995 Depth=3
	s_or_saveexec_b32 s31, s31
	v_mov_b32_e32 v165, s30
	s_xor_b32 exec_lo, exec_lo, s31
	s_cbranch_execnz .LBB2_5561
.LBB2_5282:                             ;   in Loop: Header=BB2_4995 Depth=3
	s_or_b32 exec_lo, exec_lo, s31
	s_and_saveexec_b32 s30, s14
	s_cbranch_execz .LBB2_5284
.LBB2_5283:                             ;   in Loop: Header=BB2_4995 Depth=3
	v_and_b32_e32 v165, 0xffff, v164
	v_lshlrev_b32_e32 v164, 24, v164
	s_delay_alu instid0(VALU_DEP_2) | instskip(NEXT) | instid1(VALU_DEP_2)
	v_and_b32_e32 v166, 3, v165
	v_and_b32_e32 v164, 0x80000000, v164
	s_delay_alu instid0(VALU_DEP_2) | instskip(NEXT) | instid1(VALU_DEP_1)
	v_clz_i32_u32_e32 v167, v166
	v_min_u32_e32 v167, 32, v167
	s_delay_alu instid0(VALU_DEP_1) | instskip(SKIP_1) | instid1(VALU_DEP_2)
	v_subrev_nc_u32_e32 v176, 29, v167
	v_sub_nc_u32_e32 v167, 30, v167
	v_lshlrev_b32_e32 v176, v176, v165
	v_bfe_u32 v165, v165, 2, 5
	s_delay_alu instid0(VALU_DEP_2) | instskip(NEXT) | instid1(VALU_DEP_2)
	v_and_b32_e32 v176, 3, v176
	v_cmp_eq_u32_e32 vcc_lo, 0, v165
	s_delay_alu instid0(VALU_DEP_2) | instskip(NEXT) | instid1(VALU_DEP_1)
	v_dual_cndmask_b32 v165, v165, v167 :: v_dual_cndmask_b32 v166, v166, v176
	v_lshl_add_u32 v165, v165, 23, 0x37800000
	s_delay_alu instid0(VALU_DEP_2) | instskip(NEXT) | instid1(VALU_DEP_1)
	v_lshlrev_b32_e32 v166, 21, v166
	v_or3_b32 v165, v164, v165, v166
.LBB2_5284:                             ;   in Loop: Header=BB2_4995 Depth=3
	s_or_b32 exec_lo, exec_lo, s30
	s_delay_alu instid0(VALU_DEP_1) | instskip(NEXT) | instid1(VALU_DEP_1)
	v_add_f32_e32 v164, v161, v165
	v_and_b32_e32 v161, 0x7f800000, v164
	s_delay_alu instid0(VALU_DEP_1)
	v_cmp_ne_u32_e32 vcc_lo, 0x7f800000, v161
	v_mov_b32_e32 v161, 0x8000
	s_and_saveexec_b32 s30, vcc_lo
	s_cbranch_execz .LBB2_5292
; %bb.5285:                             ;   in Loop: Header=BB2_4995 Depth=3
	v_mov_b32_e32 v161, 0
	s_mov_b32 s31, exec_lo
	v_cmpx_ne_u32_e32 0, v164
	s_cbranch_execz .LBB2_5291
; %bb.5286:                             ;   in Loop: Header=BB2_4995 Depth=3
	v_bfe_u32 v161, v164, 23, 8
	s_delay_alu instid0(VALU_DEP_1) | instskip(SKIP_1) | instid1(VALU_DEP_2)
	v_sub_nc_u32_e32 v166, 0x70, v161
	v_cmp_gt_u32_e32 vcc_lo, 0x71, v161
	v_dual_cndmask_b32 v166, 0, v166 :: v_dual_and_b32 v165, 0x7fffff, v164
	s_delay_alu instid0(VALU_DEP_1) | instskip(SKIP_2) | instid1(VALU_DEP_4)
	v_or_b32_e32 v167, 0x800000, v165
	v_cmp_eq_u32_e32 vcc_lo, 0, v161
	v_add_nc_u32_e32 v161, 0xffffff91, v161
	v_cndmask_b32_e64 v166, v166, 0x6f, vcc_lo
	s_delay_alu instid0(VALU_DEP_4) | instskip(NEXT) | instid1(VALU_DEP_3)
	v_cndmask_b32_e32 v165, v167, v165, vcc_lo
	v_cndmask_b32_e64 v161, v161, 0xffffff92, vcc_lo
	s_delay_alu instid0(VALU_DEP_3) | instskip(NEXT) | instid1(VALU_DEP_3)
	v_lshl_add_u32 v167, 0x200000, v166, -1
	v_lshrrev_b32_e32 v176, v166, v165
	v_lshlrev_b32_e64 v178, v166, 0x100000
	s_delay_alu instid0(VALU_DEP_4) | instskip(NEXT) | instid1(VALU_DEP_4)
	v_add_nc_u32_e32 v166, v166, v161
	v_and_b32_e32 v165, v167, v165
	s_delay_alu instid0(VALU_DEP_4) | instskip(NEXT) | instid1(VALU_DEP_2)
	v_bfe_u32 v177, v176, 21, 1
	v_cmp_eq_u32_e64 s14, v165, v178
	s_delay_alu instid0(VALU_DEP_2) | instskip(NEXT) | instid1(VALU_DEP_1)
	v_add_nc_u32_e32 v167, -1, v177
	v_cndmask_b32_e64 v165, 0, v167, s14
	v_lshrrev_b32_e32 v167, 23, v176
	s_mov_b32 s14, exec_lo
	s_delay_alu instid0(VALU_DEP_2) | instskip(NEXT) | instid1(VALU_DEP_2)
	v_add_nc_u32_e32 v165, v165, v176
	v_xor_b32_e32 v167, 1, v167
	s_delay_alu instid0(VALU_DEP_2) | instskip(NEXT) | instid1(VALU_DEP_1)
	v_and_b32_e32 v161, 0x1fffff, v165
	v_add_nc_u32_e32 v165, v161, v176
                                        ; implicit-def: $vgpr161
	s_delay_alu instid0(VALU_DEP_3)
	v_cmpx_ne_u32_e64 v166, v167
	s_xor_b32 s14, exec_lo, s14
; %bb.5287:                             ;   in Loop: Header=BB2_4995 Depth=3
	s_delay_alu instid0(VALU_DEP_2) | instskip(SKIP_2) | instid1(VALU_DEP_2)
	v_cmp_lt_u32_e32 vcc_lo, 0xffffff, v165
	v_sub_nc_u32_e32 v161, v166, v167
	v_cndmask_b32_e64 v166, 0, 1, vcc_lo
	v_add_co_ci_u32_e32 v161, vcc_lo, 0, v161, vcc_lo
	s_delay_alu instid0(VALU_DEP_2)
	v_lshrrev_b32_e32 v165, v166, v165
; %bb.5288:                             ;   in Loop: Header=BB2_4995 Depth=3
	s_and_not1_saveexec_b32 s14, s14
; %bb.5289:                             ;   in Loop: Header=BB2_4995 Depth=3
	s_delay_alu instid0(VALU_DEP_1)
	v_bfe_u32 v161, v165, 23, 1
; %bb.5290:                             ;   in Loop: Header=BB2_4995 Depth=3
	s_or_b32 exec_lo, exec_lo, s14
	v_lshrrev_b32_e32 v165, 21, v165
	s_delay_alu instid0(VALU_DEP_2) | instskip(SKIP_2) | instid1(VALU_DEP_2)
	v_cmp_gt_i32_e32 vcc_lo, 32, v161
	v_min_i32_e32 v166, 31, v161
	v_lshrrev_b32_e32 v164, 24, v164
	v_dual_cndmask_b32 v165, 3, v165 :: v_dual_lshlrev_b32 v166, 2, v166
	s_delay_alu instid0(VALU_DEP_2) | instskip(NEXT) | instid1(VALU_DEP_2)
	v_and_b32_e32 v164, 0x80, v164
	v_or_b32_e32 v161, v161, v165
	v_and_b32_e32 v167, 3, v165
	s_delay_alu instid0(VALU_DEP_2) | instskip(SKIP_1) | instid1(VALU_DEP_1)
	v_cmp_ne_u32_e32 vcc_lo, 0, v161
	v_and_b32_e32 v166, 0xfc, v166
	v_or3_b32 v164, v164, v166, v167
	s_delay_alu instid0(VALU_DEP_1) | instskip(NEXT) | instid1(VALU_DEP_1)
	v_lshlrev_b32_e32 v164, 8, v164
	v_cndmask_b32_e32 v161, 0, v164, vcc_lo
.LBB2_5291:                             ;   in Loop: Header=BB2_4995 Depth=3
	s_or_b32 exec_lo, exec_lo, s31
.LBB2_5292:                             ;   in Loop: Header=BB2_4995 Depth=3
	s_delay_alu instid0(SALU_CYCLE_1) | instskip(SKIP_3) | instid1(VALU_DEP_1)
	s_or_b32 exec_lo, exec_lo, s30
	v_or_b32_e32 v162, v162, v151
	s_mov_b32 s14, 0
	s_mov_b32 s31, exec_lo
                                        ; implicit-def: $sgpr30
	v_and_b32_e32 v164, 0xff, v162
	s_delay_alu instid0(VALU_DEP_1)
	v_cmpx_lt_i16_e64 0x7f, v164
	s_xor_b32 s31, exec_lo, s31
	s_cbranch_execnz .LBB2_5562
; %bb.5293:                             ;   in Loop: Header=BB2_4995 Depth=3
	s_or_saveexec_b32 s31, s31
	v_mov_b32_e32 v151, s30
	s_xor_b32 exec_lo, exec_lo, s31
	s_cbranch_execnz .LBB2_5565
.LBB2_5294:                             ;   in Loop: Header=BB2_4995 Depth=3
	s_or_b32 exec_lo, exec_lo, s31
	v_lshl_or_b32 v162, v162, 16, v163
	s_and_saveexec_b32 s30, s14
	s_cbranch_execz .LBB2_5296
.LBB2_5295:                             ;   in Loop: Header=BB2_4995 Depth=3
	s_delay_alu instid0(VALU_DEP_1) | instskip(SKIP_1) | instid1(VALU_DEP_2)
	v_bfe_u32 v151, v162, 16, 2
	v_lshrrev_b32_e32 v164, 16, v162
	v_clz_i32_u32_e32 v163, v151
	s_delay_alu instid0(VALU_DEP_1) | instskip(NEXT) | instid1(VALU_DEP_1)
	v_min_u32_e32 v163, 32, v163
	v_subrev_nc_u32_e32 v165, 29, v163
	v_sub_nc_u32_e32 v163, 30, v163
	s_delay_alu instid0(VALU_DEP_2) | instskip(SKIP_1) | instid1(VALU_DEP_1)
	v_lshlrev_b32_e32 v164, v165, v164
	v_bfe_u32 v165, v162, 18, 5
	v_cmp_eq_u32_e32 vcc_lo, 0, v165
	s_delay_alu instid0(VALU_DEP_3) | instskip(NEXT) | instid1(VALU_DEP_1)
	v_dual_cndmask_b32 v163, v165, v163 :: v_dual_and_b32 v164, 3, v164
	v_dual_cndmask_b32 v151, v151, v164 :: v_dual_lshlrev_b32 v166, 8, v162
	s_delay_alu instid0(VALU_DEP_2) | instskip(NEXT) | instid1(VALU_DEP_2)
	v_lshl_add_u32 v163, v163, 23, 0x37800000
	v_and_b32_e32 v164, 0x80000000, v166
	s_delay_alu instid0(VALU_DEP_3) | instskip(NEXT) | instid1(VALU_DEP_1)
	v_lshlrev_b32_e32 v151, 21, v151
	v_or3_b32 v151, v164, v163, v151
.LBB2_5296:                             ;   in Loop: Header=BB2_4995 Depth=3
	s_or_b32 exec_lo, exec_lo, s30
	v_lshrrev_b32_e32 v163, 16, v9
	s_mov_b32 s14, 0
	s_mov_b32 s31, exec_lo
                                        ; implicit-def: $sgpr30
	s_delay_alu instid0(VALU_DEP_1) | instskip(NEXT) | instid1(VALU_DEP_1)
	v_and_b32_e32 v165, 0xff, v163
	v_cmpx_lt_i16_e64 0x7f, v165
	s_xor_b32 s31, exec_lo, s31
	s_cbranch_execnz .LBB2_5566
; %bb.5297:                             ;   in Loop: Header=BB2_4995 Depth=3
	s_or_saveexec_b32 s31, s31
	v_mov_b32_e32 v164, s30
	s_xor_b32 exec_lo, exec_lo, s31
	s_cbranch_execnz .LBB2_5569
.LBB2_5298:                             ;   in Loop: Header=BB2_4995 Depth=3
	s_or_b32 exec_lo, exec_lo, s31
	s_and_saveexec_b32 s30, s14
	s_cbranch_execz .LBB2_5300
.LBB2_5299:                             ;   in Loop: Header=BB2_4995 Depth=3
	v_bfe_u32 v164, v9, 16, 2
	v_lshlrev_b32_e32 v167, 8, v9
	s_delay_alu instid0(VALU_DEP_2) | instskip(NEXT) | instid1(VALU_DEP_1)
	v_clz_i32_u32_e32 v165, v164
	v_min_u32_e32 v165, 32, v165
	s_delay_alu instid0(VALU_DEP_1) | instskip(SKIP_1) | instid1(VALU_DEP_2)
	v_subrev_nc_u32_e32 v166, 29, v165
	v_sub_nc_u32_e32 v165, 30, v165
	v_lshlrev_b32_e32 v163, v166, v163
	v_bfe_u32 v166, v9, 18, 5
	s_delay_alu instid0(VALU_DEP_2) | instskip(NEXT) | instid1(VALU_DEP_2)
	v_and_b32_e32 v163, 3, v163
	v_cmp_eq_u32_e32 vcc_lo, 0, v166
	v_cndmask_b32_e32 v165, v166, v165, vcc_lo
	s_delay_alu instid0(VALU_DEP_3) | instskip(SKIP_1) | instid1(VALU_DEP_3)
	v_cndmask_b32_e32 v163, v164, v163, vcc_lo
	v_and_b32_e32 v164, 0x80000000, v167
	v_lshl_add_u32 v165, v165, 23, 0x37800000
	s_delay_alu instid0(VALU_DEP_3) | instskip(NEXT) | instid1(VALU_DEP_1)
	v_lshlrev_b32_e32 v163, 21, v163
	v_or3_b32 v164, v164, v165, v163
.LBB2_5300:                             ;   in Loop: Header=BB2_4995 Depth=3
	s_or_b32 exec_lo, exec_lo, s30
	s_delay_alu instid0(VALU_DEP_1) | instskip(NEXT) | instid1(VALU_DEP_1)
	v_add_f32_e32 v163, v151, v164
	v_and_b32_e32 v151, 0x7f800000, v163
	s_delay_alu instid0(VALU_DEP_1)
	v_cmp_ne_u32_e32 vcc_lo, 0x7f800000, v151
	v_mov_b32_e32 v151, 0x80
	s_and_saveexec_b32 s30, vcc_lo
	s_cbranch_execz .LBB2_5308
; %bb.5301:                             ;   in Loop: Header=BB2_4995 Depth=3
	v_mov_b32_e32 v151, 0
	s_mov_b32 s31, exec_lo
	v_cmpx_ne_u32_e32 0, v163
	s_cbranch_execz .LBB2_5307
; %bb.5302:                             ;   in Loop: Header=BB2_4995 Depth=3
	v_bfe_u32 v151, v163, 23, 8
	s_delay_alu instid0(VALU_DEP_1) | instskip(SKIP_1) | instid1(VALU_DEP_2)
	v_sub_nc_u32_e32 v165, 0x70, v151
	v_cmp_gt_u32_e32 vcc_lo, 0x71, v151
	v_dual_cndmask_b32 v165, 0, v165 :: v_dual_and_b32 v164, 0x7fffff, v163
	s_delay_alu instid0(VALU_DEP_1) | instskip(SKIP_2) | instid1(VALU_DEP_4)
	v_or_b32_e32 v166, 0x800000, v164
	v_cmp_eq_u32_e32 vcc_lo, 0, v151
	v_add_nc_u32_e32 v151, 0xffffff91, v151
	v_cndmask_b32_e64 v165, v165, 0x6f, vcc_lo
	s_delay_alu instid0(VALU_DEP_4) | instskip(NEXT) | instid1(VALU_DEP_3)
	v_cndmask_b32_e32 v164, v166, v164, vcc_lo
	v_cndmask_b32_e64 v151, v151, 0xffffff92, vcc_lo
	s_delay_alu instid0(VALU_DEP_3) | instskip(NEXT) | instid1(VALU_DEP_3)
	v_lshl_add_u32 v166, 0x200000, v165, -1
	v_lshrrev_b32_e32 v167, v165, v164
	v_lshlrev_b32_e64 v177, v165, 0x100000
	s_delay_alu instid0(VALU_DEP_4) | instskip(NEXT) | instid1(VALU_DEP_4)
	v_add_nc_u32_e32 v165, v165, v151
	v_and_b32_e32 v164, v166, v164
	s_delay_alu instid0(VALU_DEP_4) | instskip(NEXT) | instid1(VALU_DEP_2)
	v_bfe_u32 v176, v167, 21, 1
	v_cmp_eq_u32_e64 s14, v164, v177
	s_delay_alu instid0(VALU_DEP_2) | instskip(NEXT) | instid1(VALU_DEP_1)
	v_add_nc_u32_e32 v166, -1, v176
	v_cndmask_b32_e64 v164, 0, v166, s14
	v_lshrrev_b32_e32 v166, 23, v167
	s_mov_b32 s14, exec_lo
	s_delay_alu instid0(VALU_DEP_2) | instskip(NEXT) | instid1(VALU_DEP_2)
	v_add_nc_u32_e32 v164, v164, v167
	v_xor_b32_e32 v166, 1, v166
	s_delay_alu instid0(VALU_DEP_2) | instskip(NEXT) | instid1(VALU_DEP_1)
	v_and_b32_e32 v151, 0x1fffff, v164
	v_add_nc_u32_e32 v164, v151, v167
                                        ; implicit-def: $vgpr151
	s_delay_alu instid0(VALU_DEP_3)
	v_cmpx_ne_u32_e64 v165, v166
	s_xor_b32 s14, exec_lo, s14
; %bb.5303:                             ;   in Loop: Header=BB2_4995 Depth=3
	s_delay_alu instid0(VALU_DEP_2) | instskip(SKIP_2) | instid1(VALU_DEP_2)
	v_cmp_lt_u32_e32 vcc_lo, 0xffffff, v164
	v_sub_nc_u32_e32 v151, v165, v166
	v_cndmask_b32_e64 v165, 0, 1, vcc_lo
	v_add_co_ci_u32_e32 v151, vcc_lo, 0, v151, vcc_lo
	s_delay_alu instid0(VALU_DEP_2)
	v_lshrrev_b32_e32 v164, v165, v164
; %bb.5304:                             ;   in Loop: Header=BB2_4995 Depth=3
	s_and_not1_saveexec_b32 s14, s14
; %bb.5305:                             ;   in Loop: Header=BB2_4995 Depth=3
	s_delay_alu instid0(VALU_DEP_1)
	v_bfe_u32 v151, v164, 23, 1
; %bb.5306:                             ;   in Loop: Header=BB2_4995 Depth=3
	s_or_b32 exec_lo, exec_lo, s14
	v_lshrrev_b32_e32 v164, 21, v164
	s_delay_alu instid0(VALU_DEP_2) | instskip(SKIP_2) | instid1(VALU_DEP_2)
	v_cmp_gt_i32_e32 vcc_lo, 32, v151
	v_min_i32_e32 v165, 31, v151
	v_lshrrev_b32_e32 v163, 24, v163
	v_dual_cndmask_b32 v164, 3, v164 :: v_dual_lshlrev_b32 v165, 2, v165
	s_delay_alu instid0(VALU_DEP_2) | instskip(NEXT) | instid1(VALU_DEP_2)
	v_and_b32_e32 v163, 0x80, v163
	v_or_b32_e32 v151, v151, v164
	s_delay_alu instid0(VALU_DEP_3) | instskip(NEXT) | instid1(VALU_DEP_2)
	v_and_b32_e32 v165, 0xfc, v165
	v_cmp_ne_u32_e32 vcc_lo, 0, v151
	v_and_b32_e32 v166, 3, v164
	s_delay_alu instid0(VALU_DEP_1) | instskip(NEXT) | instid1(VALU_DEP_1)
	v_or3_b32 v163, v165, v163, v166
	v_cndmask_b32_e32 v151, 0, v163, vcc_lo
.LBB2_5307:                             ;   in Loop: Header=BB2_4995 Depth=3
	s_or_b32 exec_lo, exec_lo, s31
.LBB2_5308:                             ;   in Loop: Header=BB2_4995 Depth=3
	s_delay_alu instid0(SALU_CYCLE_1) | instskip(SKIP_3) | instid1(VALU_DEP_1)
	s_or_b32 exec_lo, exec_lo, s30
	v_lshrrev_b32_e32 v164, 24, v162
	s_mov_b32 s14, 0
	s_mov_b32 s31, exec_lo
                                        ; implicit-def: $sgpr30
	v_cmpx_lt_i16_e64 0x7f, v164
	s_xor_b32 s31, exec_lo, s31
	s_cbranch_execnz .LBB2_5570
; %bb.5309:                             ;   in Loop: Header=BB2_4995 Depth=3
	s_or_saveexec_b32 s31, s31
	v_mov_b32_e32 v163, s30
	s_xor_b32 exec_lo, exec_lo, s31
	s_cbranch_execnz .LBB2_5573
.LBB2_5310:                             ;   in Loop: Header=BB2_4995 Depth=3
	s_or_b32 exec_lo, exec_lo, s31
	s_and_saveexec_b32 s30, s14
	s_cbranch_execz .LBB2_5312
.LBB2_5311:                             ;   in Loop: Header=BB2_4995 Depth=3
	v_bfe_u32 v163, v162, 24, 2
	s_delay_alu instid0(VALU_DEP_1) | instskip(NEXT) | instid1(VALU_DEP_1)
	v_clz_i32_u32_e32 v165, v163
	v_min_u32_e32 v165, 32, v165
	s_delay_alu instid0(VALU_DEP_1) | instskip(SKIP_1) | instid1(VALU_DEP_2)
	v_subrev_nc_u32_e32 v166, 29, v165
	v_sub_nc_u32_e32 v165, 30, v165
	v_lshlrev_b32_e32 v164, v166, v164
	v_bfe_u32 v166, v162, 26, 5
	v_and_b32_e32 v162, 0x80000000, v162
	s_delay_alu instid0(VALU_DEP_2) | instskip(NEXT) | instid1(VALU_DEP_4)
	v_cmp_eq_u32_e32 vcc_lo, 0, v166
	v_dual_cndmask_b32 v165, v166, v165 :: v_dual_and_b32 v164, 3, v164
	s_delay_alu instid0(VALU_DEP_1) | instskip(NEXT) | instid1(VALU_DEP_2)
	v_cndmask_b32_e32 v163, v163, v164, vcc_lo
	v_lshl_add_u32 v164, v165, 23, 0x37800000
	s_delay_alu instid0(VALU_DEP_2) | instskip(NEXT) | instid1(VALU_DEP_1)
	v_lshlrev_b32_e32 v163, 21, v163
	v_or3_b32 v163, v162, v164, v163
.LBB2_5312:                             ;   in Loop: Header=BB2_4995 Depth=3
	s_or_b32 exec_lo, exec_lo, s30
	v_lshrrev_b32_e32 v162, 24, v9
	s_mov_b32 s14, 0
	s_mov_b32 s31, exec_lo
                                        ; implicit-def: $sgpr30
	s_delay_alu instid0(VALU_DEP_1)
	v_cmpx_lt_i16_e64 0x7f, v162
	s_xor_b32 s31, exec_lo, s31
	s_cbranch_execnz .LBB2_5574
; %bb.5313:                             ;   in Loop: Header=BB2_4995 Depth=3
	s_or_saveexec_b32 s31, s31
	v_mov_b32_e32 v164, s30
	s_xor_b32 exec_lo, exec_lo, s31
	s_cbranch_execnz .LBB2_5577
.LBB2_5314:                             ;   in Loop: Header=BB2_4995 Depth=3
	s_or_b32 exec_lo, exec_lo, s31
	s_and_saveexec_b32 s30, s14
	s_cbranch_execz .LBB2_5316
.LBB2_5315:                             ;   in Loop: Header=BB2_4995 Depth=3
	v_bfe_u32 v164, v9, 24, 2
	s_delay_alu instid0(VALU_DEP_1) | instskip(NEXT) | instid1(VALU_DEP_1)
	v_clz_i32_u32_e32 v165, v164
	v_min_u32_e32 v165, 32, v165
	s_delay_alu instid0(VALU_DEP_1) | instskip(SKIP_1) | instid1(VALU_DEP_2)
	v_subrev_nc_u32_e32 v166, 29, v165
	v_sub_nc_u32_e32 v165, 30, v165
	v_lshlrev_b32_e32 v162, v166, v162
	v_bfe_u32 v166, v9, 26, 5
	v_and_b32_e32 v9, 0x80000000, v9
	s_delay_alu instid0(VALU_DEP_2) | instskip(NEXT) | instid1(VALU_DEP_4)
	v_cmp_eq_u32_e32 vcc_lo, 0, v166
	v_dual_cndmask_b32 v165, v166, v165 :: v_dual_and_b32 v162, 3, v162
	s_delay_alu instid0(VALU_DEP_1) | instskip(NEXT) | instid1(VALU_DEP_2)
	v_cndmask_b32_e32 v162, v164, v162, vcc_lo
	v_lshl_add_u32 v164, v165, 23, 0x37800000
	s_delay_alu instid0(VALU_DEP_2) | instskip(NEXT) | instid1(VALU_DEP_1)
	v_lshlrev_b32_e32 v162, 21, v162
	v_or3_b32 v164, v9, v164, v162
.LBB2_5316:                             ;   in Loop: Header=BB2_4995 Depth=3
	s_or_b32 exec_lo, exec_lo, s30
	s_delay_alu instid0(VALU_DEP_1) | instskip(NEXT) | instid1(VALU_DEP_1)
	v_add_f32_e32 v162, v163, v164
	v_and_b32_e32 v9, 0x7f800000, v162
	s_delay_alu instid0(VALU_DEP_1)
	v_cmp_ne_u32_e32 vcc_lo, 0x7f800000, v9
	v_mov_b32_e32 v9, 0x8000
	s_and_saveexec_b32 s30, vcc_lo
	s_cbranch_execz .LBB2_5324
; %bb.5317:                             ;   in Loop: Header=BB2_4995 Depth=3
	v_mov_b32_e32 v9, 0
	s_mov_b32 s31, exec_lo
	v_cmpx_ne_u32_e32 0, v162
	s_cbranch_execz .LBB2_5323
; %bb.5318:                             ;   in Loop: Header=BB2_4995 Depth=3
	v_bfe_u32 v9, v162, 23, 8
	s_delay_alu instid0(VALU_DEP_1) | instskip(SKIP_1) | instid1(VALU_DEP_2)
	v_sub_nc_u32_e32 v164, 0x70, v9
	v_cmp_gt_u32_e32 vcc_lo, 0x71, v9
	v_dual_cndmask_b32 v164, 0, v164 :: v_dual_and_b32 v163, 0x7fffff, v162
	s_delay_alu instid0(VALU_DEP_1) | instskip(SKIP_2) | instid1(VALU_DEP_4)
	v_or_b32_e32 v165, 0x800000, v163
	v_cmp_eq_u32_e32 vcc_lo, 0, v9
	v_add_nc_u32_e32 v9, 0xffffff91, v9
	v_cndmask_b32_e64 v164, v164, 0x6f, vcc_lo
	s_delay_alu instid0(VALU_DEP_2) | instskip(SKIP_1) | instid1(VALU_DEP_3)
	v_cndmask_b32_e64 v9, v9, 0xffffff92, vcc_lo
	v_cndmask_b32_e32 v163, v165, v163, vcc_lo
	v_lshl_add_u32 v165, 0x200000, v164, -1
	v_lshlrev_b32_e64 v176, v164, 0x100000
	s_delay_alu instid0(VALU_DEP_3) | instskip(SKIP_1) | instid1(VALU_DEP_4)
	v_lshrrev_b32_e32 v166, v164, v163
	v_add_nc_u32_e32 v164, v164, v9
	v_and_b32_e32 v163, v165, v163
	s_delay_alu instid0(VALU_DEP_3) | instskip(NEXT) | instid1(VALU_DEP_2)
	v_bfe_u32 v167, v166, 21, 1
	v_cmp_eq_u32_e64 s14, v163, v176
	s_delay_alu instid0(VALU_DEP_2) | instskip(NEXT) | instid1(VALU_DEP_1)
	v_add_nc_u32_e32 v165, -1, v167
	v_cndmask_b32_e64 v163, 0, v165, s14
	v_lshrrev_b32_e32 v165, 23, v166
	s_mov_b32 s14, exec_lo
	s_delay_alu instid0(VALU_DEP_2) | instskip(NEXT) | instid1(VALU_DEP_2)
	v_add_nc_u32_e32 v163, v163, v166
	v_xor_b32_e32 v165, 1, v165
	s_delay_alu instid0(VALU_DEP_2) | instskip(NEXT) | instid1(VALU_DEP_1)
	v_and_b32_e32 v9, 0x1fffff, v163
	v_add_nc_u32_e32 v163, v9, v166
                                        ; implicit-def: $vgpr9
	s_delay_alu instid0(VALU_DEP_3)
	v_cmpx_ne_u32_e64 v164, v165
	s_xor_b32 s14, exec_lo, s14
; %bb.5319:                             ;   in Loop: Header=BB2_4995 Depth=3
	s_delay_alu instid0(VALU_DEP_2) | instskip(SKIP_2) | instid1(VALU_DEP_2)
	v_cmp_lt_u32_e32 vcc_lo, 0xffffff, v163
	v_sub_nc_u32_e32 v9, v164, v165
	v_cndmask_b32_e64 v164, 0, 1, vcc_lo
	v_add_co_ci_u32_e32 v9, vcc_lo, 0, v9, vcc_lo
	s_delay_alu instid0(VALU_DEP_2)
	v_lshrrev_b32_e32 v163, v164, v163
; %bb.5320:                             ;   in Loop: Header=BB2_4995 Depth=3
	s_and_not1_saveexec_b32 s14, s14
; %bb.5321:                             ;   in Loop: Header=BB2_4995 Depth=3
	s_delay_alu instid0(VALU_DEP_1)
	v_bfe_u32 v9, v163, 23, 1
; %bb.5322:                             ;   in Loop: Header=BB2_4995 Depth=3
	s_or_b32 exec_lo, exec_lo, s14
	v_lshrrev_b32_e32 v163, 21, v163
	s_delay_alu instid0(VALU_DEP_2) | instskip(SKIP_2) | instid1(VALU_DEP_2)
	v_cmp_gt_i32_e32 vcc_lo, 32, v9
	v_min_i32_e32 v164, 31, v9
	v_lshrrev_b32_e32 v162, 24, v162
	v_dual_cndmask_b32 v163, 3, v163 :: v_dual_lshlrev_b32 v164, 2, v164
	s_delay_alu instid0(VALU_DEP_2) | instskip(NEXT) | instid1(VALU_DEP_2)
	v_and_b32_e32 v162, 0x80, v162
	v_or_b32_e32 v9, v9, v163
	v_and_b32_e32 v165, 3, v163
	s_delay_alu instid0(VALU_DEP_2) | instskip(SKIP_1) | instid1(VALU_DEP_1)
	v_cmp_ne_u32_e32 vcc_lo, 0, v9
	v_and_b32_e32 v164, 0xfc, v164
	v_or3_b32 v162, v162, v164, v165
	s_delay_alu instid0(VALU_DEP_1) | instskip(NEXT) | instid1(VALU_DEP_1)
	v_lshlrev_b32_e32 v162, 8, v162
	v_cndmask_b32_e32 v9, 0, v162, vcc_lo
.LBB2_5323:                             ;   in Loop: Header=BB2_4995 Depth=3
	s_or_b32 exec_lo, exec_lo, s31
.LBB2_5324:                             ;   in Loop: Header=BB2_4995 Depth=3
	s_delay_alu instid0(SALU_CYCLE_1) | instskip(SKIP_3) | instid1(VALU_DEP_1)
	s_or_b32 exec_lo, exec_lo, s30
	v_and_b32_e32 v163, 0xff, v149
	s_mov_b32 s14, 0
	s_mov_b32 s31, exec_lo
                                        ; implicit-def: $sgpr30
	v_cmpx_lt_i16_e64 0x7f, v163
	s_xor_b32 s31, exec_lo, s31
	s_cbranch_execnz .LBB2_5578
; %bb.5325:                             ;   in Loop: Header=BB2_4995 Depth=3
	s_or_saveexec_b32 s31, s31
	v_mov_b32_e32 v162, s30
	s_xor_b32 exec_lo, exec_lo, s31
	s_cbranch_execnz .LBB2_5581
.LBB2_5326:                             ;   in Loop: Header=BB2_4995 Depth=3
	s_or_b32 exec_lo, exec_lo, s31
	s_and_saveexec_b32 s30, s14
	s_cbranch_execz .LBB2_5328
.LBB2_5327:                             ;   in Loop: Header=BB2_4995 Depth=3
	v_bfe_u32 v165, v149, 2, 5
	s_delay_alu instid0(VALU_DEP_1) | instskip(SKIP_1) | instid1(VALU_DEP_1)
	v_cmp_eq_u32_e32 vcc_lo, 0, v165
	v_and_b32_e32 v162, 3, v149
	v_clz_i32_u32_e32 v163, v162
	s_delay_alu instid0(VALU_DEP_1) | instskip(NEXT) | instid1(VALU_DEP_1)
	v_min_u32_e32 v163, 32, v163
	v_subrev_nc_u32_e32 v164, 29, v163
	v_sub_nc_u32_e32 v163, 30, v163
	s_delay_alu instid0(VALU_DEP_1) | instskip(NEXT) | instid1(VALU_DEP_1)
	v_dual_cndmask_b32 v163, v165, v163 :: v_dual_lshlrev_b32 v164, v164, v149
	v_and_b32_e32 v164, 3, v164
	v_lshlrev_b32_e32 v149, 24, v149
	s_delay_alu instid0(VALU_DEP_3) | instskip(NEXT) | instid1(VALU_DEP_2)
	v_lshl_add_u32 v163, v163, 23, 0x37800000
	v_dual_cndmask_b32 v162, v162, v164 :: v_dual_and_b32 v149, 0x80000000, v149
	s_delay_alu instid0(VALU_DEP_1) | instskip(NEXT) | instid1(VALU_DEP_1)
	v_lshlrev_b32_e32 v162, 21, v162
	v_or3_b32 v162, v149, v163, v162
.LBB2_5328:                             ;   in Loop: Header=BB2_4995 Depth=3
	s_or_b32 exec_lo, exec_lo, s30
	v_and_b32_e32 v163, 0xff, v10
	s_mov_b32 s14, 0
	s_mov_b32 s31, exec_lo
                                        ; implicit-def: $sgpr30
	s_delay_alu instid0(VALU_DEP_1)
	v_cmpx_lt_i16_e64 0x7f, v163
	s_xor_b32 s31, exec_lo, s31
	s_cbranch_execnz .LBB2_5582
; %bb.5329:                             ;   in Loop: Header=BB2_4995 Depth=3
	s_or_saveexec_b32 s31, s31
	v_mov_b32_e32 v149, s30
	s_xor_b32 exec_lo, exec_lo, s31
	s_cbranch_execnz .LBB2_5585
.LBB2_5330:                             ;   in Loop: Header=BB2_4995 Depth=3
	s_or_b32 exec_lo, exec_lo, s31
	s_and_saveexec_b32 s30, s14
	s_cbranch_execz .LBB2_5332
.LBB2_5331:                             ;   in Loop: Header=BB2_4995 Depth=3
	v_and_b32_e32 v149, 3, v10
	v_bfe_u32 v165, v10, 2, 5
	s_delay_alu instid0(VALU_DEP_2) | instskip(NEXT) | instid1(VALU_DEP_2)
	v_clz_i32_u32_e32 v163, v149
	v_cmp_eq_u32_e32 vcc_lo, 0, v165
	s_delay_alu instid0(VALU_DEP_2) | instskip(NEXT) | instid1(VALU_DEP_1)
	v_min_u32_e32 v163, 32, v163
	v_subrev_nc_u32_e32 v164, 29, v163
	v_sub_nc_u32_e32 v163, 30, v163
	s_delay_alu instid0(VALU_DEP_1) | instskip(NEXT) | instid1(VALU_DEP_1)
	v_dual_cndmask_b32 v163, v165, v163 :: v_dual_lshlrev_b32 v164, v164, v10
	v_and_b32_e32 v164, 3, v164
	v_lshlrev_b32_e32 v166, 24, v10
	s_delay_alu instid0(VALU_DEP_3) | instskip(NEXT) | instid1(VALU_DEP_2)
	v_lshl_add_u32 v163, v163, 23, 0x37800000
	v_dual_cndmask_b32 v149, v149, v164 :: v_dual_and_b32 v164, 0x80000000, v166
	s_delay_alu instid0(VALU_DEP_1) | instskip(NEXT) | instid1(VALU_DEP_1)
	v_lshlrev_b32_e32 v149, 21, v149
	v_or3_b32 v149, v164, v163, v149
.LBB2_5332:                             ;   in Loop: Header=BB2_4995 Depth=3
	s_or_b32 exec_lo, exec_lo, s30
	s_delay_alu instid0(VALU_DEP_1) | instskip(NEXT) | instid1(VALU_DEP_1)
	v_add_f32_e32 v162, v162, v149
	v_and_b32_e32 v149, 0x7f800000, v162
	s_delay_alu instid0(VALU_DEP_1)
	v_cmp_ne_u32_e32 vcc_lo, 0x7f800000, v149
	v_mov_b32_e32 v149, 0x80
	s_and_saveexec_b32 s30, vcc_lo
	s_cbranch_execz .LBB2_5340
; %bb.5333:                             ;   in Loop: Header=BB2_4995 Depth=3
	v_mov_b32_e32 v149, 0
	s_mov_b32 s31, exec_lo
	v_cmpx_ne_u32_e32 0, v162
	s_cbranch_execz .LBB2_5339
; %bb.5334:                             ;   in Loop: Header=BB2_4995 Depth=3
	v_bfe_u32 v149, v162, 23, 8
	s_delay_alu instid0(VALU_DEP_1) | instskip(SKIP_1) | instid1(VALU_DEP_2)
	v_sub_nc_u32_e32 v164, 0x70, v149
	v_cmp_gt_u32_e32 vcc_lo, 0x71, v149
	v_dual_cndmask_b32 v164, 0, v164 :: v_dual_and_b32 v163, 0x7fffff, v162
	s_delay_alu instid0(VALU_DEP_1) | instskip(SKIP_2) | instid1(VALU_DEP_4)
	v_or_b32_e32 v165, 0x800000, v163
	v_cmp_eq_u32_e32 vcc_lo, 0, v149
	v_add_nc_u32_e32 v149, 0xffffff91, v149
	v_cndmask_b32_e64 v164, v164, 0x6f, vcc_lo
	s_delay_alu instid0(VALU_DEP_2) | instskip(SKIP_1) | instid1(VALU_DEP_3)
	v_cndmask_b32_e64 v149, v149, 0xffffff92, vcc_lo
	v_cndmask_b32_e32 v163, v165, v163, vcc_lo
	v_lshl_add_u32 v165, 0x200000, v164, -1
	v_lshlrev_b32_e64 v176, v164, 0x100000
	s_delay_alu instid0(VALU_DEP_3) | instskip(SKIP_1) | instid1(VALU_DEP_4)
	v_lshrrev_b32_e32 v166, v164, v163
	v_add_nc_u32_e32 v164, v164, v149
	v_and_b32_e32 v163, v165, v163
	s_delay_alu instid0(VALU_DEP_3) | instskip(NEXT) | instid1(VALU_DEP_2)
	v_bfe_u32 v167, v166, 21, 1
	v_cmp_eq_u32_e64 s14, v163, v176
	s_delay_alu instid0(VALU_DEP_2) | instskip(NEXT) | instid1(VALU_DEP_1)
	v_add_nc_u32_e32 v165, -1, v167
	v_cndmask_b32_e64 v163, 0, v165, s14
	v_lshrrev_b32_e32 v165, 23, v166
	s_mov_b32 s14, exec_lo
	s_delay_alu instid0(VALU_DEP_2) | instskip(NEXT) | instid1(VALU_DEP_2)
	v_add_nc_u32_e32 v163, v163, v166
	v_xor_b32_e32 v165, 1, v165
	s_delay_alu instid0(VALU_DEP_2) | instskip(NEXT) | instid1(VALU_DEP_1)
	v_and_b32_e32 v149, 0x1fffff, v163
	v_add_nc_u32_e32 v163, v149, v166
                                        ; implicit-def: $vgpr149
	s_delay_alu instid0(VALU_DEP_3)
	v_cmpx_ne_u32_e64 v164, v165
	s_xor_b32 s14, exec_lo, s14
; %bb.5335:                             ;   in Loop: Header=BB2_4995 Depth=3
	s_delay_alu instid0(VALU_DEP_2) | instskip(SKIP_2) | instid1(VALU_DEP_2)
	v_cmp_lt_u32_e32 vcc_lo, 0xffffff, v163
	v_sub_nc_u32_e32 v149, v164, v165
	v_cndmask_b32_e64 v164, 0, 1, vcc_lo
	v_add_co_ci_u32_e32 v149, vcc_lo, 0, v149, vcc_lo
	s_delay_alu instid0(VALU_DEP_2)
	v_lshrrev_b32_e32 v163, v164, v163
; %bb.5336:                             ;   in Loop: Header=BB2_4995 Depth=3
	s_and_not1_saveexec_b32 s14, s14
; %bb.5337:                             ;   in Loop: Header=BB2_4995 Depth=3
	s_delay_alu instid0(VALU_DEP_1)
	v_bfe_u32 v149, v163, 23, 1
; %bb.5338:                             ;   in Loop: Header=BB2_4995 Depth=3
	s_or_b32 exec_lo, exec_lo, s14
	v_lshrrev_b32_e32 v163, 21, v163
	s_delay_alu instid0(VALU_DEP_2) | instskip(SKIP_2) | instid1(VALU_DEP_2)
	v_cmp_gt_i32_e32 vcc_lo, 32, v149
	v_lshrrev_b32_e32 v162, 24, v162
	v_min_i32_e32 v164, 31, v149
	v_dual_cndmask_b32 v163, 3, v163 :: v_dual_and_b32 v162, 0x80, v162
	s_delay_alu instid0(VALU_DEP_1) | instskip(SKIP_1) | instid1(VALU_DEP_2)
	v_or_b32_e32 v149, v149, v163
	v_and_b32_e32 v165, 3, v163
	v_cmp_ne_u32_e32 vcc_lo, 0, v149
	v_lshlrev_b32_e32 v164, 2, v164
	s_delay_alu instid0(VALU_DEP_1) | instskip(NEXT) | instid1(VALU_DEP_1)
	v_or3_b32 v162, v164, v162, v165
	v_cndmask_b32_e32 v149, 0, v162, vcc_lo
.LBB2_5339:                             ;   in Loop: Header=BB2_4995 Depth=3
	s_or_b32 exec_lo, exec_lo, s31
.LBB2_5340:                             ;   in Loop: Header=BB2_4995 Depth=3
	s_delay_alu instid0(SALU_CYCLE_1) | instskip(SKIP_3) | instid1(VALU_DEP_1)
	s_or_b32 exec_lo, exec_lo, s30
	v_and_b32_e32 v163, 0xff, v147
	s_mov_b32 s14, 0
	s_mov_b32 s31, exec_lo
                                        ; implicit-def: $sgpr30
	v_cmpx_lt_i16_e64 0x7f, v163
	s_xor_b32 s31, exec_lo, s31
	s_cbranch_execnz .LBB2_5586
; %bb.5341:                             ;   in Loop: Header=BB2_4995 Depth=3
	s_or_saveexec_b32 s31, s31
	v_mov_b32_e32 v162, s30
	s_xor_b32 exec_lo, exec_lo, s31
	s_cbranch_execnz .LBB2_5589
.LBB2_5342:                             ;   in Loop: Header=BB2_4995 Depth=3
	s_or_b32 exec_lo, exec_lo, s31
	s_and_saveexec_b32 s30, s14
	s_cbranch_execz .LBB2_5344
.LBB2_5343:                             ;   in Loop: Header=BB2_4995 Depth=3
	v_and_b32_e32 v162, 3, v147
	v_bfe_u32 v165, v147, 2, 5
	s_delay_alu instid0(VALU_DEP_2) | instskip(NEXT) | instid1(VALU_DEP_2)
	v_clz_i32_u32_e32 v163, v162
	v_cmp_eq_u32_e32 vcc_lo, 0, v165
	s_delay_alu instid0(VALU_DEP_2) | instskip(NEXT) | instid1(VALU_DEP_1)
	v_min_u32_e32 v163, 32, v163
	v_subrev_nc_u32_e32 v164, 29, v163
	v_sub_nc_u32_e32 v163, 30, v163
	s_delay_alu instid0(VALU_DEP_2) | instskip(NEXT) | instid1(VALU_DEP_1)
	v_lshlrev_b32_e32 v164, v164, v147
	v_dual_cndmask_b32 v163, v165, v163 :: v_dual_and_b32 v164, 3, v164
	v_lshlrev_b32_e32 v147, 24, v147
	s_delay_alu instid0(VALU_DEP_2) | instskip(NEXT) | instid1(VALU_DEP_2)
	v_lshl_add_u32 v163, v163, 23, 0x37800000
	v_dual_cndmask_b32 v162, v162, v164 :: v_dual_and_b32 v147, 0x80000000, v147
	s_delay_alu instid0(VALU_DEP_1) | instskip(NEXT) | instid1(VALU_DEP_1)
	v_lshlrev_b32_e32 v162, 21, v162
	v_or3_b32 v162, v147, v163, v162
.LBB2_5344:                             ;   in Loop: Header=BB2_4995 Depth=3
	s_or_b32 exec_lo, exec_lo, s30
	v_lshrrev_b16 v147, 8, v10
	s_mov_b32 s14, 0
	s_mov_b32 s31, exec_lo
                                        ; implicit-def: $sgpr30
	s_delay_alu instid0(VALU_DEP_1)
	v_cmpx_lt_i16_e64 0x7f, v147
	s_xor_b32 s31, exec_lo, s31
	s_cbranch_execnz .LBB2_5590
; %bb.5345:                             ;   in Loop: Header=BB2_4995 Depth=3
	s_or_saveexec_b32 s31, s31
	v_mov_b32_e32 v163, s30
	s_xor_b32 exec_lo, exec_lo, s31
	s_cbranch_execnz .LBB2_5593
.LBB2_5346:                             ;   in Loop: Header=BB2_4995 Depth=3
	s_or_b32 exec_lo, exec_lo, s31
	s_and_saveexec_b32 s30, s14
	s_cbranch_execz .LBB2_5348
.LBB2_5347:                             ;   in Loop: Header=BB2_4995 Depth=3
	v_and_b32_e32 v163, 0xffff, v147
	v_lshlrev_b32_e32 v147, 24, v147
	s_delay_alu instid0(VALU_DEP_2) | instskip(NEXT) | instid1(VALU_DEP_2)
	v_and_b32_e32 v164, 3, v163
	v_and_b32_e32 v147, 0x80000000, v147
	s_delay_alu instid0(VALU_DEP_2) | instskip(NEXT) | instid1(VALU_DEP_1)
	v_clz_i32_u32_e32 v165, v164
	v_min_u32_e32 v165, 32, v165
	s_delay_alu instid0(VALU_DEP_1) | instskip(SKIP_1) | instid1(VALU_DEP_2)
	v_subrev_nc_u32_e32 v166, 29, v165
	v_sub_nc_u32_e32 v165, 30, v165
	v_lshlrev_b32_e32 v166, v166, v163
	v_bfe_u32 v163, v163, 2, 5
	s_delay_alu instid0(VALU_DEP_2) | instskip(NEXT) | instid1(VALU_DEP_2)
	v_and_b32_e32 v166, 3, v166
	v_cmp_eq_u32_e32 vcc_lo, 0, v163
	s_delay_alu instid0(VALU_DEP_2) | instskip(NEXT) | instid1(VALU_DEP_1)
	v_dual_cndmask_b32 v163, v163, v165 :: v_dual_cndmask_b32 v164, v164, v166
	v_lshl_add_u32 v163, v163, 23, 0x37800000
	s_delay_alu instid0(VALU_DEP_2) | instskip(NEXT) | instid1(VALU_DEP_1)
	v_lshlrev_b32_e32 v164, 21, v164
	v_or3_b32 v163, v147, v163, v164
.LBB2_5348:                             ;   in Loop: Header=BB2_4995 Depth=3
	s_or_b32 exec_lo, exec_lo, s30
	s_delay_alu instid0(VALU_DEP_1) | instskip(NEXT) | instid1(VALU_DEP_1)
	v_add_f32_e32 v162, v162, v163
	v_and_b32_e32 v147, 0x7f800000, v162
	s_delay_alu instid0(VALU_DEP_1)
	v_cmp_ne_u32_e32 vcc_lo, 0x7f800000, v147
	v_mov_b32_e32 v147, 0x80
	s_and_saveexec_b32 s30, vcc_lo
	s_cbranch_execz .LBB2_5356
; %bb.5349:                             ;   in Loop: Header=BB2_4995 Depth=3
	v_mov_b32_e32 v147, 0
	s_mov_b32 s31, exec_lo
	v_cmpx_ne_u32_e32 0, v162
	s_cbranch_execz .LBB2_5355
; %bb.5350:                             ;   in Loop: Header=BB2_4995 Depth=3
	v_bfe_u32 v147, v162, 23, 8
	s_delay_alu instid0(VALU_DEP_1) | instskip(SKIP_1) | instid1(VALU_DEP_2)
	v_sub_nc_u32_e32 v164, 0x70, v147
	v_cmp_gt_u32_e32 vcc_lo, 0x71, v147
	v_dual_cndmask_b32 v164, 0, v164 :: v_dual_and_b32 v163, 0x7fffff, v162
	s_delay_alu instid0(VALU_DEP_1) | instskip(SKIP_2) | instid1(VALU_DEP_4)
	v_or_b32_e32 v165, 0x800000, v163
	v_cmp_eq_u32_e32 vcc_lo, 0, v147
	v_add_nc_u32_e32 v147, 0xffffff91, v147
	v_cndmask_b32_e64 v164, v164, 0x6f, vcc_lo
	s_delay_alu instid0(VALU_DEP_4) | instskip(NEXT) | instid1(VALU_DEP_3)
	v_cndmask_b32_e32 v163, v165, v163, vcc_lo
	v_cndmask_b32_e64 v147, v147, 0xffffff92, vcc_lo
	s_delay_alu instid0(VALU_DEP_3) | instskip(NEXT) | instid1(VALU_DEP_3)
	v_lshl_add_u32 v165, 0x200000, v164, -1
	v_lshrrev_b32_e32 v166, v164, v163
	v_lshlrev_b32_e64 v176, v164, 0x100000
	s_delay_alu instid0(VALU_DEP_4) | instskip(NEXT) | instid1(VALU_DEP_4)
	v_add_nc_u32_e32 v164, v164, v147
	v_and_b32_e32 v163, v165, v163
	s_delay_alu instid0(VALU_DEP_4) | instskip(NEXT) | instid1(VALU_DEP_2)
	v_bfe_u32 v167, v166, 21, 1
	v_cmp_eq_u32_e64 s14, v163, v176
	s_delay_alu instid0(VALU_DEP_2) | instskip(NEXT) | instid1(VALU_DEP_1)
	v_add_nc_u32_e32 v165, -1, v167
	v_cndmask_b32_e64 v163, 0, v165, s14
	v_lshrrev_b32_e32 v165, 23, v166
	s_mov_b32 s14, exec_lo
	s_delay_alu instid0(VALU_DEP_2) | instskip(NEXT) | instid1(VALU_DEP_2)
	v_add_nc_u32_e32 v163, v163, v166
	v_xor_b32_e32 v165, 1, v165
	s_delay_alu instid0(VALU_DEP_2) | instskip(NEXT) | instid1(VALU_DEP_1)
	v_and_b32_e32 v147, 0x1fffff, v163
	v_add_nc_u32_e32 v163, v147, v166
                                        ; implicit-def: $vgpr147
	s_delay_alu instid0(VALU_DEP_3)
	v_cmpx_ne_u32_e64 v164, v165
	s_xor_b32 s14, exec_lo, s14
; %bb.5351:                             ;   in Loop: Header=BB2_4995 Depth=3
	s_delay_alu instid0(VALU_DEP_2) | instskip(SKIP_2) | instid1(VALU_DEP_2)
	v_cmp_lt_u32_e32 vcc_lo, 0xffffff, v163
	v_sub_nc_u32_e32 v147, v164, v165
	v_cndmask_b32_e64 v164, 0, 1, vcc_lo
	v_add_co_ci_u32_e32 v147, vcc_lo, 0, v147, vcc_lo
	s_delay_alu instid0(VALU_DEP_2)
	v_lshrrev_b32_e32 v163, v164, v163
; %bb.5352:                             ;   in Loop: Header=BB2_4995 Depth=3
	s_and_not1_saveexec_b32 s14, s14
; %bb.5353:                             ;   in Loop: Header=BB2_4995 Depth=3
	s_delay_alu instid0(VALU_DEP_1)
	v_bfe_u32 v147, v163, 23, 1
; %bb.5354:                             ;   in Loop: Header=BB2_4995 Depth=3
	s_or_b32 exec_lo, exec_lo, s14
	v_lshrrev_b32_e32 v163, 21, v163
	s_delay_alu instid0(VALU_DEP_2) | instskip(SKIP_2) | instid1(VALU_DEP_2)
	v_cmp_gt_i32_e32 vcc_lo, 32, v147
	v_lshrrev_b32_e32 v162, 24, v162
	v_min_i32_e32 v164, 31, v147
	v_dual_cndmask_b32 v163, 3, v163 :: v_dual_and_b32 v162, 0x80, v162
	s_delay_alu instid0(VALU_DEP_1) | instskip(SKIP_1) | instid1(VALU_DEP_2)
	v_or_b32_e32 v147, v147, v163
	v_and_b32_e32 v165, 3, v163
	v_cmp_ne_u32_e32 vcc_lo, 0, v147
	v_lshlrev_b32_e32 v164, 2, v164
	s_delay_alu instid0(VALU_DEP_1) | instskip(NEXT) | instid1(VALU_DEP_1)
	v_or3_b32 v162, v164, v162, v165
	v_cndmask_b32_e32 v147, 0, v162, vcc_lo
.LBB2_5355:                             ;   in Loop: Header=BB2_4995 Depth=3
	s_or_b32 exec_lo, exec_lo, s31
.LBB2_5356:                             ;   in Loop: Header=BB2_4995 Depth=3
	s_delay_alu instid0(SALU_CYCLE_1) | instskip(SKIP_3) | instid1(VALU_DEP_1)
	s_or_b32 exec_lo, exec_lo, s30
	v_and_b32_e32 v163, 0xff, v146
	s_mov_b32 s14, 0
	s_mov_b32 s31, exec_lo
                                        ; implicit-def: $sgpr30
	v_cmpx_lt_i16_e64 0x7f, v163
	s_xor_b32 s31, exec_lo, s31
	s_cbranch_execnz .LBB2_5594
; %bb.5357:                             ;   in Loop: Header=BB2_4995 Depth=3
	s_or_saveexec_b32 s31, s31
	v_mov_b32_e32 v162, s30
	s_xor_b32 exec_lo, exec_lo, s31
	s_cbranch_execnz .LBB2_5597
.LBB2_5358:                             ;   in Loop: Header=BB2_4995 Depth=3
	s_or_b32 exec_lo, exec_lo, s31
	s_and_saveexec_b32 s30, s14
	s_cbranch_execz .LBB2_5360
.LBB2_5359:                             ;   in Loop: Header=BB2_4995 Depth=3
	v_bfe_u32 v165, v146, 2, 5
	s_delay_alu instid0(VALU_DEP_1) | instskip(SKIP_1) | instid1(VALU_DEP_1)
	v_cmp_eq_u32_e32 vcc_lo, 0, v165
	v_and_b32_e32 v162, 3, v146
	v_clz_i32_u32_e32 v163, v162
	s_delay_alu instid0(VALU_DEP_1) | instskip(NEXT) | instid1(VALU_DEP_1)
	v_min_u32_e32 v163, 32, v163
	v_subrev_nc_u32_e32 v164, 29, v163
	v_sub_nc_u32_e32 v163, 30, v163
	s_delay_alu instid0(VALU_DEP_1) | instskip(SKIP_1) | instid1(VALU_DEP_2)
	v_dual_cndmask_b32 v163, v165, v163 :: v_dual_lshlrev_b32 v164, v164, v146
	v_lshlrev_b32_e32 v146, 24, v146
	v_and_b32_e32 v164, 3, v164
	s_delay_alu instid0(VALU_DEP_3) | instskip(NEXT) | instid1(VALU_DEP_3)
	v_lshl_add_u32 v163, v163, 23, 0x37800000
	v_and_b32_e32 v146, 0x80000000, v146
	s_delay_alu instid0(VALU_DEP_3) | instskip(NEXT) | instid1(VALU_DEP_1)
	v_cndmask_b32_e32 v162, v162, v164, vcc_lo
	v_lshlrev_b32_e32 v162, 21, v162
	s_delay_alu instid0(VALU_DEP_1)
	v_or3_b32 v162, v146, v163, v162
.LBB2_5360:                             ;   in Loop: Header=BB2_4995 Depth=3
	s_or_b32 exec_lo, exec_lo, s30
	v_lshrrev_b32_e32 v146, 16, v10
	s_mov_b32 s14, 0
	s_mov_b32 s31, exec_lo
                                        ; implicit-def: $sgpr30
	s_delay_alu instid0(VALU_DEP_1) | instskip(NEXT) | instid1(VALU_DEP_1)
	v_and_b32_e32 v164, 0xff, v146
	v_cmpx_lt_i16_e64 0x7f, v164
	s_xor_b32 s31, exec_lo, s31
	s_cbranch_execnz .LBB2_5598
; %bb.5361:                             ;   in Loop: Header=BB2_4995 Depth=3
	s_or_saveexec_b32 s31, s31
	v_mov_b32_e32 v163, s30
	s_xor_b32 exec_lo, exec_lo, s31
	s_cbranch_execnz .LBB2_5601
.LBB2_5362:                             ;   in Loop: Header=BB2_4995 Depth=3
	s_or_b32 exec_lo, exec_lo, s31
	s_and_saveexec_b32 s30, s14
	s_cbranch_execz .LBB2_5364
.LBB2_5363:                             ;   in Loop: Header=BB2_4995 Depth=3
	v_bfe_u32 v163, v10, 16, 2
	v_lshlrev_b32_e32 v166, 8, v10
	s_delay_alu instid0(VALU_DEP_2) | instskip(NEXT) | instid1(VALU_DEP_1)
	v_clz_i32_u32_e32 v164, v163
	v_min_u32_e32 v164, 32, v164
	s_delay_alu instid0(VALU_DEP_1) | instskip(SKIP_1) | instid1(VALU_DEP_2)
	v_subrev_nc_u32_e32 v165, 29, v164
	v_sub_nc_u32_e32 v164, 30, v164
	v_lshlrev_b32_e32 v146, v165, v146
	v_bfe_u32 v165, v10, 18, 5
	s_delay_alu instid0(VALU_DEP_2) | instskip(NEXT) | instid1(VALU_DEP_2)
	v_and_b32_e32 v146, 3, v146
	v_cmp_eq_u32_e32 vcc_lo, 0, v165
	v_cndmask_b32_e32 v164, v165, v164, vcc_lo
	s_delay_alu instid0(VALU_DEP_3) | instskip(SKIP_1) | instid1(VALU_DEP_3)
	v_cndmask_b32_e32 v146, v163, v146, vcc_lo
	v_and_b32_e32 v163, 0x80000000, v166
	v_lshl_add_u32 v164, v164, 23, 0x37800000
	s_delay_alu instid0(VALU_DEP_3) | instskip(NEXT) | instid1(VALU_DEP_1)
	v_lshlrev_b32_e32 v146, 21, v146
	v_or3_b32 v163, v163, v164, v146
.LBB2_5364:                             ;   in Loop: Header=BB2_4995 Depth=3
	s_or_b32 exec_lo, exec_lo, s30
	s_delay_alu instid0(VALU_DEP_1) | instskip(NEXT) | instid1(VALU_DEP_1)
	v_add_f32_e32 v162, v162, v163
	v_and_b32_e32 v146, 0x7f800000, v162
	s_delay_alu instid0(VALU_DEP_1)
	v_cmp_ne_u32_e32 vcc_lo, 0x7f800000, v146
	v_mov_b32_e32 v146, 0x80
	s_and_saveexec_b32 s30, vcc_lo
	s_cbranch_execz .LBB2_5372
; %bb.5365:                             ;   in Loop: Header=BB2_4995 Depth=3
	v_mov_b32_e32 v146, 0
	s_mov_b32 s31, exec_lo
	v_cmpx_ne_u32_e32 0, v162
	s_cbranch_execz .LBB2_5371
; %bb.5366:                             ;   in Loop: Header=BB2_4995 Depth=3
	v_bfe_u32 v146, v162, 23, 8
	s_delay_alu instid0(VALU_DEP_1) | instskip(SKIP_1) | instid1(VALU_DEP_2)
	v_sub_nc_u32_e32 v164, 0x70, v146
	v_cmp_gt_u32_e32 vcc_lo, 0x71, v146
	v_dual_cndmask_b32 v164, 0, v164 :: v_dual_and_b32 v163, 0x7fffff, v162
	s_delay_alu instid0(VALU_DEP_1) | instskip(SKIP_2) | instid1(VALU_DEP_4)
	v_or_b32_e32 v165, 0x800000, v163
	v_cmp_eq_u32_e32 vcc_lo, 0, v146
	v_add_nc_u32_e32 v146, 0xffffff91, v146
	v_cndmask_b32_e64 v164, v164, 0x6f, vcc_lo
	s_delay_alu instid0(VALU_DEP_4) | instskip(NEXT) | instid1(VALU_DEP_3)
	v_cndmask_b32_e32 v163, v165, v163, vcc_lo
	v_cndmask_b32_e64 v146, v146, 0xffffff92, vcc_lo
	s_delay_alu instid0(VALU_DEP_3) | instskip(NEXT) | instid1(VALU_DEP_3)
	v_lshl_add_u32 v165, 0x200000, v164, -1
	v_lshrrev_b32_e32 v166, v164, v163
	v_lshlrev_b32_e64 v176, v164, 0x100000
	s_delay_alu instid0(VALU_DEP_4) | instskip(NEXT) | instid1(VALU_DEP_4)
	v_add_nc_u32_e32 v164, v164, v146
	v_and_b32_e32 v163, v165, v163
	s_delay_alu instid0(VALU_DEP_4) | instskip(NEXT) | instid1(VALU_DEP_2)
	v_bfe_u32 v167, v166, 21, 1
	v_cmp_eq_u32_e64 s14, v163, v176
	s_delay_alu instid0(VALU_DEP_2) | instskip(NEXT) | instid1(VALU_DEP_1)
	v_add_nc_u32_e32 v165, -1, v167
	v_cndmask_b32_e64 v163, 0, v165, s14
	v_lshrrev_b32_e32 v165, 23, v166
	s_mov_b32 s14, exec_lo
	s_delay_alu instid0(VALU_DEP_2) | instskip(NEXT) | instid1(VALU_DEP_2)
	v_add_nc_u32_e32 v163, v163, v166
	v_xor_b32_e32 v165, 1, v165
	s_delay_alu instid0(VALU_DEP_2) | instskip(NEXT) | instid1(VALU_DEP_1)
	v_and_b32_e32 v146, 0x1fffff, v163
	v_add_nc_u32_e32 v163, v146, v166
                                        ; implicit-def: $vgpr146
	s_delay_alu instid0(VALU_DEP_3)
	v_cmpx_ne_u32_e64 v164, v165
	s_xor_b32 s14, exec_lo, s14
; %bb.5367:                             ;   in Loop: Header=BB2_4995 Depth=3
	s_delay_alu instid0(VALU_DEP_2) | instskip(SKIP_2) | instid1(VALU_DEP_2)
	v_cmp_lt_u32_e32 vcc_lo, 0xffffff, v163
	v_sub_nc_u32_e32 v146, v164, v165
	v_cndmask_b32_e64 v164, 0, 1, vcc_lo
	v_add_co_ci_u32_e32 v146, vcc_lo, 0, v146, vcc_lo
	s_delay_alu instid0(VALU_DEP_2)
	v_lshrrev_b32_e32 v163, v164, v163
; %bb.5368:                             ;   in Loop: Header=BB2_4995 Depth=3
	s_and_not1_saveexec_b32 s14, s14
; %bb.5369:                             ;   in Loop: Header=BB2_4995 Depth=3
	s_delay_alu instid0(VALU_DEP_1)
	v_bfe_u32 v146, v163, 23, 1
; %bb.5370:                             ;   in Loop: Header=BB2_4995 Depth=3
	s_or_b32 exec_lo, exec_lo, s14
	v_lshrrev_b32_e32 v163, 21, v163
	s_delay_alu instid0(VALU_DEP_2) | instskip(SKIP_2) | instid1(VALU_DEP_2)
	v_cmp_gt_i32_e32 vcc_lo, 32, v146
	v_lshrrev_b32_e32 v162, 24, v162
	v_min_i32_e32 v164, 31, v146
	v_dual_cndmask_b32 v163, 3, v163 :: v_dual_and_b32 v162, 0x80, v162
	s_delay_alu instid0(VALU_DEP_2) | instskip(NEXT) | instid1(VALU_DEP_2)
	v_lshlrev_b32_e32 v164, 2, v164
	v_or_b32_e32 v146, v146, v163
	s_delay_alu instid0(VALU_DEP_1) | instskip(SKIP_1) | instid1(VALU_DEP_1)
	v_cmp_ne_u32_e32 vcc_lo, 0, v146
	v_and_b32_e32 v165, 3, v163
	v_or3_b32 v162, v164, v162, v165
	s_delay_alu instid0(VALU_DEP_1)
	v_cndmask_b32_e32 v146, 0, v162, vcc_lo
.LBB2_5371:                             ;   in Loop: Header=BB2_4995 Depth=3
	s_or_b32 exec_lo, exec_lo, s31
.LBB2_5372:                             ;   in Loop: Header=BB2_4995 Depth=3
	s_delay_alu instid0(SALU_CYCLE_1) | instskip(SKIP_3) | instid1(VALU_DEP_1)
	s_or_b32 exec_lo, exec_lo, s30
	v_and_b32_e32 v163, 0xff, v135
	s_mov_b32 s14, 0
	s_mov_b32 s31, exec_lo
                                        ; implicit-def: $sgpr30
	v_cmpx_lt_i16_e64 0x7f, v163
	s_xor_b32 s31, exec_lo, s31
	s_cbranch_execnz .LBB2_5602
; %bb.5373:                             ;   in Loop: Header=BB2_4995 Depth=3
	s_or_saveexec_b32 s31, s31
	v_mov_b32_e32 v162, s30
	s_xor_b32 exec_lo, exec_lo, s31
	s_cbranch_execnz .LBB2_5605
.LBB2_5374:                             ;   in Loop: Header=BB2_4995 Depth=3
	s_or_b32 exec_lo, exec_lo, s31
	s_and_saveexec_b32 s30, s14
	s_cbranch_execz .LBB2_5376
.LBB2_5375:                             ;   in Loop: Header=BB2_4995 Depth=3
	v_lshlrev_b32_e32 v135, 8, v135
	s_delay_alu instid0(VALU_DEP_1) | instskip(SKIP_1) | instid1(VALU_DEP_2)
	v_and_b32_e32 v162, 0xff00, v135
	v_bfe_u32 v135, v135, 10, 5
	v_bfe_u32 v164, v162, 8, 2
	s_delay_alu instid0(VALU_DEP_2) | instskip(NEXT) | instid1(VALU_DEP_2)
	v_cmp_eq_u32_e32 vcc_lo, 0, v135
	v_clz_i32_u32_e32 v165, v164
	s_delay_alu instid0(VALU_DEP_1) | instskip(NEXT) | instid1(VALU_DEP_1)
	v_min_u32_e32 v165, 32, v165
	v_subrev_nc_u32_e32 v166, 29, v165
	v_sub_nc_u32_e32 v165, 30, v165
	s_delay_alu instid0(VALU_DEP_2) | instskip(NEXT) | instid1(VALU_DEP_2)
	v_lshlrev_b32_e32 v163, v166, v163
	v_cndmask_b32_e32 v135, v135, v165, vcc_lo
	s_delay_alu instid0(VALU_DEP_2) | instskip(SKIP_1) | instid1(VALU_DEP_3)
	v_and_b32_e32 v163, 3, v163
	v_lshlrev_b32_e32 v162, 16, v162
	v_lshl_add_u32 v135, v135, 23, 0x37800000
	s_delay_alu instid0(VALU_DEP_2) | instskip(NEXT) | instid1(VALU_DEP_1)
	v_dual_cndmask_b32 v163, v164, v163 :: v_dual_and_b32 v162, 0x80000000, v162
	v_lshlrev_b32_e32 v163, 21, v163
	s_delay_alu instid0(VALU_DEP_1)
	v_or3_b32 v162, v162, v135, v163
.LBB2_5376:                             ;   in Loop: Header=BB2_4995 Depth=3
	s_or_b32 exec_lo, exec_lo, s30
	v_lshrrev_b32_e32 v135, 24, v10
	s_mov_b32 s14, 0
	s_mov_b32 s31, exec_lo
                                        ; implicit-def: $sgpr30
	s_delay_alu instid0(VALU_DEP_1)
	v_cmpx_lt_i16_e64 0x7f, v135
	s_xor_b32 s31, exec_lo, s31
	s_cbranch_execnz .LBB2_5606
; %bb.5377:                             ;   in Loop: Header=BB2_4995 Depth=3
	s_or_saveexec_b32 s31, s31
	v_mov_b32_e32 v163, s30
	s_xor_b32 exec_lo, exec_lo, s31
	s_cbranch_execnz .LBB2_5609
.LBB2_5378:                             ;   in Loop: Header=BB2_4995 Depth=3
	s_or_b32 exec_lo, exec_lo, s31
	s_and_saveexec_b32 s30, s14
	s_cbranch_execz .LBB2_5380
.LBB2_5379:                             ;   in Loop: Header=BB2_4995 Depth=3
	v_bfe_u32 v163, v10, 24, 2
	s_delay_alu instid0(VALU_DEP_1) | instskip(NEXT) | instid1(VALU_DEP_1)
	v_clz_i32_u32_e32 v164, v163
	v_min_u32_e32 v164, 32, v164
	s_delay_alu instid0(VALU_DEP_1) | instskip(SKIP_1) | instid1(VALU_DEP_2)
	v_subrev_nc_u32_e32 v165, 29, v164
	v_sub_nc_u32_e32 v164, 30, v164
	v_lshlrev_b32_e32 v135, v165, v135
	v_bfe_u32 v165, v10, 26, 5
	v_and_b32_e32 v10, 0x80000000, v10
	s_delay_alu instid0(VALU_DEP_2) | instskip(NEXT) | instid1(VALU_DEP_4)
	v_cmp_eq_u32_e32 vcc_lo, 0, v165
	v_dual_cndmask_b32 v164, v165, v164 :: v_dual_and_b32 v135, 3, v135
	s_delay_alu instid0(VALU_DEP_1) | instskip(NEXT) | instid1(VALU_DEP_2)
	v_cndmask_b32_e32 v135, v163, v135, vcc_lo
	v_lshl_add_u32 v163, v164, 23, 0x37800000
	s_delay_alu instid0(VALU_DEP_2) | instskip(NEXT) | instid1(VALU_DEP_1)
	v_lshlrev_b32_e32 v135, 21, v135
	v_or3_b32 v163, v10, v163, v135
.LBB2_5380:                             ;   in Loop: Header=BB2_4995 Depth=3
	s_or_b32 exec_lo, exec_lo, s30
	s_delay_alu instid0(VALU_DEP_1) | instskip(NEXT) | instid1(VALU_DEP_1)
	v_add_f32_e32 v135, v162, v163
	v_and_b32_e32 v10, 0x7f800000, v135
	s_delay_alu instid0(VALU_DEP_1)
	v_cmp_ne_u32_e32 vcc_lo, 0x7f800000, v10
	v_mov_b32_e32 v10, 0x80
	s_and_saveexec_b32 s30, vcc_lo
	s_cbranch_execz .LBB2_5388
; %bb.5381:                             ;   in Loop: Header=BB2_4995 Depth=3
	v_mov_b32_e32 v10, 0
	s_mov_b32 s31, exec_lo
	v_cmpx_ne_u32_e32 0, v135
	s_cbranch_execz .LBB2_5387
; %bb.5382:                             ;   in Loop: Header=BB2_4995 Depth=3
	v_bfe_u32 v10, v135, 23, 8
	v_and_b32_e32 v162, 0x7fffff, v135
	s_delay_alu instid0(VALU_DEP_2) | instskip(SKIP_1) | instid1(VALU_DEP_3)
	v_sub_nc_u32_e32 v163, 0x70, v10
	v_cmp_gt_u32_e32 vcc_lo, 0x71, v10
	v_or_b32_e32 v164, 0x800000, v162
	s_delay_alu instid0(VALU_DEP_3) | instskip(SKIP_2) | instid1(VALU_DEP_4)
	v_cndmask_b32_e32 v163, 0, v163, vcc_lo
	v_cmp_eq_u32_e32 vcc_lo, 0, v10
	v_add_nc_u32_e32 v10, 0xffffff91, v10
	v_cndmask_b32_e32 v162, v164, v162, vcc_lo
	s_delay_alu instid0(VALU_DEP_4) | instskip(NEXT) | instid1(VALU_DEP_3)
	v_cndmask_b32_e64 v163, v163, 0x6f, vcc_lo
	v_cndmask_b32_e64 v10, v10, 0xffffff92, vcc_lo
	s_delay_alu instid0(VALU_DEP_2) | instskip(SKIP_2) | instid1(VALU_DEP_4)
	v_lshrrev_b32_e32 v165, v163, v162
	v_lshl_add_u32 v164, 0x200000, v163, -1
	v_lshlrev_b32_e64 v167, v163, 0x100000
	v_add_nc_u32_e32 v163, v163, v10
	s_delay_alu instid0(VALU_DEP_4) | instskip(NEXT) | instid1(VALU_DEP_4)
	v_bfe_u32 v166, v165, 21, 1
	v_and_b32_e32 v162, v164, v162
	s_delay_alu instid0(VALU_DEP_2) | instskip(NEXT) | instid1(VALU_DEP_2)
	v_add_nc_u32_e32 v164, -1, v166
	v_cmp_eq_u32_e64 s14, v162, v167
	s_delay_alu instid0(VALU_DEP_1) | instskip(SKIP_2) | instid1(VALU_DEP_2)
	v_cndmask_b32_e64 v162, 0, v164, s14
	v_lshrrev_b32_e32 v164, 23, v165
	s_mov_b32 s14, exec_lo
	v_add_nc_u32_e32 v162, v162, v165
	s_delay_alu instid0(VALU_DEP_2) | instskip(NEXT) | instid1(VALU_DEP_2)
	v_xor_b32_e32 v164, 1, v164
	v_and_b32_e32 v10, 0x1fffff, v162
	s_delay_alu instid0(VALU_DEP_1) | instskip(NEXT) | instid1(VALU_DEP_3)
	v_add_nc_u32_e32 v162, v10, v165
                                        ; implicit-def: $vgpr10
	v_cmpx_ne_u32_e64 v163, v164
	s_xor_b32 s14, exec_lo, s14
; %bb.5383:                             ;   in Loop: Header=BB2_4995 Depth=3
	s_delay_alu instid0(VALU_DEP_2) | instskip(SKIP_2) | instid1(VALU_DEP_2)
	v_cmp_lt_u32_e32 vcc_lo, 0xffffff, v162
	v_sub_nc_u32_e32 v10, v163, v164
	v_cndmask_b32_e64 v163, 0, 1, vcc_lo
	v_add_co_ci_u32_e32 v10, vcc_lo, 0, v10, vcc_lo
	s_delay_alu instid0(VALU_DEP_2)
	v_lshrrev_b32_e32 v162, v163, v162
; %bb.5384:                             ;   in Loop: Header=BB2_4995 Depth=3
	s_and_not1_saveexec_b32 s14, s14
; %bb.5385:                             ;   in Loop: Header=BB2_4995 Depth=3
	s_delay_alu instid0(VALU_DEP_1)
	v_bfe_u32 v10, v162, 23, 1
; %bb.5386:                             ;   in Loop: Header=BB2_4995 Depth=3
	s_or_b32 exec_lo, exec_lo, s14
	v_lshrrev_b32_e32 v162, 21, v162
	s_delay_alu instid0(VALU_DEP_2) | instskip(SKIP_2) | instid1(VALU_DEP_2)
	v_cmp_gt_i32_e32 vcc_lo, 32, v10
	v_lshrrev_b32_e32 v135, 24, v135
	v_min_i32_e32 v163, 31, v10
	v_dual_cndmask_b32 v162, 3, v162 :: v_dual_and_b32 v135, 0x80, v135
	s_delay_alu instid0(VALU_DEP_2) | instskip(NEXT) | instid1(VALU_DEP_2)
	v_lshlrev_b32_e32 v163, 2, v163
	v_and_b32_e32 v164, 3, v162
	v_or_b32_e32 v10, v10, v162
	s_delay_alu instid0(VALU_DEP_2) | instskip(NEXT) | instid1(VALU_DEP_2)
	v_or3_b32 v135, v163, v135, v164
	v_cmp_ne_u32_e32 vcc_lo, 0, v10
	s_delay_alu instid0(VALU_DEP_2)
	v_cndmask_b32_e32 v10, 0, v135, vcc_lo
.LBB2_5387:                             ;   in Loop: Header=BB2_4995 Depth=3
	s_or_b32 exec_lo, exec_lo, s31
.LBB2_5388:                             ;   in Loop: Header=BB2_4995 Depth=3
	s_delay_alu instid0(SALU_CYCLE_1) | instskip(SKIP_3) | instid1(VALU_DEP_1)
	s_or_b32 exec_lo, exec_lo, s30
	v_or_b32_e32 v135, v148, v134
	s_mov_b32 s14, 0
	s_mov_b32 s31, exec_lo
                                        ; implicit-def: $sgpr30
	v_and_b32_e32 v148, 0xff, v135
	s_delay_alu instid0(VALU_DEP_1)
	v_cmpx_lt_i16_e64 0x7f, v148
	s_xor_b32 s31, exec_lo, s31
	s_cbranch_execnz .LBB2_5610
; %bb.5389:                             ;   in Loop: Header=BB2_4995 Depth=3
	s_or_saveexec_b32 s31, s31
	v_mov_b32_e32 v134, s30
	s_xor_b32 exec_lo, exec_lo, s31
	s_cbranch_execnz .LBB2_5613
.LBB2_5390:                             ;   in Loop: Header=BB2_4995 Depth=3
	s_or_b32 exec_lo, exec_lo, s31
	s_and_saveexec_b32 s30, s14
	s_cbranch_execz .LBB2_5392
.LBB2_5391:                             ;   in Loop: Header=BB2_4995 Depth=3
	v_and_b32_e32 v134, 3, v135
	v_bfe_u32 v163, v135, 2, 5
	v_lshlrev_b32_e32 v164, 24, v135
	s_delay_alu instid0(VALU_DEP_3) | instskip(NEXT) | instid1(VALU_DEP_3)
	v_clz_i32_u32_e32 v148, v134
	v_cmp_eq_u32_e32 vcc_lo, 0, v163
	s_delay_alu instid0(VALU_DEP_2) | instskip(NEXT) | instid1(VALU_DEP_1)
	v_min_u32_e32 v148, 32, v148
	v_subrev_nc_u32_e32 v162, 29, v148
	v_sub_nc_u32_e32 v148, 30, v148
	s_delay_alu instid0(VALU_DEP_2) | instskip(NEXT) | instid1(VALU_DEP_2)
	v_lshlrev_b32_e32 v162, v162, v135
	v_cndmask_b32_e32 v148, v163, v148, vcc_lo
	s_delay_alu instid0(VALU_DEP_2) | instskip(NEXT) | instid1(VALU_DEP_2)
	v_and_b32_e32 v162, 3, v162
	v_lshl_add_u32 v148, v148, 23, 0x37800000
	s_delay_alu instid0(VALU_DEP_2) | instskip(SKIP_1) | instid1(VALU_DEP_2)
	v_cndmask_b32_e32 v134, v134, v162, vcc_lo
	v_and_b32_e32 v162, 0x80000000, v164
	v_lshlrev_b32_e32 v134, 21, v134
	s_delay_alu instid0(VALU_DEP_1)
	v_or3_b32 v134, v162, v148, v134
.LBB2_5392:                             ;   in Loop: Header=BB2_4995 Depth=3
	s_or_b32 exec_lo, exec_lo, s30
	v_and_b32_e32 v162, 0xff, v11
	s_mov_b32 s14, 0
	s_mov_b32 s31, exec_lo
                                        ; implicit-def: $sgpr30
	s_delay_alu instid0(VALU_DEP_1)
	v_cmpx_lt_i16_e64 0x7f, v162
	s_xor_b32 s31, exec_lo, s31
	s_cbranch_execnz .LBB2_5614
; %bb.5393:                             ;   in Loop: Header=BB2_4995 Depth=3
	s_or_saveexec_b32 s31, s31
	v_mov_b32_e32 v148, s30
	s_xor_b32 exec_lo, exec_lo, s31
	s_cbranch_execnz .LBB2_5617
.LBB2_5394:                             ;   in Loop: Header=BB2_4995 Depth=3
	s_or_b32 exec_lo, exec_lo, s31
	s_and_saveexec_b32 s30, s14
	s_cbranch_execz .LBB2_5396
.LBB2_5395:                             ;   in Loop: Header=BB2_4995 Depth=3
	v_and_b32_e32 v148, 3, v11
	v_bfe_u32 v164, v11, 2, 5
	v_lshlrev_b32_e32 v165, 24, v11
	s_delay_alu instid0(VALU_DEP_3) | instskip(NEXT) | instid1(VALU_DEP_3)
	v_clz_i32_u32_e32 v162, v148
	v_cmp_eq_u32_e32 vcc_lo, 0, v164
	s_delay_alu instid0(VALU_DEP_2) | instskip(NEXT) | instid1(VALU_DEP_1)
	v_min_u32_e32 v162, 32, v162
	v_subrev_nc_u32_e32 v163, 29, v162
	v_sub_nc_u32_e32 v162, 30, v162
	s_delay_alu instid0(VALU_DEP_1) | instskip(NEXT) | instid1(VALU_DEP_1)
	v_dual_cndmask_b32 v162, v164, v162 :: v_dual_lshlrev_b32 v163, v163, v11
	v_and_b32_e32 v163, 3, v163
	s_delay_alu instid0(VALU_DEP_2) | instskip(NEXT) | instid1(VALU_DEP_2)
	v_lshl_add_u32 v162, v162, 23, 0x37800000
	v_dual_cndmask_b32 v148, v148, v163 :: v_dual_and_b32 v163, 0x80000000, v165
	s_delay_alu instid0(VALU_DEP_1) | instskip(NEXT) | instid1(VALU_DEP_1)
	v_lshlrev_b32_e32 v148, 21, v148
	v_or3_b32 v148, v163, v162, v148
.LBB2_5396:                             ;   in Loop: Header=BB2_4995 Depth=3
	s_or_b32 exec_lo, exec_lo, s30
	s_delay_alu instid0(VALU_DEP_1) | instskip(NEXT) | instid1(VALU_DEP_1)
	v_add_f32_e32 v148, v134, v148
	v_and_b32_e32 v134, 0x7f800000, v148
	s_delay_alu instid0(VALU_DEP_1)
	v_cmp_ne_u32_e32 vcc_lo, 0x7f800000, v134
	v_mov_b32_e32 v134, 0x80
	s_and_saveexec_b32 s30, vcc_lo
	s_cbranch_execz .LBB2_5404
; %bb.5397:                             ;   in Loop: Header=BB2_4995 Depth=3
	v_mov_b32_e32 v134, 0
	s_mov_b32 s31, exec_lo
	v_cmpx_ne_u32_e32 0, v148
	s_cbranch_execz .LBB2_5403
; %bb.5398:                             ;   in Loop: Header=BB2_4995 Depth=3
	v_bfe_u32 v134, v148, 23, 8
	s_delay_alu instid0(VALU_DEP_1) | instskip(SKIP_1) | instid1(VALU_DEP_2)
	v_sub_nc_u32_e32 v163, 0x70, v134
	v_cmp_gt_u32_e32 vcc_lo, 0x71, v134
	v_dual_cndmask_b32 v163, 0, v163 :: v_dual_and_b32 v162, 0x7fffff, v148
	s_delay_alu instid0(VALU_DEP_1) | instskip(SKIP_2) | instid1(VALU_DEP_4)
	v_or_b32_e32 v164, 0x800000, v162
	v_cmp_eq_u32_e32 vcc_lo, 0, v134
	v_add_nc_u32_e32 v134, 0xffffff91, v134
	v_cndmask_b32_e64 v163, v163, 0x6f, vcc_lo
	s_delay_alu instid0(VALU_DEP_4) | instskip(NEXT) | instid1(VALU_DEP_3)
	v_cndmask_b32_e32 v162, v164, v162, vcc_lo
	v_cndmask_b32_e64 v134, v134, 0xffffff92, vcc_lo
	s_delay_alu instid0(VALU_DEP_3) | instskip(NEXT) | instid1(VALU_DEP_3)
	v_lshl_add_u32 v164, 0x200000, v163, -1
	v_lshrrev_b32_e32 v165, v163, v162
	v_lshlrev_b32_e64 v167, v163, 0x100000
	s_delay_alu instid0(VALU_DEP_4) | instskip(NEXT) | instid1(VALU_DEP_4)
	v_add_nc_u32_e32 v163, v163, v134
	v_and_b32_e32 v162, v164, v162
	s_delay_alu instid0(VALU_DEP_4) | instskip(NEXT) | instid1(VALU_DEP_2)
	v_bfe_u32 v166, v165, 21, 1
	v_cmp_eq_u32_e64 s14, v162, v167
	s_delay_alu instid0(VALU_DEP_2) | instskip(NEXT) | instid1(VALU_DEP_1)
	v_add_nc_u32_e32 v164, -1, v166
	v_cndmask_b32_e64 v162, 0, v164, s14
	v_lshrrev_b32_e32 v164, 23, v165
	s_mov_b32 s14, exec_lo
	s_delay_alu instid0(VALU_DEP_2) | instskip(NEXT) | instid1(VALU_DEP_2)
	v_add_nc_u32_e32 v162, v162, v165
	v_xor_b32_e32 v164, 1, v164
	s_delay_alu instid0(VALU_DEP_2) | instskip(NEXT) | instid1(VALU_DEP_1)
	v_and_b32_e32 v134, 0x1fffff, v162
	v_add_nc_u32_e32 v162, v134, v165
                                        ; implicit-def: $vgpr134
	s_delay_alu instid0(VALU_DEP_3)
	v_cmpx_ne_u32_e64 v163, v164
	s_xor_b32 s14, exec_lo, s14
; %bb.5399:                             ;   in Loop: Header=BB2_4995 Depth=3
	s_delay_alu instid0(VALU_DEP_2) | instskip(SKIP_2) | instid1(VALU_DEP_2)
	v_cmp_lt_u32_e32 vcc_lo, 0xffffff, v162
	v_sub_nc_u32_e32 v134, v163, v164
	v_cndmask_b32_e64 v163, 0, 1, vcc_lo
	v_add_co_ci_u32_e32 v134, vcc_lo, 0, v134, vcc_lo
	s_delay_alu instid0(VALU_DEP_2)
	v_lshrrev_b32_e32 v162, v163, v162
; %bb.5400:                             ;   in Loop: Header=BB2_4995 Depth=3
	s_and_not1_saveexec_b32 s14, s14
; %bb.5401:                             ;   in Loop: Header=BB2_4995 Depth=3
	s_delay_alu instid0(VALU_DEP_1)
	v_bfe_u32 v134, v162, 23, 1
; %bb.5402:                             ;   in Loop: Header=BB2_4995 Depth=3
	s_or_b32 exec_lo, exec_lo, s14
	v_lshrrev_b32_e32 v162, 21, v162
	s_delay_alu instid0(VALU_DEP_2) | instskip(SKIP_2) | instid1(VALU_DEP_4)
	v_cmp_gt_i32_e32 vcc_lo, 32, v134
	v_lshrrev_b32_e32 v148, 24, v148
	v_min_i32_e32 v163, 31, v134
	v_cndmask_b32_e32 v162, 3, v162, vcc_lo
	s_delay_alu instid0(VALU_DEP_3) | instskip(NEXT) | instid1(VALU_DEP_3)
	v_and_b32_e32 v148, 0x80, v148
	v_lshlrev_b32_e32 v163, 2, v163
	s_delay_alu instid0(VALU_DEP_3) | instskip(SKIP_1) | instid1(VALU_DEP_2)
	v_and_b32_e32 v164, 3, v162
	v_or_b32_e32 v134, v134, v162
	v_or3_b32 v148, v163, v148, v164
	s_delay_alu instid0(VALU_DEP_2) | instskip(NEXT) | instid1(VALU_DEP_2)
	v_cmp_ne_u32_e32 vcc_lo, 0, v134
	v_cndmask_b32_e32 v134, 0, v148, vcc_lo
.LBB2_5403:                             ;   in Loop: Header=BB2_4995 Depth=3
	s_or_b32 exec_lo, exec_lo, s31
.LBB2_5404:                             ;   in Loop: Header=BB2_4995 Depth=3
	s_delay_alu instid0(SALU_CYCLE_1) | instskip(SKIP_3) | instid1(VALU_DEP_1)
	s_or_b32 exec_lo, exec_lo, s30
	v_lshrrev_b16 v162, 8, v135
	s_mov_b32 s14, 0
	s_mov_b32 s31, exec_lo
                                        ; implicit-def: $sgpr30
	v_cmpx_lt_i16_e64 0x7f, v162
	s_xor_b32 s31, exec_lo, s31
	s_cbranch_execnz .LBB2_5618
; %bb.5405:                             ;   in Loop: Header=BB2_4995 Depth=3
	s_or_saveexec_b32 s31, s31
	v_mov_b32_e32 v148, s30
	s_xor_b32 exec_lo, exec_lo, s31
	s_cbranch_execnz .LBB2_5621
.LBB2_5406:                             ;   in Loop: Header=BB2_4995 Depth=3
	s_or_b32 exec_lo, exec_lo, s31
	s_and_saveexec_b32 s30, s14
	s_cbranch_execz .LBB2_5408
.LBB2_5407:                             ;   in Loop: Header=BB2_4995 Depth=3
	v_and_b32_e32 v148, 0xffff, v162
	v_lshlrev_b32_e32 v162, 24, v162
	s_delay_alu instid0(VALU_DEP_2) | instskip(NEXT) | instid1(VALU_DEP_2)
	v_and_b32_e32 v163, 3, v148
	v_and_b32_e32 v162, 0x80000000, v162
	s_delay_alu instid0(VALU_DEP_2) | instskip(NEXT) | instid1(VALU_DEP_1)
	v_clz_i32_u32_e32 v164, v163
	v_min_u32_e32 v164, 32, v164
	s_delay_alu instid0(VALU_DEP_1) | instskip(SKIP_1) | instid1(VALU_DEP_2)
	v_subrev_nc_u32_e32 v165, 29, v164
	v_sub_nc_u32_e32 v164, 30, v164
	v_lshlrev_b32_e32 v165, v165, v148
	v_bfe_u32 v148, v148, 2, 5
	s_delay_alu instid0(VALU_DEP_1) | instskip(NEXT) | instid1(VALU_DEP_3)
	v_cmp_eq_u32_e32 vcc_lo, 0, v148
	v_dual_cndmask_b32 v148, v148, v164 :: v_dual_and_b32 v165, 3, v165
	s_delay_alu instid0(VALU_DEP_1) | instskip(NEXT) | instid1(VALU_DEP_2)
	v_cndmask_b32_e32 v163, v163, v165, vcc_lo
	v_lshl_add_u32 v148, v148, 23, 0x37800000
	s_delay_alu instid0(VALU_DEP_2) | instskip(NEXT) | instid1(VALU_DEP_1)
	v_lshlrev_b32_e32 v163, 21, v163
	v_or3_b32 v148, v162, v148, v163
.LBB2_5408:                             ;   in Loop: Header=BB2_4995 Depth=3
	s_or_b32 exec_lo, exec_lo, s30
	v_lshrrev_b16 v162, 8, v11
	s_mov_b32 s14, 0
	s_mov_b32 s31, exec_lo
                                        ; implicit-def: $sgpr30
	s_delay_alu instid0(VALU_DEP_1)
	v_cmpx_lt_i16_e64 0x7f, v162
	s_xor_b32 s31, exec_lo, s31
	s_cbranch_execnz .LBB2_5622
; %bb.5409:                             ;   in Loop: Header=BB2_4995 Depth=3
	s_or_saveexec_b32 s31, s31
	v_mov_b32_e32 v163, s30
	s_xor_b32 exec_lo, exec_lo, s31
	s_cbranch_execnz .LBB2_5625
.LBB2_5410:                             ;   in Loop: Header=BB2_4995 Depth=3
	s_or_b32 exec_lo, exec_lo, s31
	s_and_saveexec_b32 s30, s14
	s_cbranch_execz .LBB2_5412
.LBB2_5411:                             ;   in Loop: Header=BB2_4995 Depth=3
	v_and_b32_e32 v163, 0xffff, v162
	v_lshlrev_b32_e32 v162, 24, v162
	s_delay_alu instid0(VALU_DEP_2) | instskip(NEXT) | instid1(VALU_DEP_2)
	v_and_b32_e32 v164, 3, v163
	v_and_b32_e32 v162, 0x80000000, v162
	s_delay_alu instid0(VALU_DEP_2) | instskip(NEXT) | instid1(VALU_DEP_1)
	v_clz_i32_u32_e32 v165, v164
	v_min_u32_e32 v165, 32, v165
	s_delay_alu instid0(VALU_DEP_1) | instskip(SKIP_1) | instid1(VALU_DEP_2)
	v_subrev_nc_u32_e32 v166, 29, v165
	v_sub_nc_u32_e32 v165, 30, v165
	v_lshlrev_b32_e32 v166, v166, v163
	v_bfe_u32 v163, v163, 2, 5
	s_delay_alu instid0(VALU_DEP_2) | instskip(NEXT) | instid1(VALU_DEP_2)
	v_and_b32_e32 v166, 3, v166
	v_cmp_eq_u32_e32 vcc_lo, 0, v163
	s_delay_alu instid0(VALU_DEP_2) | instskip(NEXT) | instid1(VALU_DEP_1)
	v_dual_cndmask_b32 v163, v163, v165 :: v_dual_cndmask_b32 v164, v164, v166
	v_lshl_add_u32 v163, v163, 23, 0x37800000
	s_delay_alu instid0(VALU_DEP_2) | instskip(NEXT) | instid1(VALU_DEP_1)
	v_lshlrev_b32_e32 v164, 21, v164
	v_or3_b32 v163, v162, v163, v164
.LBB2_5412:                             ;   in Loop: Header=BB2_4995 Depth=3
	s_or_b32 exec_lo, exec_lo, s30
	s_delay_alu instid0(VALU_DEP_1) | instskip(NEXT) | instid1(VALU_DEP_1)
	v_add_f32_e32 v162, v148, v163
	v_and_b32_e32 v148, 0x7f800000, v162
	s_delay_alu instid0(VALU_DEP_1)
	v_cmp_ne_u32_e32 vcc_lo, 0x7f800000, v148
	v_mov_b32_e32 v148, 0x8000
	s_and_saveexec_b32 s30, vcc_lo
	s_cbranch_execz .LBB2_5420
; %bb.5413:                             ;   in Loop: Header=BB2_4995 Depth=3
	v_mov_b32_e32 v148, 0
	s_mov_b32 s31, exec_lo
	v_cmpx_ne_u32_e32 0, v162
	s_cbranch_execz .LBB2_5419
; %bb.5414:                             ;   in Loop: Header=BB2_4995 Depth=3
	v_bfe_u32 v148, v162, 23, 8
	s_delay_alu instid0(VALU_DEP_1) | instskip(SKIP_1) | instid1(VALU_DEP_2)
	v_sub_nc_u32_e32 v164, 0x70, v148
	v_cmp_gt_u32_e32 vcc_lo, 0x71, v148
	v_dual_cndmask_b32 v164, 0, v164 :: v_dual_and_b32 v163, 0x7fffff, v162
	s_delay_alu instid0(VALU_DEP_1) | instskip(SKIP_2) | instid1(VALU_DEP_4)
	v_or_b32_e32 v165, 0x800000, v163
	v_cmp_eq_u32_e32 vcc_lo, 0, v148
	v_add_nc_u32_e32 v148, 0xffffff91, v148
	v_cndmask_b32_e64 v164, v164, 0x6f, vcc_lo
	s_delay_alu instid0(VALU_DEP_4) | instskip(NEXT) | instid1(VALU_DEP_3)
	v_cndmask_b32_e32 v163, v165, v163, vcc_lo
	v_cndmask_b32_e64 v148, v148, 0xffffff92, vcc_lo
	s_delay_alu instid0(VALU_DEP_3) | instskip(NEXT) | instid1(VALU_DEP_3)
	v_lshl_add_u32 v165, 0x200000, v164, -1
	v_lshrrev_b32_e32 v166, v164, v163
	v_lshlrev_b32_e64 v176, v164, 0x100000
	s_delay_alu instid0(VALU_DEP_4) | instskip(NEXT) | instid1(VALU_DEP_4)
	v_add_nc_u32_e32 v164, v164, v148
	v_and_b32_e32 v163, v165, v163
	s_delay_alu instid0(VALU_DEP_4) | instskip(NEXT) | instid1(VALU_DEP_2)
	v_bfe_u32 v167, v166, 21, 1
	v_cmp_eq_u32_e64 s14, v163, v176
	s_delay_alu instid0(VALU_DEP_2) | instskip(NEXT) | instid1(VALU_DEP_1)
	v_add_nc_u32_e32 v165, -1, v167
	v_cndmask_b32_e64 v163, 0, v165, s14
	v_lshrrev_b32_e32 v165, 23, v166
	s_mov_b32 s14, exec_lo
	s_delay_alu instid0(VALU_DEP_2) | instskip(NEXT) | instid1(VALU_DEP_2)
	v_add_nc_u32_e32 v163, v163, v166
	v_xor_b32_e32 v165, 1, v165
	s_delay_alu instid0(VALU_DEP_2) | instskip(NEXT) | instid1(VALU_DEP_1)
	v_and_b32_e32 v148, 0x1fffff, v163
	v_add_nc_u32_e32 v163, v148, v166
                                        ; implicit-def: $vgpr148
	s_delay_alu instid0(VALU_DEP_3)
	v_cmpx_ne_u32_e64 v164, v165
	s_xor_b32 s14, exec_lo, s14
; %bb.5415:                             ;   in Loop: Header=BB2_4995 Depth=3
	s_delay_alu instid0(VALU_DEP_2) | instskip(SKIP_2) | instid1(VALU_DEP_2)
	v_cmp_lt_u32_e32 vcc_lo, 0xffffff, v163
	v_sub_nc_u32_e32 v148, v164, v165
	v_cndmask_b32_e64 v164, 0, 1, vcc_lo
	v_add_co_ci_u32_e32 v148, vcc_lo, 0, v148, vcc_lo
	s_delay_alu instid0(VALU_DEP_2)
	v_lshrrev_b32_e32 v163, v164, v163
; %bb.5416:                             ;   in Loop: Header=BB2_4995 Depth=3
	s_and_not1_saveexec_b32 s14, s14
; %bb.5417:                             ;   in Loop: Header=BB2_4995 Depth=3
	s_delay_alu instid0(VALU_DEP_1)
	v_bfe_u32 v148, v163, 23, 1
; %bb.5418:                             ;   in Loop: Header=BB2_4995 Depth=3
	s_or_b32 exec_lo, exec_lo, s14
	v_lshrrev_b32_e32 v163, 21, v163
	s_delay_alu instid0(VALU_DEP_2) | instskip(SKIP_2) | instid1(VALU_DEP_2)
	v_cmp_gt_i32_e32 vcc_lo, 32, v148
	v_min_i32_e32 v164, 31, v148
	v_lshrrev_b32_e32 v162, 24, v162
	v_dual_cndmask_b32 v163, 3, v163 :: v_dual_lshlrev_b32 v164, 2, v164
	s_delay_alu instid0(VALU_DEP_2) | instskip(NEXT) | instid1(VALU_DEP_2)
	v_and_b32_e32 v162, 0x80, v162
	v_or_b32_e32 v148, v148, v163
	s_delay_alu instid0(VALU_DEP_3) | instskip(NEXT) | instid1(VALU_DEP_2)
	v_and_b32_e32 v164, 0xfc, v164
	v_cmp_ne_u32_e32 vcc_lo, 0, v148
	v_and_b32_e32 v165, 3, v163
	s_delay_alu instid0(VALU_DEP_1) | instskip(NEXT) | instid1(VALU_DEP_1)
	v_or3_b32 v162, v162, v164, v165
	v_lshlrev_b32_e32 v162, 8, v162
	s_delay_alu instid0(VALU_DEP_1)
	v_cndmask_b32_e32 v148, 0, v162, vcc_lo
.LBB2_5419:                             ;   in Loop: Header=BB2_4995 Depth=3
	s_or_b32 exec_lo, exec_lo, s31
.LBB2_5420:                             ;   in Loop: Header=BB2_4995 Depth=3
	s_delay_alu instid0(SALU_CYCLE_1) | instskip(SKIP_3) | instid1(VALU_DEP_1)
	s_or_b32 exec_lo, exec_lo, s30
	v_or_b32_e32 v145, v145, v133
	s_mov_b32 s14, 0
	s_mov_b32 s31, exec_lo
                                        ; implicit-def: $sgpr30
	v_and_b32_e32 v162, 0xff, v145
	s_delay_alu instid0(VALU_DEP_1)
	v_cmpx_lt_i16_e64 0x7f, v162
	s_xor_b32 s31, exec_lo, s31
	s_cbranch_execnz .LBB2_5626
; %bb.5421:                             ;   in Loop: Header=BB2_4995 Depth=3
	s_or_saveexec_b32 s31, s31
	v_mov_b32_e32 v133, s30
	s_xor_b32 exec_lo, exec_lo, s31
	s_cbranch_execnz .LBB2_5629
.LBB2_5422:                             ;   in Loop: Header=BB2_4995 Depth=3
	s_or_b32 exec_lo, exec_lo, s31
	v_lshl_or_b32 v135, v145, 16, v135
	s_and_saveexec_b32 s30, s14
	s_cbranch_execz .LBB2_5424
.LBB2_5423:                             ;   in Loop: Header=BB2_4995 Depth=3
	s_delay_alu instid0(VALU_DEP_1) | instskip(SKIP_1) | instid1(VALU_DEP_2)
	v_bfe_u32 v133, v135, 16, 2
	v_lshrrev_b32_e32 v162, 16, v135
	v_clz_i32_u32_e32 v145, v133
	s_delay_alu instid0(VALU_DEP_1) | instskip(NEXT) | instid1(VALU_DEP_1)
	v_min_u32_e32 v145, 32, v145
	v_subrev_nc_u32_e32 v163, 29, v145
	v_sub_nc_u32_e32 v145, 30, v145
	s_delay_alu instid0(VALU_DEP_2) | instskip(SKIP_1) | instid1(VALU_DEP_1)
	v_lshlrev_b32_e32 v162, v163, v162
	v_bfe_u32 v163, v135, 18, 5
	v_cmp_eq_u32_e32 vcc_lo, 0, v163
	s_delay_alu instid0(VALU_DEP_3) | instskip(NEXT) | instid1(VALU_DEP_1)
	v_dual_cndmask_b32 v145, v163, v145 :: v_dual_and_b32 v162, 3, v162
	v_dual_cndmask_b32 v133, v133, v162 :: v_dual_lshlrev_b32 v164, 8, v135
	s_delay_alu instid0(VALU_DEP_2) | instskip(NEXT) | instid1(VALU_DEP_2)
	v_lshl_add_u32 v145, v145, 23, 0x37800000
	v_and_b32_e32 v162, 0x80000000, v164
	s_delay_alu instid0(VALU_DEP_3) | instskip(NEXT) | instid1(VALU_DEP_1)
	v_lshlrev_b32_e32 v133, 21, v133
	v_or3_b32 v133, v162, v145, v133
.LBB2_5424:                             ;   in Loop: Header=BB2_4995 Depth=3
	s_or_b32 exec_lo, exec_lo, s30
	v_lshrrev_b32_e32 v145, 16, v11
	s_mov_b32 s14, 0
	s_mov_b32 s31, exec_lo
                                        ; implicit-def: $sgpr30
	s_delay_alu instid0(VALU_DEP_1) | instskip(NEXT) | instid1(VALU_DEP_1)
	v_and_b32_e32 v163, 0xff, v145
	v_cmpx_lt_i16_e64 0x7f, v163
	s_xor_b32 s31, exec_lo, s31
	s_cbranch_execnz .LBB2_5630
; %bb.5425:                             ;   in Loop: Header=BB2_4995 Depth=3
	s_or_saveexec_b32 s31, s31
	v_mov_b32_e32 v162, s30
	s_xor_b32 exec_lo, exec_lo, s31
	s_cbranch_execnz .LBB2_5633
.LBB2_5426:                             ;   in Loop: Header=BB2_4995 Depth=3
	s_or_b32 exec_lo, exec_lo, s31
	s_and_saveexec_b32 s30, s14
	s_cbranch_execz .LBB2_5428
.LBB2_5427:                             ;   in Loop: Header=BB2_4995 Depth=3
	v_bfe_u32 v162, v11, 16, 2
	v_lshlrev_b32_e32 v165, 8, v11
	s_delay_alu instid0(VALU_DEP_2) | instskip(NEXT) | instid1(VALU_DEP_1)
	v_clz_i32_u32_e32 v163, v162
	v_min_u32_e32 v163, 32, v163
	s_delay_alu instid0(VALU_DEP_1) | instskip(SKIP_1) | instid1(VALU_DEP_2)
	v_subrev_nc_u32_e32 v164, 29, v163
	v_sub_nc_u32_e32 v163, 30, v163
	v_lshlrev_b32_e32 v145, v164, v145
	v_bfe_u32 v164, v11, 18, 5
	s_delay_alu instid0(VALU_DEP_2) | instskip(NEXT) | instid1(VALU_DEP_2)
	v_and_b32_e32 v145, 3, v145
	v_cmp_eq_u32_e32 vcc_lo, 0, v164
	v_cndmask_b32_e32 v163, v164, v163, vcc_lo
	s_delay_alu instid0(VALU_DEP_3) | instskip(SKIP_1) | instid1(VALU_DEP_3)
	v_cndmask_b32_e32 v145, v162, v145, vcc_lo
	v_and_b32_e32 v162, 0x80000000, v165
	v_lshl_add_u32 v163, v163, 23, 0x37800000
	s_delay_alu instid0(VALU_DEP_3) | instskip(NEXT) | instid1(VALU_DEP_1)
	v_lshlrev_b32_e32 v145, 21, v145
	v_or3_b32 v162, v162, v163, v145
.LBB2_5428:                             ;   in Loop: Header=BB2_4995 Depth=3
	s_or_b32 exec_lo, exec_lo, s30
	s_delay_alu instid0(VALU_DEP_1) | instskip(NEXT) | instid1(VALU_DEP_1)
	v_add_f32_e32 v145, v133, v162
	v_and_b32_e32 v133, 0x7f800000, v145
	s_delay_alu instid0(VALU_DEP_1)
	v_cmp_ne_u32_e32 vcc_lo, 0x7f800000, v133
	v_mov_b32_e32 v133, 0x80
	s_and_saveexec_b32 s30, vcc_lo
	s_cbranch_execz .LBB2_5436
; %bb.5429:                             ;   in Loop: Header=BB2_4995 Depth=3
	v_mov_b32_e32 v133, 0
	s_mov_b32 s31, exec_lo
	v_cmpx_ne_u32_e32 0, v145
	s_cbranch_execz .LBB2_5435
; %bb.5430:                             ;   in Loop: Header=BB2_4995 Depth=3
	v_bfe_u32 v133, v145, 23, 8
	s_delay_alu instid0(VALU_DEP_1) | instskip(SKIP_1) | instid1(VALU_DEP_2)
	v_sub_nc_u32_e32 v163, 0x70, v133
	v_cmp_gt_u32_e32 vcc_lo, 0x71, v133
	v_dual_cndmask_b32 v163, 0, v163 :: v_dual_and_b32 v162, 0x7fffff, v145
	s_delay_alu instid0(VALU_DEP_1) | instskip(SKIP_2) | instid1(VALU_DEP_4)
	v_or_b32_e32 v164, 0x800000, v162
	v_cmp_eq_u32_e32 vcc_lo, 0, v133
	v_add_nc_u32_e32 v133, 0xffffff91, v133
	v_cndmask_b32_e64 v163, v163, 0x6f, vcc_lo
	s_delay_alu instid0(VALU_DEP_4) | instskip(NEXT) | instid1(VALU_DEP_3)
	v_cndmask_b32_e32 v162, v164, v162, vcc_lo
	v_cndmask_b32_e64 v133, v133, 0xffffff92, vcc_lo
	s_delay_alu instid0(VALU_DEP_3) | instskip(NEXT) | instid1(VALU_DEP_3)
	v_lshl_add_u32 v164, 0x200000, v163, -1
	v_lshrrev_b32_e32 v165, v163, v162
	v_lshlrev_b32_e64 v167, v163, 0x100000
	s_delay_alu instid0(VALU_DEP_4) | instskip(NEXT) | instid1(VALU_DEP_4)
	v_add_nc_u32_e32 v163, v163, v133
	v_and_b32_e32 v162, v164, v162
	s_delay_alu instid0(VALU_DEP_4) | instskip(NEXT) | instid1(VALU_DEP_2)
	v_bfe_u32 v166, v165, 21, 1
	v_cmp_eq_u32_e64 s14, v162, v167
	s_delay_alu instid0(VALU_DEP_2) | instskip(NEXT) | instid1(VALU_DEP_1)
	v_add_nc_u32_e32 v164, -1, v166
	v_cndmask_b32_e64 v162, 0, v164, s14
	v_lshrrev_b32_e32 v164, 23, v165
	s_mov_b32 s14, exec_lo
	s_delay_alu instid0(VALU_DEP_2) | instskip(NEXT) | instid1(VALU_DEP_2)
	v_add_nc_u32_e32 v162, v162, v165
	v_xor_b32_e32 v164, 1, v164
	s_delay_alu instid0(VALU_DEP_2) | instskip(NEXT) | instid1(VALU_DEP_1)
	v_and_b32_e32 v133, 0x1fffff, v162
	v_add_nc_u32_e32 v162, v133, v165
                                        ; implicit-def: $vgpr133
	s_delay_alu instid0(VALU_DEP_3)
	v_cmpx_ne_u32_e64 v163, v164
	s_xor_b32 s14, exec_lo, s14
; %bb.5431:                             ;   in Loop: Header=BB2_4995 Depth=3
	s_delay_alu instid0(VALU_DEP_2) | instskip(SKIP_2) | instid1(VALU_DEP_2)
	v_cmp_lt_u32_e32 vcc_lo, 0xffffff, v162
	v_sub_nc_u32_e32 v133, v163, v164
	v_cndmask_b32_e64 v163, 0, 1, vcc_lo
	v_add_co_ci_u32_e32 v133, vcc_lo, 0, v133, vcc_lo
	s_delay_alu instid0(VALU_DEP_2)
	v_lshrrev_b32_e32 v162, v163, v162
; %bb.5432:                             ;   in Loop: Header=BB2_4995 Depth=3
	s_and_not1_saveexec_b32 s14, s14
; %bb.5433:                             ;   in Loop: Header=BB2_4995 Depth=3
	s_delay_alu instid0(VALU_DEP_1)
	v_bfe_u32 v133, v162, 23, 1
; %bb.5434:                             ;   in Loop: Header=BB2_4995 Depth=3
	s_or_b32 exec_lo, exec_lo, s14
	v_lshrrev_b32_e32 v162, 21, v162
	s_delay_alu instid0(VALU_DEP_2) | instskip(SKIP_2) | instid1(VALU_DEP_2)
	v_cmp_gt_i32_e32 vcc_lo, 32, v133
	v_min_i32_e32 v163, 31, v133
	v_lshrrev_b32_e32 v145, 24, v145
	v_dual_cndmask_b32 v162, 3, v162 :: v_dual_lshlrev_b32 v163, 2, v163
	s_delay_alu instid0(VALU_DEP_2) | instskip(NEXT) | instid1(VALU_DEP_2)
	v_and_b32_e32 v145, 0x80, v145
	v_or_b32_e32 v133, v133, v162
	s_delay_alu instid0(VALU_DEP_3) | instskip(NEXT) | instid1(VALU_DEP_2)
	v_and_b32_e32 v163, 0xfc, v163
	v_cmp_ne_u32_e32 vcc_lo, 0, v133
	v_and_b32_e32 v164, 3, v162
	s_delay_alu instid0(VALU_DEP_1) | instskip(NEXT) | instid1(VALU_DEP_1)
	v_or3_b32 v145, v163, v145, v164
	v_cndmask_b32_e32 v133, 0, v145, vcc_lo
.LBB2_5435:                             ;   in Loop: Header=BB2_4995 Depth=3
	s_or_b32 exec_lo, exec_lo, s31
.LBB2_5436:                             ;   in Loop: Header=BB2_4995 Depth=3
	s_delay_alu instid0(SALU_CYCLE_1) | instskip(SKIP_3) | instid1(VALU_DEP_1)
	s_or_b32 exec_lo, exec_lo, s30
	v_lshrrev_b32_e32 v162, 24, v135
	s_mov_b32 s14, 0
	s_mov_b32 s31, exec_lo
                                        ; implicit-def: $sgpr30
	v_cmpx_lt_i16_e64 0x7f, v162
	s_xor_b32 s31, exec_lo, s31
	s_cbranch_execnz .LBB2_5634
; %bb.5437:                             ;   in Loop: Header=BB2_4995 Depth=3
	s_or_saveexec_b32 s31, s31
	v_mov_b32_e32 v145, s30
	s_xor_b32 exec_lo, exec_lo, s31
	s_cbranch_execnz .LBB2_5637
.LBB2_5438:                             ;   in Loop: Header=BB2_4995 Depth=3
	s_or_b32 exec_lo, exec_lo, s31
	s_and_saveexec_b32 s30, s14
	s_cbranch_execz .LBB2_5440
.LBB2_5439:                             ;   in Loop: Header=BB2_4995 Depth=3
	v_bfe_u32 v145, v135, 24, 2
	s_delay_alu instid0(VALU_DEP_1) | instskip(NEXT) | instid1(VALU_DEP_1)
	v_clz_i32_u32_e32 v163, v145
	v_min_u32_e32 v163, 32, v163
	s_delay_alu instid0(VALU_DEP_1) | instskip(SKIP_1) | instid1(VALU_DEP_2)
	v_subrev_nc_u32_e32 v164, 29, v163
	v_sub_nc_u32_e32 v163, 30, v163
	v_lshlrev_b32_e32 v162, v164, v162
	v_bfe_u32 v164, v135, 26, 5
	v_and_b32_e32 v135, 0x80000000, v135
	s_delay_alu instid0(VALU_DEP_2) | instskip(NEXT) | instid1(VALU_DEP_4)
	v_cmp_eq_u32_e32 vcc_lo, 0, v164
	v_dual_cndmask_b32 v163, v164, v163 :: v_dual_and_b32 v162, 3, v162
	s_delay_alu instid0(VALU_DEP_1) | instskip(NEXT) | instid1(VALU_DEP_2)
	v_cndmask_b32_e32 v145, v145, v162, vcc_lo
	v_lshl_add_u32 v162, v163, 23, 0x37800000
	s_delay_alu instid0(VALU_DEP_2) | instskip(NEXT) | instid1(VALU_DEP_1)
	v_lshlrev_b32_e32 v145, 21, v145
	v_or3_b32 v145, v135, v162, v145
.LBB2_5440:                             ;   in Loop: Header=BB2_4995 Depth=3
	s_or_b32 exec_lo, exec_lo, s30
	v_lshrrev_b32_e32 v135, 24, v11
	s_mov_b32 s14, 0
	s_mov_b32 s31, exec_lo
                                        ; implicit-def: $sgpr30
	s_delay_alu instid0(VALU_DEP_1)
	v_cmpx_lt_i16_e64 0x7f, v135
	s_xor_b32 s31, exec_lo, s31
	s_cbranch_execnz .LBB2_5638
; %bb.5441:                             ;   in Loop: Header=BB2_4995 Depth=3
	s_or_saveexec_b32 s31, s31
	v_mov_b32_e32 v162, s30
	s_xor_b32 exec_lo, exec_lo, s31
	s_cbranch_execnz .LBB2_5641
.LBB2_5442:                             ;   in Loop: Header=BB2_4995 Depth=3
	s_or_b32 exec_lo, exec_lo, s31
	s_and_saveexec_b32 s30, s14
	s_cbranch_execz .LBB2_5444
.LBB2_5443:                             ;   in Loop: Header=BB2_4995 Depth=3
	v_bfe_u32 v162, v11, 24, 2
	s_delay_alu instid0(VALU_DEP_1) | instskip(NEXT) | instid1(VALU_DEP_1)
	v_clz_i32_u32_e32 v163, v162
	v_min_u32_e32 v163, 32, v163
	s_delay_alu instid0(VALU_DEP_1) | instskip(SKIP_1) | instid1(VALU_DEP_2)
	v_subrev_nc_u32_e32 v164, 29, v163
	v_sub_nc_u32_e32 v163, 30, v163
	v_lshlrev_b32_e32 v135, v164, v135
	v_bfe_u32 v164, v11, 26, 5
	v_and_b32_e32 v11, 0x80000000, v11
	s_delay_alu instid0(VALU_DEP_3) | instskip(NEXT) | instid1(VALU_DEP_3)
	v_and_b32_e32 v135, 3, v135
	v_cmp_eq_u32_e32 vcc_lo, 0, v164
	v_cndmask_b32_e32 v163, v164, v163, vcc_lo
	s_delay_alu instid0(VALU_DEP_3) | instskip(NEXT) | instid1(VALU_DEP_2)
	v_cndmask_b32_e32 v135, v162, v135, vcc_lo
	v_lshl_add_u32 v162, v163, 23, 0x37800000
	s_delay_alu instid0(VALU_DEP_2) | instskip(NEXT) | instid1(VALU_DEP_1)
	v_lshlrev_b32_e32 v135, 21, v135
	v_or3_b32 v162, v11, v162, v135
.LBB2_5444:                             ;   in Loop: Header=BB2_4995 Depth=3
	s_or_b32 exec_lo, exec_lo, s30
	s_delay_alu instid0(VALU_DEP_1) | instskip(NEXT) | instid1(VALU_DEP_1)
	v_add_f32_e32 v11, v145, v162
	v_and_b32_e32 v135, 0x7f800000, v11
	s_delay_alu instid0(VALU_DEP_1)
	v_cmp_ne_u32_e32 vcc_lo, 0x7f800000, v135
	v_mov_b32_e32 v135, 0x8000
	s_and_saveexec_b32 s30, vcc_lo
	s_cbranch_execz .LBB2_4994
; %bb.5445:                             ;   in Loop: Header=BB2_4995 Depth=3
	v_mov_b32_e32 v135, 0
	s_mov_b32 s31, exec_lo
	v_cmpx_ne_u32_e32 0, v11
	s_cbranch_execz .LBB2_4993
; %bb.5446:                             ;   in Loop: Header=BB2_4995 Depth=3
	v_bfe_u32 v135, v11, 23, 8
	s_delay_alu instid0(VALU_DEP_1) | instskip(SKIP_1) | instid1(VALU_DEP_2)
	v_sub_nc_u32_e32 v162, 0x70, v135
	v_cmp_gt_u32_e32 vcc_lo, 0x71, v135
	v_dual_cndmask_b32 v162, 0, v162 :: v_dual_and_b32 v145, 0x7fffff, v11
	s_delay_alu instid0(VALU_DEP_1) | instskip(SKIP_2) | instid1(VALU_DEP_4)
	v_or_b32_e32 v163, 0x800000, v145
	v_cmp_eq_u32_e32 vcc_lo, 0, v135
	v_add_nc_u32_e32 v135, 0xffffff91, v135
	v_cndmask_b32_e64 v162, v162, 0x6f, vcc_lo
	s_delay_alu instid0(VALU_DEP_2) | instskip(SKIP_1) | instid1(VALU_DEP_3)
	v_cndmask_b32_e64 v135, v135, 0xffffff92, vcc_lo
	v_cndmask_b32_e32 v145, v163, v145, vcc_lo
	v_lshl_add_u32 v163, 0x200000, v162, -1
	v_lshlrev_b32_e64 v166, v162, 0x100000
	s_delay_alu instid0(VALU_DEP_3) | instskip(SKIP_1) | instid1(VALU_DEP_4)
	v_lshrrev_b32_e32 v164, v162, v145
	v_add_nc_u32_e32 v162, v162, v135
	v_and_b32_e32 v145, v163, v145
	s_delay_alu instid0(VALU_DEP_3) | instskip(NEXT) | instid1(VALU_DEP_2)
	v_bfe_u32 v165, v164, 21, 1
	v_cmp_eq_u32_e64 s14, v145, v166
	s_delay_alu instid0(VALU_DEP_2) | instskip(NEXT) | instid1(VALU_DEP_1)
	v_add_nc_u32_e32 v163, -1, v165
	v_cndmask_b32_e64 v145, 0, v163, s14
	v_lshrrev_b32_e32 v163, 23, v164
	s_mov_b32 s14, exec_lo
	s_delay_alu instid0(VALU_DEP_2) | instskip(NEXT) | instid1(VALU_DEP_2)
	v_add_nc_u32_e32 v145, v145, v164
	v_xor_b32_e32 v163, 1, v163
	s_delay_alu instid0(VALU_DEP_2) | instskip(NEXT) | instid1(VALU_DEP_1)
	v_and_b32_e32 v135, 0x1fffff, v145
	v_add_nc_u32_e32 v145, v135, v164
                                        ; implicit-def: $vgpr135
	s_delay_alu instid0(VALU_DEP_3)
	v_cmpx_ne_u32_e64 v162, v163
	s_xor_b32 s14, exec_lo, s14
; %bb.5447:                             ;   in Loop: Header=BB2_4995 Depth=3
	s_delay_alu instid0(VALU_DEP_2) | instskip(SKIP_2) | instid1(VALU_DEP_2)
	v_cmp_lt_u32_e32 vcc_lo, 0xffffff, v145
	v_sub_nc_u32_e32 v135, v162, v163
	v_cndmask_b32_e64 v162, 0, 1, vcc_lo
	v_add_co_ci_u32_e32 v135, vcc_lo, 0, v135, vcc_lo
	s_delay_alu instid0(VALU_DEP_2)
	v_lshrrev_b32_e32 v145, v162, v145
; %bb.5448:                             ;   in Loop: Header=BB2_4995 Depth=3
	s_and_not1_saveexec_b32 s14, s14
	s_cbranch_execz .LBB2_4992
; %bb.5449:                             ;   in Loop: Header=BB2_4995 Depth=3
	s_delay_alu instid0(VALU_DEP_1)
	v_bfe_u32 v135, v145, 23, 1
	s_branch .LBB2_4992
.LBB2_5450:                             ;   in Loop: Header=BB2_4995 Depth=3
	s_mov_b32 s14, -1
	s_mov_b32 s35, exec_lo
                                        ; implicit-def: $sgpr31
	v_cmpx_eq_u16_e64 0x80, v133
; %bb.5451:                             ;   in Loop: Header=BB2_4995 Depth=3
	s_mov_b32 s31, 0x7f800001
	s_xor_b32 s14, exec_lo, -1
; %bb.5452:                             ;   in Loop: Header=BB2_4995 Depth=3
	s_or_b32 exec_lo, exec_lo, s35
	s_delay_alu instid0(SALU_CYCLE_1)
	s_and_b32 s14, s14, exec_lo
                                        ; implicit-def: $vgpr133
	s_or_saveexec_b32 s34, s34
	v_mov_b32_e32 v132, s31
	s_xor_b32 exec_lo, exec_lo, s34
	s_cbranch_execz .LBB2_5006
.LBB2_5453:                             ;   in Loop: Header=BB2_4995 Depth=3
	v_cmp_ne_u16_e64 vcc_lo, 0, v133
	v_mov_b32_e32 v132, 0
	s_and_not1_b32 s14, s14, exec_lo
	s_delay_alu instid0(VALU_DEP_2) | instskip(NEXT) | instid1(SALU_CYCLE_1)
	s_and_b32 vcc_lo, vcc_lo, exec_lo
	s_or_b32 s14, s14, vcc_lo
	s_or_b32 exec_lo, exec_lo, s34
	s_and_saveexec_b32 s31, s14
	s_cbranch_execnz .LBB2_5007
	s_branch .LBB2_5008
.LBB2_5454:                             ;   in Loop: Header=BB2_4995 Depth=3
	s_mov_b32 s14, -1
	s_mov_b32 s35, exec_lo
                                        ; implicit-def: $sgpr31
	v_cmpx_eq_u16_e64 0x80, v133
; %bb.5455:                             ;   in Loop: Header=BB2_4995 Depth=3
	s_mov_b32 s31, 0x7f800001
	s_xor_b32 s14, exec_lo, -1
; %bb.5456:                             ;   in Loop: Header=BB2_4995 Depth=3
	s_or_b32 exec_lo, exec_lo, s35
	s_delay_alu instid0(SALU_CYCLE_1)
	s_and_b32 s14, s14, exec_lo
	s_or_saveexec_b32 s34, s34
	v_mov_b32_e32 v134, s31
	s_xor_b32 exec_lo, exec_lo, s34
	s_cbranch_execz .LBB2_5018
.LBB2_5457:                             ;   in Loop: Header=BB2_4995 Depth=3
	v_cmp_ne_u16_e64 vcc_lo, 0, v133
	v_mov_b32_e32 v134, 0
	s_and_not1_b32 s14, s14, exec_lo
	s_delay_alu instid0(VALU_DEP_2) | instskip(NEXT) | instid1(SALU_CYCLE_1)
	s_and_b32 vcc_lo, vcc_lo, exec_lo
	s_or_b32 s14, s14, vcc_lo
	s_or_b32 exec_lo, exec_lo, s34
	s_and_saveexec_b32 s31, s14
	s_cbranch_execnz .LBB2_5019
	s_branch .LBB2_5020
.LBB2_5458:                             ;   in Loop: Header=BB2_4995 Depth=3
	s_mov_b32 s14, -1
	s_mov_b32 s35, exec_lo
                                        ; implicit-def: $sgpr31
	v_cmpx_eq_u16_e64 0x80, v135
; %bb.5459:                             ;   in Loop: Header=BB2_4995 Depth=3
	s_mov_b32 s31, 0x7f800001
	s_xor_b32 s14, exec_lo, -1
; %bb.5460:                             ;   in Loop: Header=BB2_4995 Depth=3
	s_or_b32 exec_lo, exec_lo, s35
	s_delay_alu instid0(SALU_CYCLE_1)
	s_and_b32 s14, s14, exec_lo
                                        ; implicit-def: $vgpr135
	s_or_saveexec_b32 s34, s34
	v_mov_b32_e32 v134, s31
	s_xor_b32 exec_lo, exec_lo, s34
	s_cbranch_execz .LBB2_5030
.LBB2_5461:                             ;   in Loop: Header=BB2_4995 Depth=3
	v_cmp_ne_u16_e64 vcc_lo, 0, v135
	v_mov_b32_e32 v134, 0
	s_and_not1_b32 s14, s14, exec_lo
	s_delay_alu instid0(VALU_DEP_2) | instskip(NEXT) | instid1(SALU_CYCLE_1)
	s_and_b32 vcc_lo, vcc_lo, exec_lo
	s_or_b32 s14, s14, vcc_lo
	s_or_b32 exec_lo, exec_lo, s34
	s_and_saveexec_b32 s31, s14
	s_cbranch_execnz .LBB2_5031
	s_branch .LBB2_5032
.LBB2_5462:                             ;   in Loop: Header=BB2_4995 Depth=3
	s_mov_b32 s14, -1
	s_mov_b32 s35, exec_lo
                                        ; implicit-def: $sgpr31
	v_cmpx_eq_u16_e64 0x80, v133
; %bb.5463:                             ;   in Loop: Header=BB2_4995 Depth=3
	s_mov_b32 s31, 0x7f800001
	s_xor_b32 s14, exec_lo, -1
; %bb.5464:                             ;   in Loop: Header=BB2_4995 Depth=3
	s_or_b32 exec_lo, exec_lo, s35
	s_delay_alu instid0(SALU_CYCLE_1)
	s_and_b32 s14, s14, exec_lo
	s_or_saveexec_b32 s34, s34
	v_mov_b32_e32 v134, s31
	s_xor_b32 exec_lo, exec_lo, s34
	s_cbranch_execz .LBB2_5042
.LBB2_5465:                             ;   in Loop: Header=BB2_4995 Depth=3
	v_cmp_ne_u16_e64 vcc_lo, 0, v133
	v_mov_b32_e32 v134, 0
	s_and_not1_b32 s14, s14, exec_lo
	s_delay_alu instid0(VALU_DEP_2) | instskip(NEXT) | instid1(SALU_CYCLE_1)
	s_and_b32 vcc_lo, vcc_lo, exec_lo
	s_or_b32 s14, s14, vcc_lo
	s_or_b32 exec_lo, exec_lo, s34
	s_and_saveexec_b32 s31, s14
	s_cbranch_execnz .LBB2_5043
	s_branch .LBB2_5044
.LBB2_5466:                             ;   in Loop: Header=BB2_4995 Depth=3
	s_mov_b32 s14, -1
	s_mov_b32 s35, exec_lo
                                        ; implicit-def: $sgpr31
	v_cmpx_eq_u16_e64 0x80, v133
; %bb.5467:                             ;   in Loop: Header=BB2_4995 Depth=3
	s_mov_b32 s31, 0x7f800001
	s_xor_b32 s14, exec_lo, -1
; %bb.5468:                             ;   in Loop: Header=BB2_4995 Depth=3
	s_or_b32 exec_lo, exec_lo, s35
	s_delay_alu instid0(SALU_CYCLE_1)
	s_and_b32 s14, s14, exec_lo
                                        ; implicit-def: $vgpr133
	s_or_saveexec_b32 s34, s34
	v_mov_b32_e32 v8, s31
	s_xor_b32 exec_lo, exec_lo, s34
	s_cbranch_execz .LBB2_5054
.LBB2_5469:                             ;   in Loop: Header=BB2_4995 Depth=3
	v_cmp_ne_u16_e64 vcc_lo, 0, v133
	v_mov_b32_e32 v8, 0
	s_and_not1_b32 s14, s14, exec_lo
	s_delay_alu instid0(VALU_DEP_2) | instskip(NEXT) | instid1(SALU_CYCLE_1)
	s_and_b32 vcc_lo, vcc_lo, exec_lo
	s_or_b32 s14, s14, vcc_lo
	s_or_b32 exec_lo, exec_lo, s34
	s_and_saveexec_b32 s31, s14
	s_cbranch_execnz .LBB2_5055
	s_branch .LBB2_5056
.LBB2_5470:                             ;   in Loop: Header=BB2_4995 Depth=3
	s_mov_b32 s14, -1
	s_mov_b32 s35, exec_lo
                                        ; implicit-def: $sgpr31
	v_cmpx_eq_u16_e32 0x80, v8
; %bb.5471:                             ;   in Loop: Header=BB2_4995 Depth=3
	s_mov_b32 s31, 0x7f800001
	s_xor_b32 s14, exec_lo, -1
; %bb.5472:                             ;   in Loop: Header=BB2_4995 Depth=3
	s_or_b32 exec_lo, exec_lo, s35
	s_delay_alu instid0(SALU_CYCLE_1)
	s_and_b32 s14, s14, exec_lo
	s_or_saveexec_b32 s34, s34
	v_mov_b32_e32 v133, s31
	s_xor_b32 exec_lo, exec_lo, s34
	s_cbranch_execz .LBB2_5066
.LBB2_5473:                             ;   in Loop: Header=BB2_4995 Depth=3
	v_cmp_ne_u16_e32 vcc_lo, 0, v8
	v_mov_b32_e32 v133, 0
	s_and_not1_b32 s14, s14, exec_lo
	s_and_b32 vcc_lo, vcc_lo, exec_lo
	s_delay_alu instid0(SALU_CYCLE_1)
	s_or_b32 s14, s14, vcc_lo
	s_or_b32 exec_lo, exec_lo, s34
	s_and_saveexec_b32 s31, s14
	s_cbranch_execnz .LBB2_5067
	s_branch .LBB2_5068
.LBB2_5474:                             ;   in Loop: Header=BB2_4995 Depth=3
	s_mov_b32 s14, -1
	s_mov_b32 s35, exec_lo
                                        ; implicit-def: $sgpr31
	v_cmpx_eq_u16_e64 0x80, v134
; %bb.5475:                             ;   in Loop: Header=BB2_4995 Depth=3
	s_mov_b32 s31, 0x7f800001
	s_xor_b32 s14, exec_lo, -1
; %bb.5476:                             ;   in Loop: Header=BB2_4995 Depth=3
	s_or_b32 exec_lo, exec_lo, s35
	s_delay_alu instid0(SALU_CYCLE_1)
	s_and_b32 s14, s14, exec_lo
                                        ; implicit-def: $vgpr134
	s_or_saveexec_b32 s34, s34
	v_mov_b32_e32 v133, s31
	s_xor_b32 exec_lo, exec_lo, s34
	s_cbranch_execz .LBB2_5078
.LBB2_5477:                             ;   in Loop: Header=BB2_4995 Depth=3
	v_cmp_ne_u16_e64 vcc_lo, 0, v134
	v_mov_b32_e32 v133, 0
	s_and_not1_b32 s14, s14, exec_lo
	s_delay_alu instid0(VALU_DEP_2) | instskip(NEXT) | instid1(SALU_CYCLE_1)
	s_and_b32 vcc_lo, vcc_lo, exec_lo
	s_or_b32 s14, s14, vcc_lo
	s_or_b32 exec_lo, exec_lo, s34
	s_and_saveexec_b32 s31, s14
	s_cbranch_execnz .LBB2_5079
	s_branch .LBB2_5080
.LBB2_5478:                             ;   in Loop: Header=BB2_4995 Depth=3
	s_mov_b32 s14, -1
	s_mov_b32 s35, exec_lo
                                        ; implicit-def: $sgpr31
	v_cmpx_eq_u16_e32 0x80, v8
; %bb.5479:                             ;   in Loop: Header=BB2_4995 Depth=3
	s_mov_b32 s31, 0x7f800001
	s_xor_b32 s14, exec_lo, -1
; %bb.5480:                             ;   in Loop: Header=BB2_4995 Depth=3
	s_or_b32 exec_lo, exec_lo, s35
	s_delay_alu instid0(SALU_CYCLE_1)
	s_and_b32 s14, s14, exec_lo
	s_or_saveexec_b32 s34, s34
	v_mov_b32_e32 v133, s31
	s_xor_b32 exec_lo, exec_lo, s34
	s_cbranch_execz .LBB2_5090
.LBB2_5481:                             ;   in Loop: Header=BB2_4995 Depth=3
	v_cmp_ne_u16_e32 vcc_lo, 0, v8
	v_mov_b32_e32 v133, 0
	s_and_not1_b32 s14, s14, exec_lo
	s_and_b32 vcc_lo, vcc_lo, exec_lo
	s_delay_alu instid0(SALU_CYCLE_1)
	s_or_b32 s14, s14, vcc_lo
	s_or_b32 exec_lo, exec_lo, s34
	s_and_saveexec_b32 s31, s14
	s_cbranch_execnz .LBB2_5091
	s_branch .LBB2_5092
.LBB2_5482:                             ;   in Loop: Header=BB2_4995 Depth=3
	s_mov_b32 s14, -1
	s_mov_b32 s35, exec_lo
                                        ; implicit-def: $sgpr31
	v_cmpx_eq_u16_e32 0x80, v9
; %bb.5483:                             ;   in Loop: Header=BB2_4995 Depth=3
	s_mov_b32 s31, 0x7f800001
	s_xor_b32 s14, exec_lo, -1
; %bb.5484:                             ;   in Loop: Header=BB2_4995 Depth=3
	s_or_b32 exec_lo, exec_lo, s35
	s_delay_alu instid0(SALU_CYCLE_1)
	s_and_b32 s14, s14, exec_lo
                                        ; implicit-def: $vgpr9
	s_or_saveexec_b32 s34, s34
	v_mov_b32_e32 v8, s31
	s_xor_b32 exec_lo, exec_lo, s34
	s_cbranch_execz .LBB2_5102
.LBB2_5485:                             ;   in Loop: Header=BB2_4995 Depth=3
	v_cmp_ne_u16_e32 vcc_lo, 0, v9
	v_mov_b32_e32 v8, 0
	s_and_not1_b32 s14, s14, exec_lo
	s_and_b32 vcc_lo, vcc_lo, exec_lo
	s_delay_alu instid0(SALU_CYCLE_1)
	s_or_b32 s14, s14, vcc_lo
	s_or_b32 exec_lo, exec_lo, s34
	s_and_saveexec_b32 s31, s14
	s_cbranch_execnz .LBB2_5103
	s_branch .LBB2_5104
.LBB2_5486:                             ;   in Loop: Header=BB2_4995 Depth=3
	s_mov_b32 s14, -1
	s_mov_b32 s35, exec_lo
                                        ; implicit-def: $sgpr31
	v_cmpx_eq_u16_e32 0x80, v8
; %bb.5487:                             ;   in Loop: Header=BB2_4995 Depth=3
	s_mov_b32 s31, 0x7f800001
	s_xor_b32 s14, exec_lo, -1
; %bb.5488:                             ;   in Loop: Header=BB2_4995 Depth=3
	s_or_b32 exec_lo, exec_lo, s35
	s_delay_alu instid0(SALU_CYCLE_1)
	s_and_b32 s14, s14, exec_lo
	s_or_saveexec_b32 s34, s34
	v_mov_b32_e32 v9, s31
	s_xor_b32 exec_lo, exec_lo, s34
	s_cbranch_execz .LBB2_5114
.LBB2_5489:                             ;   in Loop: Header=BB2_4995 Depth=3
	v_cmp_ne_u16_e32 vcc_lo, 0, v8
	v_mov_b32_e32 v9, 0
	s_and_not1_b32 s14, s14, exec_lo
	s_and_b32 vcc_lo, vcc_lo, exec_lo
	s_delay_alu instid0(SALU_CYCLE_1)
	s_or_b32 s14, s14, vcc_lo
	s_or_b32 exec_lo, exec_lo, s34
	s_and_saveexec_b32 s31, s14
	s_cbranch_execnz .LBB2_5115
	s_branch .LBB2_5116
.LBB2_5490:                             ;   in Loop: Header=BB2_4995 Depth=3
	s_mov_b32 s14, -1
	s_mov_b32 s35, exec_lo
                                        ; implicit-def: $sgpr31
	v_cmpx_eq_u16_e64 0x80, v133
; %bb.5491:                             ;   in Loop: Header=BB2_4995 Depth=3
	s_mov_b32 s31, 0x7f800001
	s_xor_b32 s14, exec_lo, -1
; %bb.5492:                             ;   in Loop: Header=BB2_4995 Depth=3
	s_or_b32 exec_lo, exec_lo, s35
	s_delay_alu instid0(SALU_CYCLE_1)
	s_and_b32 s14, s14, exec_lo
                                        ; implicit-def: $vgpr133
	s_or_saveexec_b32 s34, s34
	v_mov_b32_e32 v9, s31
	s_xor_b32 exec_lo, exec_lo, s34
	s_cbranch_execz .LBB2_5126
.LBB2_5493:                             ;   in Loop: Header=BB2_4995 Depth=3
	v_cmp_ne_u16_e64 vcc_lo, 0, v133
	v_mov_b32_e32 v9, 0
	s_and_not1_b32 s14, s14, exec_lo
	s_delay_alu instid0(VALU_DEP_2) | instskip(NEXT) | instid1(SALU_CYCLE_1)
	s_and_b32 vcc_lo, vcc_lo, exec_lo
	s_or_b32 s14, s14, vcc_lo
	s_or_b32 exec_lo, exec_lo, s34
	s_and_saveexec_b32 s31, s14
	s_cbranch_execnz .LBB2_5127
	s_branch .LBB2_5128
.LBB2_5494:                             ;   in Loop: Header=BB2_4995 Depth=3
	s_mov_b32 s14, -1
	s_mov_b32 s35, exec_lo
                                        ; implicit-def: $sgpr31
	v_cmpx_eq_u16_e32 0x80, v8
; %bb.5495:                             ;   in Loop: Header=BB2_4995 Depth=3
	s_mov_b32 s31, 0x7f800001
	s_xor_b32 s14, exec_lo, -1
; %bb.5496:                             ;   in Loop: Header=BB2_4995 Depth=3
	s_or_b32 exec_lo, exec_lo, s35
	s_delay_alu instid0(SALU_CYCLE_1)
	s_and_b32 s14, s14, exec_lo
	s_or_saveexec_b32 s34, s34
	v_mov_b32_e32 v9, s31
	s_xor_b32 exec_lo, exec_lo, s34
	s_cbranch_execz .LBB2_5138
.LBB2_5497:                             ;   in Loop: Header=BB2_4995 Depth=3
	v_cmp_ne_u16_e32 vcc_lo, 0, v8
	v_mov_b32_e32 v9, 0
	s_and_not1_b32 s14, s14, exec_lo
	s_and_b32 vcc_lo, vcc_lo, exec_lo
	s_delay_alu instid0(SALU_CYCLE_1)
	s_or_b32 s14, s14, vcc_lo
	s_or_b32 exec_lo, exec_lo, s34
	s_and_saveexec_b32 s31, s14
	s_cbranch_execnz .LBB2_5139
	s_branch .LBB2_5140
.LBB2_5498:                             ;   in Loop: Header=BB2_4995 Depth=3
	s_mov_b32 s14, -1
	s_mov_b32 s35, exec_lo
                                        ; implicit-def: $sgpr31
	v_cmpx_eq_u16_e32 0x80, v9
; %bb.5499:                             ;   in Loop: Header=BB2_4995 Depth=3
	s_mov_b32 s31, 0x7f800001
	s_xor_b32 s14, exec_lo, -1
; %bb.5500:                             ;   in Loop: Header=BB2_4995 Depth=3
	s_or_b32 exec_lo, exec_lo, s35
	s_delay_alu instid0(SALU_CYCLE_1)
	s_and_b32 s14, s14, exec_lo
                                        ; implicit-def: $vgpr9
	s_or_saveexec_b32 s34, s34
	v_mov_b32_e32 v8, s31
	s_xor_b32 exec_lo, exec_lo, s34
	s_cbranch_execz .LBB2_5150
.LBB2_5501:                             ;   in Loop: Header=BB2_4995 Depth=3
	v_cmp_ne_u16_e32 vcc_lo, 0, v9
	v_mov_b32_e32 v8, 0
	s_and_not1_b32 s14, s14, exec_lo
	s_and_b32 vcc_lo, vcc_lo, exec_lo
	s_delay_alu instid0(SALU_CYCLE_1)
	s_or_b32 s14, s14, vcc_lo
	s_or_b32 exec_lo, exec_lo, s34
	s_and_saveexec_b32 s31, s14
	s_cbranch_execnz .LBB2_5151
	s_branch .LBB2_5152
.LBB2_5502:                             ;   in Loop: Header=BB2_4995 Depth=3
	s_mov_b32 s14, -1
	s_mov_b32 s35, exec_lo
                                        ; implicit-def: $sgpr31
	v_cmpx_eq_u16_e32 0x80, v8
; %bb.5503:                             ;   in Loop: Header=BB2_4995 Depth=3
	s_mov_b32 s31, 0x7f800001
	s_xor_b32 s14, exec_lo, -1
; %bb.5504:                             ;   in Loop: Header=BB2_4995 Depth=3
	s_or_b32 exec_lo, exec_lo, s35
	s_delay_alu instid0(SALU_CYCLE_1)
	s_and_b32 s14, s14, exec_lo
	s_or_saveexec_b32 s34, s34
	v_mov_b32_e32 v9, s31
	s_xor_b32 exec_lo, exec_lo, s34
	s_cbranch_execz .LBB2_5162
.LBB2_5505:                             ;   in Loop: Header=BB2_4995 Depth=3
	v_cmp_ne_u16_e32 vcc_lo, 0, v8
	v_mov_b32_e32 v9, 0
	s_and_not1_b32 s14, s14, exec_lo
	s_and_b32 vcc_lo, vcc_lo, exec_lo
	s_delay_alu instid0(SALU_CYCLE_1)
	s_or_b32 s14, s14, vcc_lo
	s_or_b32 exec_lo, exec_lo, s34
	s_and_saveexec_b32 s31, s14
	s_cbranch_execnz .LBB2_5163
	s_branch .LBB2_5164
.LBB2_5506:                             ;   in Loop: Header=BB2_4995 Depth=3
	s_mov_b32 s14, -1
	s_mov_b32 s35, exec_lo
                                        ; implicit-def: $sgpr31
	v_cmpx_eq_u16_e32 0x80, v10
; %bb.5507:                             ;   in Loop: Header=BB2_4995 Depth=3
	s_mov_b32 s31, 0x7f800001
	s_xor_b32 s14, exec_lo, -1
; %bb.5508:                             ;   in Loop: Header=BB2_4995 Depth=3
	s_or_b32 exec_lo, exec_lo, s35
	s_delay_alu instid0(SALU_CYCLE_1)
	s_and_b32 s14, s14, exec_lo
                                        ; implicit-def: $vgpr10
	s_or_saveexec_b32 s34, s34
	v_mov_b32_e32 v9, s31
	s_xor_b32 exec_lo, exec_lo, s34
	s_cbranch_execz .LBB2_5174
.LBB2_5509:                             ;   in Loop: Header=BB2_4995 Depth=3
	v_cmp_ne_u16_e32 vcc_lo, 0, v10
	v_mov_b32_e32 v9, 0
	s_and_not1_b32 s14, s14, exec_lo
	s_and_b32 vcc_lo, vcc_lo, exec_lo
	s_delay_alu instid0(SALU_CYCLE_1)
	s_or_b32 s14, s14, vcc_lo
	s_or_b32 exec_lo, exec_lo, s34
	s_and_saveexec_b32 s31, s14
	s_cbranch_execnz .LBB2_5175
	s_branch .LBB2_5176
.LBB2_5510:                             ;   in Loop: Header=BB2_4995 Depth=3
	s_mov_b32 s14, -1
	s_mov_b32 s35, exec_lo
                                        ; implicit-def: $sgpr31
	v_cmpx_eq_u16_e32 0x80, v8
; %bb.5511:                             ;   in Loop: Header=BB2_4995 Depth=3
	s_mov_b32 s31, 0x7f800001
	s_xor_b32 s14, exec_lo, -1
; %bb.5512:                             ;   in Loop: Header=BB2_4995 Depth=3
	s_or_b32 exec_lo, exec_lo, s35
	s_delay_alu instid0(SALU_CYCLE_1)
	s_and_b32 s14, s14, exec_lo
	s_or_saveexec_b32 s34, s34
	v_mov_b32_e32 v9, s31
	s_xor_b32 exec_lo, exec_lo, s34
	s_cbranch_execz .LBB2_5186
.LBB2_5513:                             ;   in Loop: Header=BB2_4995 Depth=3
	v_cmp_ne_u16_e32 vcc_lo, 0, v8
	v_mov_b32_e32 v9, 0
	s_and_not1_b32 s14, s14, exec_lo
	s_and_b32 vcc_lo, vcc_lo, exec_lo
	s_delay_alu instid0(SALU_CYCLE_1)
	s_or_b32 s14, s14, vcc_lo
	s_or_b32 exec_lo, exec_lo, s34
	s_and_saveexec_b32 s31, s14
	s_cbranch_execnz .LBB2_5187
	s_branch .LBB2_5188
.LBB2_5514:                             ;   in Loop: Header=BB2_4995 Depth=3
	s_mov_b32 s14, -1
	s_mov_b32 s34, exec_lo
                                        ; implicit-def: $sgpr30
	v_cmpx_eq_u16_e64 0x80, v165
; %bb.5515:                             ;   in Loop: Header=BB2_4995 Depth=3
	s_mov_b32 s30, 0x7f800001
	s_xor_b32 s14, exec_lo, -1
; %bb.5516:                             ;   in Loop: Header=BB2_4995 Depth=3
	s_or_b32 exec_lo, exec_lo, s34
	s_delay_alu instid0(SALU_CYCLE_1)
	s_and_b32 s14, s14, exec_lo
                                        ; implicit-def: $vgpr165
	s_or_saveexec_b32 s31, s31
	v_mov_b32_e32 v164, s30
	s_xor_b32 exec_lo, exec_lo, s31
	s_cbranch_execz .LBB2_5198
.LBB2_5517:                             ;   in Loop: Header=BB2_4995 Depth=3
	v_cmp_ne_u16_e64 vcc_lo, 0, v165
	v_mov_b32_e32 v164, 0
	s_and_not1_b32 s14, s14, exec_lo
	s_delay_alu instid0(VALU_DEP_2) | instskip(NEXT) | instid1(SALU_CYCLE_1)
	s_and_b32 vcc_lo, vcc_lo, exec_lo
	s_or_b32 s14, s14, vcc_lo
	s_or_b32 exec_lo, exec_lo, s31
	s_and_saveexec_b32 s30, s14
	s_cbranch_execnz .LBB2_5199
	s_branch .LBB2_5200
.LBB2_5518:                             ;   in Loop: Header=BB2_4995 Depth=3
	s_mov_b32 s14, -1
	s_mov_b32 s34, exec_lo
                                        ; implicit-def: $sgpr30
	v_cmpx_eq_u16_e64 0x80, v165
; %bb.5519:                             ;   in Loop: Header=BB2_4995 Depth=3
	s_mov_b32 s30, 0x7f800001
	s_xor_b32 s14, exec_lo, -1
; %bb.5520:                             ;   in Loop: Header=BB2_4995 Depth=3
	s_or_b32 exec_lo, exec_lo, s34
	s_delay_alu instid0(SALU_CYCLE_1)
	s_and_b32 s14, s14, exec_lo
                                        ; implicit-def: $vgpr165
	s_or_saveexec_b32 s31, s31
	v_mov_b32_e32 v132, s30
	s_xor_b32 exec_lo, exec_lo, s31
	s_cbranch_execz .LBB2_5202
.LBB2_5521:                             ;   in Loop: Header=BB2_4995 Depth=3
	v_cmp_ne_u16_e64 vcc_lo, 0, v165
	v_mov_b32_e32 v132, 0
	s_and_not1_b32 s14, s14, exec_lo
	s_delay_alu instid0(VALU_DEP_2) | instskip(NEXT) | instid1(SALU_CYCLE_1)
	s_and_b32 vcc_lo, vcc_lo, exec_lo
	s_or_b32 s14, s14, vcc_lo
	s_or_b32 exec_lo, exec_lo, s31
	s_and_saveexec_b32 s30, s14
	s_cbranch_execnz .LBB2_5203
	s_branch .LBB2_5204
.LBB2_5522:                             ;   in Loop: Header=BB2_4995 Depth=3
	s_mov_b32 s14, -1
	s_mov_b32 s34, exec_lo
                                        ; implicit-def: $sgpr30
	v_cmpx_eq_u16_e64 0x80, v165
; %bb.5523:                             ;   in Loop: Header=BB2_4995 Depth=3
	s_mov_b32 s30, 0x7f800001
	s_xor_b32 s14, exec_lo, -1
; %bb.5524:                             ;   in Loop: Header=BB2_4995 Depth=3
	s_or_b32 exec_lo, exec_lo, s34
	s_delay_alu instid0(SALU_CYCLE_1)
	s_and_b32 s14, s14, exec_lo
                                        ; implicit-def: $vgpr165
	s_or_saveexec_b32 s31, s31
	v_mov_b32_e32 v164, s30
	s_xor_b32 exec_lo, exec_lo, s31
	s_cbranch_execz .LBB2_5214
.LBB2_5525:                             ;   in Loop: Header=BB2_4995 Depth=3
	v_cmp_ne_u16_e64 vcc_lo, 0, v165
	v_mov_b32_e32 v164, 0
	s_and_not1_b32 s14, s14, exec_lo
	s_delay_alu instid0(VALU_DEP_2) | instskip(NEXT) | instid1(SALU_CYCLE_1)
	s_and_b32 vcc_lo, vcc_lo, exec_lo
	s_or_b32 s14, s14, vcc_lo
	s_or_b32 exec_lo, exec_lo, s31
	s_and_saveexec_b32 s30, s14
	s_cbranch_execnz .LBB2_5215
	s_branch .LBB2_5216
.LBB2_5526:                             ;   in Loop: Header=BB2_4995 Depth=3
	s_mov_b32 s14, -1
	s_mov_b32 s34, exec_lo
                                        ; implicit-def: $sgpr30
	v_cmpx_eq_u16_e64 0x80, v144
; %bb.5527:                             ;   in Loop: Header=BB2_4995 Depth=3
	s_mov_b32 s30, 0x7f800001
	s_xor_b32 s14, exec_lo, -1
; %bb.5528:                             ;   in Loop: Header=BB2_4995 Depth=3
	s_or_b32 exec_lo, exec_lo, s34
	s_delay_alu instid0(SALU_CYCLE_1)
	s_and_b32 s14, s14, exec_lo
	s_or_saveexec_b32 s31, s31
	v_mov_b32_e32 v165, s30
	s_xor_b32 exec_lo, exec_lo, s31
	s_cbranch_execz .LBB2_5218
.LBB2_5529:                             ;   in Loop: Header=BB2_4995 Depth=3
	v_cmp_ne_u16_e64 vcc_lo, 0, v144
	v_mov_b32_e32 v165, 0
	s_and_not1_b32 s14, s14, exec_lo
	s_delay_alu instid0(VALU_DEP_2) | instskip(NEXT) | instid1(SALU_CYCLE_1)
	s_and_b32 vcc_lo, vcc_lo, exec_lo
	s_or_b32 s14, s14, vcc_lo
	s_or_b32 exec_lo, exec_lo, s31
	s_and_saveexec_b32 s30, s14
	s_cbranch_execnz .LBB2_5219
	s_branch .LBB2_5220
.LBB2_5530:                             ;   in Loop: Header=BB2_4995 Depth=3
	s_mov_b32 s14, -1
	s_mov_b32 s34, exec_lo
                                        ; implicit-def: $sgpr30
	v_cmpx_eq_u16_e64 0x80, v165
; %bb.5531:                             ;   in Loop: Header=BB2_4995 Depth=3
	s_mov_b32 s30, 0x7f800001
	s_xor_b32 s14, exec_lo, -1
; %bb.5532:                             ;   in Loop: Header=BB2_4995 Depth=3
	s_or_b32 exec_lo, exec_lo, s34
	s_delay_alu instid0(SALU_CYCLE_1)
	s_and_b32 s14, s14, exec_lo
                                        ; implicit-def: $vgpr165
	s_or_saveexec_b32 s31, s31
	v_mov_b32_e32 v164, s30
	s_xor_b32 exec_lo, exec_lo, s31
	s_cbranch_execz .LBB2_5230
.LBB2_5533:                             ;   in Loop: Header=BB2_4995 Depth=3
	v_cmp_ne_u16_e64 vcc_lo, 0, v165
	v_mov_b32_e32 v164, 0
	s_and_not1_b32 s14, s14, exec_lo
	s_delay_alu instid0(VALU_DEP_2) | instskip(NEXT) | instid1(SALU_CYCLE_1)
	s_and_b32 vcc_lo, vcc_lo, exec_lo
	s_or_b32 s14, s14, vcc_lo
	s_or_b32 exec_lo, exec_lo, s31
	s_and_saveexec_b32 s30, s14
	s_cbranch_execnz .LBB2_5231
	s_branch .LBB2_5232
.LBB2_5534:                             ;   in Loop: Header=BB2_4995 Depth=3
	s_mov_b32 s14, -1
	s_mov_b32 s34, exec_lo
                                        ; implicit-def: $sgpr30
	v_cmpx_eq_u16_e64 0x80, v166
; %bb.5535:                             ;   in Loop: Header=BB2_4995 Depth=3
	s_mov_b32 s30, 0x7f800001
	s_xor_b32 s14, exec_lo, -1
; %bb.5536:                             ;   in Loop: Header=BB2_4995 Depth=3
	s_or_b32 exec_lo, exec_lo, s34
	s_delay_alu instid0(SALU_CYCLE_1)
	s_and_b32 s14, s14, exec_lo
                                        ; implicit-def: $vgpr166
	s_or_saveexec_b32 s31, s31
	v_mov_b32_e32 v165, s30
	s_xor_b32 exec_lo, exec_lo, s31
	s_cbranch_execz .LBB2_5234
.LBB2_5537:                             ;   in Loop: Header=BB2_4995 Depth=3
	v_cmp_ne_u16_e64 vcc_lo, 0, v166
	v_mov_b32_e32 v165, 0
	s_and_not1_b32 s14, s14, exec_lo
	s_delay_alu instid0(VALU_DEP_2) | instskip(NEXT) | instid1(SALU_CYCLE_1)
	s_and_b32 vcc_lo, vcc_lo, exec_lo
	s_or_b32 s14, s14, vcc_lo
	s_or_b32 exec_lo, exec_lo, s31
	s_and_saveexec_b32 s30, s14
	s_cbranch_execnz .LBB2_5235
	s_branch .LBB2_5236
.LBB2_5538:                             ;   in Loop: Header=BB2_4995 Depth=3
	s_mov_b32 s14, -1
	s_mov_b32 s34, exec_lo
                                        ; implicit-def: $sgpr30
	v_cmpx_eq_u16_e64 0x80, v165
; %bb.5539:                             ;   in Loop: Header=BB2_4995 Depth=3
	s_mov_b32 s30, 0x7f800001
	s_xor_b32 s14, exec_lo, -1
; %bb.5540:                             ;   in Loop: Header=BB2_4995 Depth=3
	s_or_b32 exec_lo, exec_lo, s34
	s_delay_alu instid0(SALU_CYCLE_1)
	s_and_b32 s14, s14, exec_lo
	s_or_saveexec_b32 s31, s31
	v_mov_b32_e32 v164, s30
	s_xor_b32 exec_lo, exec_lo, s31
	s_cbranch_execz .LBB2_5246
.LBB2_5541:                             ;   in Loop: Header=BB2_4995 Depth=3
	v_cmp_ne_u16_e64 vcc_lo, 0, v165
	v_mov_b32_e32 v164, 0
	s_and_not1_b32 s14, s14, exec_lo
	s_delay_alu instid0(VALU_DEP_2) | instskip(NEXT) | instid1(SALU_CYCLE_1)
	s_and_b32 vcc_lo, vcc_lo, exec_lo
	s_or_b32 s14, s14, vcc_lo
	s_or_b32 exec_lo, exec_lo, s31
	s_and_saveexec_b32 s30, s14
	s_cbranch_execnz .LBB2_5247
	s_branch .LBB2_5248
.LBB2_5542:                             ;   in Loop: Header=BB2_4995 Depth=3
	s_mov_b32 s14, -1
	s_mov_b32 s34, exec_lo
                                        ; implicit-def: $sgpr30
	v_cmpx_eq_u16_e64 0x80, v161
; %bb.5543:                             ;   in Loop: Header=BB2_4995 Depth=3
	s_mov_b32 s30, 0x7f800001
	s_xor_b32 s14, exec_lo, -1
; %bb.5544:                             ;   in Loop: Header=BB2_4995 Depth=3
	s_or_b32 exec_lo, exec_lo, s34
	s_delay_alu instid0(SALU_CYCLE_1)
	s_and_b32 s14, s14, exec_lo
	s_or_saveexec_b32 s31, s31
	v_mov_b32_e32 v165, s30
	s_xor_b32 exec_lo, exec_lo, s31
	s_cbranch_execz .LBB2_5250
.LBB2_5545:                             ;   in Loop: Header=BB2_4995 Depth=3
	v_cmp_ne_u16_e64 vcc_lo, 0, v161
	v_mov_b32_e32 v165, 0
	s_and_not1_b32 s14, s14, exec_lo
	s_delay_alu instid0(VALU_DEP_2) | instskip(NEXT) | instid1(SALU_CYCLE_1)
	s_and_b32 vcc_lo, vcc_lo, exec_lo
	s_or_b32 s14, s14, vcc_lo
	s_or_b32 exec_lo, exec_lo, s31
	s_and_saveexec_b32 s30, s14
	s_cbranch_execnz .LBB2_5251
	s_branch .LBB2_5252
.LBB2_5546:                             ;   in Loop: Header=BB2_4995 Depth=3
	s_mov_b32 s14, -1
	s_mov_b32 s34, exec_lo
                                        ; implicit-def: $sgpr30
	v_cmpx_eq_u16_e64 0x80, v161
; %bb.5547:                             ;   in Loop: Header=BB2_4995 Depth=3
	s_mov_b32 s30, 0x7f800001
	s_xor_b32 s14, exec_lo, -1
; %bb.5548:                             ;   in Loop: Header=BB2_4995 Depth=3
	s_or_b32 exec_lo, exec_lo, s34
	s_delay_alu instid0(SALU_CYCLE_1)
	s_and_b32 s14, s14, exec_lo
                                        ; implicit-def: $vgpr161
	s_or_saveexec_b32 s31, s31
	v_mov_b32_e32 v160, s30
	s_xor_b32 exec_lo, exec_lo, s31
	s_cbranch_execz .LBB2_5262
.LBB2_5549:                             ;   in Loop: Header=BB2_4995 Depth=3
	v_cmp_ne_u16_e64 vcc_lo, 0, v161
	v_mov_b32_e32 v160, 0
	s_and_not1_b32 s14, s14, exec_lo
	s_delay_alu instid0(VALU_DEP_2) | instskip(NEXT) | instid1(SALU_CYCLE_1)
	s_and_b32 vcc_lo, vcc_lo, exec_lo
	s_or_b32 s14, s14, vcc_lo
	s_or_b32 exec_lo, exec_lo, s31
	s_and_saveexec_b32 s30, s14
	s_cbranch_execnz .LBB2_5263
	s_branch .LBB2_5264
.LBB2_5550:                             ;   in Loop: Header=BB2_4995 Depth=3
	s_mov_b32 s14, -1
	s_mov_b32 s34, exec_lo
                                        ; implicit-def: $sgpr30
	v_cmpx_eq_u16_e64 0x80, v164
; %bb.5551:                             ;   in Loop: Header=BB2_4995 Depth=3
	s_mov_b32 s30, 0x7f800001
	s_xor_b32 s14, exec_lo, -1
; %bb.5552:                             ;   in Loop: Header=BB2_4995 Depth=3
	s_or_b32 exec_lo, exec_lo, s34
	s_delay_alu instid0(SALU_CYCLE_1)
	s_and_b32 s14, s14, exec_lo
                                        ; implicit-def: $vgpr164
	s_or_saveexec_b32 s31, s31
	v_mov_b32_e32 v161, s30
	s_xor_b32 exec_lo, exec_lo, s31
	s_cbranch_execz .LBB2_5266
.LBB2_5553:                             ;   in Loop: Header=BB2_4995 Depth=3
	v_cmp_ne_u16_e64 vcc_lo, 0, v164
	v_mov_b32_e32 v161, 0
	s_and_not1_b32 s14, s14, exec_lo
	s_delay_alu instid0(VALU_DEP_2) | instskip(NEXT) | instid1(SALU_CYCLE_1)
	s_and_b32 vcc_lo, vcc_lo, exec_lo
	s_or_b32 s14, s14, vcc_lo
	s_or_b32 exec_lo, exec_lo, s31
	s_and_saveexec_b32 s30, s14
	s_cbranch_execnz .LBB2_5267
	s_branch .LBB2_5268
.LBB2_5554:                             ;   in Loop: Header=BB2_4995 Depth=3
	s_mov_b32 s14, -1
	s_mov_b32 s34, exec_lo
                                        ; implicit-def: $sgpr30
	v_cmpx_eq_u16_e64 0x80, v164
; %bb.5555:                             ;   in Loop: Header=BB2_4995 Depth=3
	s_mov_b32 s30, 0x7f800001
	s_xor_b32 s14, exec_lo, -1
; %bb.5556:                             ;   in Loop: Header=BB2_4995 Depth=3
	s_or_b32 exec_lo, exec_lo, s34
	s_delay_alu instid0(SALU_CYCLE_1)
	s_and_b32 s14, s14, exec_lo
	s_or_saveexec_b32 s31, s31
	v_mov_b32_e32 v161, s30
	s_xor_b32 exec_lo, exec_lo, s31
	s_cbranch_execz .LBB2_5278
.LBB2_5557:                             ;   in Loop: Header=BB2_4995 Depth=3
	v_cmp_ne_u16_e64 vcc_lo, 0, v164
	v_mov_b32_e32 v161, 0
	s_and_not1_b32 s14, s14, exec_lo
	s_delay_alu instid0(VALU_DEP_2) | instskip(NEXT) | instid1(SALU_CYCLE_1)
	s_and_b32 vcc_lo, vcc_lo, exec_lo
	s_or_b32 s14, s14, vcc_lo
	s_or_b32 exec_lo, exec_lo, s31
	s_and_saveexec_b32 s30, s14
	s_cbranch_execnz .LBB2_5279
	s_branch .LBB2_5280
.LBB2_5558:                             ;   in Loop: Header=BB2_4995 Depth=3
	s_mov_b32 s14, -1
	s_mov_b32 s34, exec_lo
                                        ; implicit-def: $sgpr30
	v_cmpx_eq_u16_e64 0x80, v164
; %bb.5559:                             ;   in Loop: Header=BB2_4995 Depth=3
	s_mov_b32 s30, 0x7f800001
	s_xor_b32 s14, exec_lo, -1
; %bb.5560:                             ;   in Loop: Header=BB2_4995 Depth=3
	s_or_b32 exec_lo, exec_lo, s34
	s_delay_alu instid0(SALU_CYCLE_1)
	s_and_b32 s14, s14, exec_lo
	s_or_saveexec_b32 s31, s31
	v_mov_b32_e32 v165, s30
	s_xor_b32 exec_lo, exec_lo, s31
	s_cbranch_execz .LBB2_5282
.LBB2_5561:                             ;   in Loop: Header=BB2_4995 Depth=3
	v_cmp_ne_u16_e64 vcc_lo, 0, v164
	v_mov_b32_e32 v165, 0
	s_and_not1_b32 s14, s14, exec_lo
	s_delay_alu instid0(VALU_DEP_2) | instskip(NEXT) | instid1(SALU_CYCLE_1)
	s_and_b32 vcc_lo, vcc_lo, exec_lo
	s_or_b32 s14, s14, vcc_lo
	s_or_b32 exec_lo, exec_lo, s31
	s_and_saveexec_b32 s30, s14
	s_cbranch_execnz .LBB2_5283
	s_branch .LBB2_5284
.LBB2_5562:                             ;   in Loop: Header=BB2_4995 Depth=3
	s_mov_b32 s14, -1
	s_mov_b32 s34, exec_lo
                                        ; implicit-def: $sgpr30
	v_cmpx_eq_u16_e64 0x80, v164
; %bb.5563:                             ;   in Loop: Header=BB2_4995 Depth=3
	s_mov_b32 s30, 0x7f800001
	s_xor_b32 s14, exec_lo, -1
; %bb.5564:                             ;   in Loop: Header=BB2_4995 Depth=3
	s_or_b32 exec_lo, exec_lo, s34
	s_delay_alu instid0(SALU_CYCLE_1)
	s_and_b32 s14, s14, exec_lo
                                        ; implicit-def: $vgpr164
	s_or_saveexec_b32 s31, s31
	v_mov_b32_e32 v151, s30
	s_xor_b32 exec_lo, exec_lo, s31
	s_cbranch_execz .LBB2_5294
.LBB2_5565:                             ;   in Loop: Header=BB2_4995 Depth=3
	v_cmp_ne_u16_e64 vcc_lo, 0, v164
	v_mov_b32_e32 v151, 0
	s_and_not1_b32 s14, s14, exec_lo
	s_delay_alu instid0(VALU_DEP_2) | instskip(NEXT) | instid1(SALU_CYCLE_1)
	s_and_b32 vcc_lo, vcc_lo, exec_lo
	s_or_b32 s14, s14, vcc_lo
	s_or_b32 exec_lo, exec_lo, s31
	v_lshl_or_b32 v162, v162, 16, v163
	s_and_saveexec_b32 s30, s14
	s_cbranch_execnz .LBB2_5295
	s_branch .LBB2_5296
.LBB2_5566:                             ;   in Loop: Header=BB2_4995 Depth=3
	s_mov_b32 s14, -1
	s_mov_b32 s34, exec_lo
                                        ; implicit-def: $sgpr30
	v_cmpx_eq_u16_e64 0x80, v165
; %bb.5567:                             ;   in Loop: Header=BB2_4995 Depth=3
	s_mov_b32 s30, 0x7f800001
	s_xor_b32 s14, exec_lo, -1
; %bb.5568:                             ;   in Loop: Header=BB2_4995 Depth=3
	s_or_b32 exec_lo, exec_lo, s34
	s_delay_alu instid0(SALU_CYCLE_1)
	s_and_b32 s14, s14, exec_lo
                                        ; implicit-def: $vgpr165
	s_or_saveexec_b32 s31, s31
	v_mov_b32_e32 v164, s30
	s_xor_b32 exec_lo, exec_lo, s31
	s_cbranch_execz .LBB2_5298
.LBB2_5569:                             ;   in Loop: Header=BB2_4995 Depth=3
	v_cmp_ne_u16_e64 vcc_lo, 0, v165
	v_mov_b32_e32 v164, 0
	s_and_not1_b32 s14, s14, exec_lo
	s_delay_alu instid0(VALU_DEP_2) | instskip(NEXT) | instid1(SALU_CYCLE_1)
	s_and_b32 vcc_lo, vcc_lo, exec_lo
	s_or_b32 s14, s14, vcc_lo
	s_or_b32 exec_lo, exec_lo, s31
	s_and_saveexec_b32 s30, s14
	s_cbranch_execnz .LBB2_5299
	s_branch .LBB2_5300
.LBB2_5570:                             ;   in Loop: Header=BB2_4995 Depth=3
	s_mov_b32 s14, -1
	s_mov_b32 s34, exec_lo
                                        ; implicit-def: $sgpr30
	v_cmpx_eq_u16_e64 0x80, v164
; %bb.5571:                             ;   in Loop: Header=BB2_4995 Depth=3
	s_mov_b32 s30, 0x7f800001
	s_xor_b32 s14, exec_lo, -1
; %bb.5572:                             ;   in Loop: Header=BB2_4995 Depth=3
	s_or_b32 exec_lo, exec_lo, s34
	s_delay_alu instid0(SALU_CYCLE_1)
	s_and_b32 s14, s14, exec_lo
	s_or_saveexec_b32 s31, s31
	v_mov_b32_e32 v163, s30
	s_xor_b32 exec_lo, exec_lo, s31
	s_cbranch_execz .LBB2_5310
.LBB2_5573:                             ;   in Loop: Header=BB2_4995 Depth=3
	v_cmp_ne_u16_e64 vcc_lo, 0, v164
	v_mov_b32_e32 v163, 0
	s_and_not1_b32 s14, s14, exec_lo
	s_delay_alu instid0(VALU_DEP_2) | instskip(NEXT) | instid1(SALU_CYCLE_1)
	s_and_b32 vcc_lo, vcc_lo, exec_lo
	s_or_b32 s14, s14, vcc_lo
	s_or_b32 exec_lo, exec_lo, s31
	s_and_saveexec_b32 s30, s14
	s_cbranch_execnz .LBB2_5311
	s_branch .LBB2_5312
.LBB2_5574:                             ;   in Loop: Header=BB2_4995 Depth=3
	s_mov_b32 s14, -1
	s_mov_b32 s34, exec_lo
                                        ; implicit-def: $sgpr30
	v_cmpx_eq_u16_e64 0x80, v162
; %bb.5575:                             ;   in Loop: Header=BB2_4995 Depth=3
	s_mov_b32 s30, 0x7f800001
	s_xor_b32 s14, exec_lo, -1
; %bb.5576:                             ;   in Loop: Header=BB2_4995 Depth=3
	s_or_b32 exec_lo, exec_lo, s34
	s_delay_alu instid0(SALU_CYCLE_1)
	s_and_b32 s14, s14, exec_lo
	s_or_saveexec_b32 s31, s31
	v_mov_b32_e32 v164, s30
	s_xor_b32 exec_lo, exec_lo, s31
	s_cbranch_execz .LBB2_5314
.LBB2_5577:                             ;   in Loop: Header=BB2_4995 Depth=3
	v_cmp_ne_u16_e64 vcc_lo, 0, v162
	v_mov_b32_e32 v164, 0
	s_and_not1_b32 s14, s14, exec_lo
	s_delay_alu instid0(VALU_DEP_2) | instskip(NEXT) | instid1(SALU_CYCLE_1)
	s_and_b32 vcc_lo, vcc_lo, exec_lo
	s_or_b32 s14, s14, vcc_lo
	s_or_b32 exec_lo, exec_lo, s31
	s_and_saveexec_b32 s30, s14
	s_cbranch_execnz .LBB2_5315
	s_branch .LBB2_5316
.LBB2_5578:                             ;   in Loop: Header=BB2_4995 Depth=3
	s_mov_b32 s14, -1
	s_mov_b32 s34, exec_lo
                                        ; implicit-def: $sgpr30
	v_cmpx_eq_u16_e64 0x80, v163
; %bb.5579:                             ;   in Loop: Header=BB2_4995 Depth=3
	s_mov_b32 s30, 0x7f800001
	s_xor_b32 s14, exec_lo, -1
; %bb.5580:                             ;   in Loop: Header=BB2_4995 Depth=3
	s_or_b32 exec_lo, exec_lo, s34
	s_delay_alu instid0(SALU_CYCLE_1)
	s_and_b32 s14, s14, exec_lo
                                        ; implicit-def: $vgpr163
	s_or_saveexec_b32 s31, s31
	v_mov_b32_e32 v162, s30
	s_xor_b32 exec_lo, exec_lo, s31
	s_cbranch_execz .LBB2_5326
.LBB2_5581:                             ;   in Loop: Header=BB2_4995 Depth=3
	v_cmp_ne_u16_e64 vcc_lo, 0, v163
	v_mov_b32_e32 v162, 0
	s_and_not1_b32 s14, s14, exec_lo
	s_delay_alu instid0(VALU_DEP_2) | instskip(NEXT) | instid1(SALU_CYCLE_1)
	s_and_b32 vcc_lo, vcc_lo, exec_lo
	s_or_b32 s14, s14, vcc_lo
	s_or_b32 exec_lo, exec_lo, s31
	s_and_saveexec_b32 s30, s14
	s_cbranch_execnz .LBB2_5327
	s_branch .LBB2_5328
.LBB2_5582:                             ;   in Loop: Header=BB2_4995 Depth=3
	s_mov_b32 s14, -1
	s_mov_b32 s34, exec_lo
                                        ; implicit-def: $sgpr30
	v_cmpx_eq_u16_e64 0x80, v163
; %bb.5583:                             ;   in Loop: Header=BB2_4995 Depth=3
	s_mov_b32 s30, 0x7f800001
	s_xor_b32 s14, exec_lo, -1
; %bb.5584:                             ;   in Loop: Header=BB2_4995 Depth=3
	s_or_b32 exec_lo, exec_lo, s34
	s_delay_alu instid0(SALU_CYCLE_1)
	s_and_b32 s14, s14, exec_lo
                                        ; implicit-def: $vgpr163
	s_or_saveexec_b32 s31, s31
	v_mov_b32_e32 v149, s30
	s_xor_b32 exec_lo, exec_lo, s31
	s_cbranch_execz .LBB2_5330
.LBB2_5585:                             ;   in Loop: Header=BB2_4995 Depth=3
	v_cmp_ne_u16_e64 vcc_lo, 0, v163
	v_mov_b32_e32 v149, 0
	s_and_not1_b32 s14, s14, exec_lo
	s_delay_alu instid0(VALU_DEP_2) | instskip(NEXT) | instid1(SALU_CYCLE_1)
	s_and_b32 vcc_lo, vcc_lo, exec_lo
	s_or_b32 s14, s14, vcc_lo
	s_or_b32 exec_lo, exec_lo, s31
	s_and_saveexec_b32 s30, s14
	s_cbranch_execnz .LBB2_5331
	s_branch .LBB2_5332
.LBB2_5586:                             ;   in Loop: Header=BB2_4995 Depth=3
	s_mov_b32 s14, -1
	s_mov_b32 s34, exec_lo
                                        ; implicit-def: $sgpr30
	v_cmpx_eq_u16_e64 0x80, v163
; %bb.5587:                             ;   in Loop: Header=BB2_4995 Depth=3
	s_mov_b32 s30, 0x7f800001
	s_xor_b32 s14, exec_lo, -1
; %bb.5588:                             ;   in Loop: Header=BB2_4995 Depth=3
	s_or_b32 exec_lo, exec_lo, s34
	s_delay_alu instid0(SALU_CYCLE_1)
	s_and_b32 s14, s14, exec_lo
                                        ; implicit-def: $vgpr163
	s_or_saveexec_b32 s31, s31
	v_mov_b32_e32 v162, s30
	s_xor_b32 exec_lo, exec_lo, s31
	s_cbranch_execz .LBB2_5342
.LBB2_5589:                             ;   in Loop: Header=BB2_4995 Depth=3
	v_cmp_ne_u16_e64 vcc_lo, 0, v163
	v_mov_b32_e32 v162, 0
	s_and_not1_b32 s14, s14, exec_lo
	s_delay_alu instid0(VALU_DEP_2) | instskip(NEXT) | instid1(SALU_CYCLE_1)
	s_and_b32 vcc_lo, vcc_lo, exec_lo
	s_or_b32 s14, s14, vcc_lo
	s_or_b32 exec_lo, exec_lo, s31
	s_and_saveexec_b32 s30, s14
	s_cbranch_execnz .LBB2_5343
	s_branch .LBB2_5344
.LBB2_5590:                             ;   in Loop: Header=BB2_4995 Depth=3
	s_mov_b32 s14, -1
	s_mov_b32 s34, exec_lo
                                        ; implicit-def: $sgpr30
	v_cmpx_eq_u16_e64 0x80, v147
; %bb.5591:                             ;   in Loop: Header=BB2_4995 Depth=3
	s_mov_b32 s30, 0x7f800001
	s_xor_b32 s14, exec_lo, -1
; %bb.5592:                             ;   in Loop: Header=BB2_4995 Depth=3
	s_or_b32 exec_lo, exec_lo, s34
	s_delay_alu instid0(SALU_CYCLE_1)
	s_and_b32 s14, s14, exec_lo
	s_or_saveexec_b32 s31, s31
	v_mov_b32_e32 v163, s30
	s_xor_b32 exec_lo, exec_lo, s31
	s_cbranch_execz .LBB2_5346
.LBB2_5593:                             ;   in Loop: Header=BB2_4995 Depth=3
	v_cmp_ne_u16_e64 vcc_lo, 0, v147
	v_mov_b32_e32 v163, 0
	s_and_not1_b32 s14, s14, exec_lo
	s_delay_alu instid0(VALU_DEP_2) | instskip(NEXT) | instid1(SALU_CYCLE_1)
	s_and_b32 vcc_lo, vcc_lo, exec_lo
	s_or_b32 s14, s14, vcc_lo
	s_or_b32 exec_lo, exec_lo, s31
	s_and_saveexec_b32 s30, s14
	s_cbranch_execnz .LBB2_5347
	s_branch .LBB2_5348
.LBB2_5594:                             ;   in Loop: Header=BB2_4995 Depth=3
	s_mov_b32 s14, -1
	s_mov_b32 s34, exec_lo
                                        ; implicit-def: $sgpr30
	v_cmpx_eq_u16_e64 0x80, v163
; %bb.5595:                             ;   in Loop: Header=BB2_4995 Depth=3
	s_mov_b32 s30, 0x7f800001
	s_xor_b32 s14, exec_lo, -1
; %bb.5596:                             ;   in Loop: Header=BB2_4995 Depth=3
	s_or_b32 exec_lo, exec_lo, s34
	s_delay_alu instid0(SALU_CYCLE_1)
	s_and_b32 s14, s14, exec_lo
                                        ; implicit-def: $vgpr163
	s_or_saveexec_b32 s31, s31
	v_mov_b32_e32 v162, s30
	s_xor_b32 exec_lo, exec_lo, s31
	s_cbranch_execz .LBB2_5358
.LBB2_5597:                             ;   in Loop: Header=BB2_4995 Depth=3
	v_cmp_ne_u16_e64 vcc_lo, 0, v163
	v_mov_b32_e32 v162, 0
	s_and_not1_b32 s14, s14, exec_lo
	s_delay_alu instid0(VALU_DEP_2) | instskip(NEXT) | instid1(SALU_CYCLE_1)
	s_and_b32 vcc_lo, vcc_lo, exec_lo
	s_or_b32 s14, s14, vcc_lo
	s_or_b32 exec_lo, exec_lo, s31
	s_and_saveexec_b32 s30, s14
	s_cbranch_execnz .LBB2_5359
	s_branch .LBB2_5360
.LBB2_5598:                             ;   in Loop: Header=BB2_4995 Depth=3
	s_mov_b32 s14, -1
	s_mov_b32 s34, exec_lo
                                        ; implicit-def: $sgpr30
	v_cmpx_eq_u16_e64 0x80, v164
; %bb.5599:                             ;   in Loop: Header=BB2_4995 Depth=3
	s_mov_b32 s30, 0x7f800001
	s_xor_b32 s14, exec_lo, -1
; %bb.5600:                             ;   in Loop: Header=BB2_4995 Depth=3
	s_or_b32 exec_lo, exec_lo, s34
	s_delay_alu instid0(SALU_CYCLE_1)
	s_and_b32 s14, s14, exec_lo
                                        ; implicit-def: $vgpr164
	s_or_saveexec_b32 s31, s31
	v_mov_b32_e32 v163, s30
	s_xor_b32 exec_lo, exec_lo, s31
	s_cbranch_execz .LBB2_5362
.LBB2_5601:                             ;   in Loop: Header=BB2_4995 Depth=3
	v_cmp_ne_u16_e64 vcc_lo, 0, v164
	v_mov_b32_e32 v163, 0
	s_and_not1_b32 s14, s14, exec_lo
	s_delay_alu instid0(VALU_DEP_2) | instskip(NEXT) | instid1(SALU_CYCLE_1)
	s_and_b32 vcc_lo, vcc_lo, exec_lo
	s_or_b32 s14, s14, vcc_lo
	s_or_b32 exec_lo, exec_lo, s31
	s_and_saveexec_b32 s30, s14
	s_cbranch_execnz .LBB2_5363
	s_branch .LBB2_5364
.LBB2_5602:                             ;   in Loop: Header=BB2_4995 Depth=3
	s_mov_b32 s14, -1
	s_mov_b32 s34, exec_lo
                                        ; implicit-def: $sgpr30
	v_cmpx_eq_u16_e64 0x80, v163
; %bb.5603:                             ;   in Loop: Header=BB2_4995 Depth=3
	s_mov_b32 s30, 0x7f800001
	s_xor_b32 s14, exec_lo, -1
; %bb.5604:                             ;   in Loop: Header=BB2_4995 Depth=3
	s_or_b32 exec_lo, exec_lo, s34
	s_delay_alu instid0(SALU_CYCLE_1)
	s_and_b32 s14, s14, exec_lo
	s_or_saveexec_b32 s31, s31
	v_mov_b32_e32 v162, s30
	s_xor_b32 exec_lo, exec_lo, s31
	s_cbranch_execz .LBB2_5374
.LBB2_5605:                             ;   in Loop: Header=BB2_4995 Depth=3
	v_cmp_ne_u16_e64 vcc_lo, 0, v163
	v_mov_b32_e32 v162, 0
	s_and_not1_b32 s14, s14, exec_lo
	s_delay_alu instid0(VALU_DEP_2) | instskip(NEXT) | instid1(SALU_CYCLE_1)
	s_and_b32 vcc_lo, vcc_lo, exec_lo
	s_or_b32 s14, s14, vcc_lo
	s_or_b32 exec_lo, exec_lo, s31
	s_and_saveexec_b32 s30, s14
	s_cbranch_execnz .LBB2_5375
	s_branch .LBB2_5376
.LBB2_5606:                             ;   in Loop: Header=BB2_4995 Depth=3
	s_mov_b32 s14, -1
	s_mov_b32 s34, exec_lo
                                        ; implicit-def: $sgpr30
	v_cmpx_eq_u16_e64 0x80, v135
; %bb.5607:                             ;   in Loop: Header=BB2_4995 Depth=3
	s_mov_b32 s30, 0x7f800001
	s_xor_b32 s14, exec_lo, -1
; %bb.5608:                             ;   in Loop: Header=BB2_4995 Depth=3
	s_or_b32 exec_lo, exec_lo, s34
	s_delay_alu instid0(SALU_CYCLE_1)
	s_and_b32 s14, s14, exec_lo
	s_or_saveexec_b32 s31, s31
	v_mov_b32_e32 v163, s30
	s_xor_b32 exec_lo, exec_lo, s31
	s_cbranch_execz .LBB2_5378
.LBB2_5609:                             ;   in Loop: Header=BB2_4995 Depth=3
	v_cmp_ne_u16_e64 vcc_lo, 0, v135
	v_mov_b32_e32 v163, 0
	s_and_not1_b32 s14, s14, exec_lo
	s_delay_alu instid0(VALU_DEP_2) | instskip(NEXT) | instid1(SALU_CYCLE_1)
	s_and_b32 vcc_lo, vcc_lo, exec_lo
	s_or_b32 s14, s14, vcc_lo
	s_or_b32 exec_lo, exec_lo, s31
	s_and_saveexec_b32 s30, s14
	s_cbranch_execnz .LBB2_5379
	s_branch .LBB2_5380
.LBB2_5610:                             ;   in Loop: Header=BB2_4995 Depth=3
	s_mov_b32 s14, -1
	s_mov_b32 s34, exec_lo
                                        ; implicit-def: $sgpr30
	v_cmpx_eq_u16_e64 0x80, v148
; %bb.5611:                             ;   in Loop: Header=BB2_4995 Depth=3
	s_mov_b32 s30, 0x7f800001
	s_xor_b32 s14, exec_lo, -1
; %bb.5612:                             ;   in Loop: Header=BB2_4995 Depth=3
	s_or_b32 exec_lo, exec_lo, s34
	s_delay_alu instid0(SALU_CYCLE_1)
	s_and_b32 s14, s14, exec_lo
                                        ; implicit-def: $vgpr148
	s_or_saveexec_b32 s31, s31
	v_mov_b32_e32 v134, s30
	s_xor_b32 exec_lo, exec_lo, s31
	s_cbranch_execz .LBB2_5390
.LBB2_5613:                             ;   in Loop: Header=BB2_4995 Depth=3
	v_cmp_ne_u16_e64 vcc_lo, 0, v148
	v_mov_b32_e32 v134, 0
	s_and_not1_b32 s14, s14, exec_lo
	s_delay_alu instid0(VALU_DEP_2) | instskip(NEXT) | instid1(SALU_CYCLE_1)
	s_and_b32 vcc_lo, vcc_lo, exec_lo
	s_or_b32 s14, s14, vcc_lo
	s_or_b32 exec_lo, exec_lo, s31
	s_and_saveexec_b32 s30, s14
	s_cbranch_execnz .LBB2_5391
	s_branch .LBB2_5392
.LBB2_5614:                             ;   in Loop: Header=BB2_4995 Depth=3
	s_mov_b32 s14, -1
	s_mov_b32 s34, exec_lo
                                        ; implicit-def: $sgpr30
	v_cmpx_eq_u16_e64 0x80, v162
; %bb.5615:                             ;   in Loop: Header=BB2_4995 Depth=3
	s_mov_b32 s30, 0x7f800001
	s_xor_b32 s14, exec_lo, -1
; %bb.5616:                             ;   in Loop: Header=BB2_4995 Depth=3
	s_or_b32 exec_lo, exec_lo, s34
	s_delay_alu instid0(SALU_CYCLE_1)
	s_and_b32 s14, s14, exec_lo
                                        ; implicit-def: $vgpr162
	s_or_saveexec_b32 s31, s31
	v_mov_b32_e32 v148, s30
	s_xor_b32 exec_lo, exec_lo, s31
	s_cbranch_execz .LBB2_5394
.LBB2_5617:                             ;   in Loop: Header=BB2_4995 Depth=3
	v_cmp_ne_u16_e64 vcc_lo, 0, v162
	v_mov_b32_e32 v148, 0
	s_and_not1_b32 s14, s14, exec_lo
	s_delay_alu instid0(VALU_DEP_2) | instskip(NEXT) | instid1(SALU_CYCLE_1)
	s_and_b32 vcc_lo, vcc_lo, exec_lo
	s_or_b32 s14, s14, vcc_lo
	s_or_b32 exec_lo, exec_lo, s31
	s_and_saveexec_b32 s30, s14
	s_cbranch_execnz .LBB2_5395
	s_branch .LBB2_5396
.LBB2_5618:                             ;   in Loop: Header=BB2_4995 Depth=3
	s_mov_b32 s14, -1
	s_mov_b32 s34, exec_lo
                                        ; implicit-def: $sgpr30
	v_cmpx_eq_u16_e64 0x80, v162
; %bb.5619:                             ;   in Loop: Header=BB2_4995 Depth=3
	s_mov_b32 s30, 0x7f800001
	s_xor_b32 s14, exec_lo, -1
; %bb.5620:                             ;   in Loop: Header=BB2_4995 Depth=3
	s_or_b32 exec_lo, exec_lo, s34
	s_delay_alu instid0(SALU_CYCLE_1)
	s_and_b32 s14, s14, exec_lo
	s_or_saveexec_b32 s31, s31
	v_mov_b32_e32 v148, s30
	s_xor_b32 exec_lo, exec_lo, s31
	s_cbranch_execz .LBB2_5406
.LBB2_5621:                             ;   in Loop: Header=BB2_4995 Depth=3
	v_cmp_ne_u16_e64 vcc_lo, 0, v162
	v_mov_b32_e32 v148, 0
	s_and_not1_b32 s14, s14, exec_lo
	s_delay_alu instid0(VALU_DEP_2) | instskip(NEXT) | instid1(SALU_CYCLE_1)
	s_and_b32 vcc_lo, vcc_lo, exec_lo
	s_or_b32 s14, s14, vcc_lo
	s_or_b32 exec_lo, exec_lo, s31
	s_and_saveexec_b32 s30, s14
	s_cbranch_execnz .LBB2_5407
	s_branch .LBB2_5408
.LBB2_5622:                             ;   in Loop: Header=BB2_4995 Depth=3
	s_mov_b32 s14, -1
	s_mov_b32 s34, exec_lo
                                        ; implicit-def: $sgpr30
	v_cmpx_eq_u16_e64 0x80, v162
; %bb.5623:                             ;   in Loop: Header=BB2_4995 Depth=3
	s_mov_b32 s30, 0x7f800001
	s_xor_b32 s14, exec_lo, -1
; %bb.5624:                             ;   in Loop: Header=BB2_4995 Depth=3
	s_or_b32 exec_lo, exec_lo, s34
	s_delay_alu instid0(SALU_CYCLE_1)
	s_and_b32 s14, s14, exec_lo
	s_or_saveexec_b32 s31, s31
	v_mov_b32_e32 v163, s30
	s_xor_b32 exec_lo, exec_lo, s31
	s_cbranch_execz .LBB2_5410
.LBB2_5625:                             ;   in Loop: Header=BB2_4995 Depth=3
	v_cmp_ne_u16_e64 vcc_lo, 0, v162
	v_mov_b32_e32 v163, 0
	s_and_not1_b32 s14, s14, exec_lo
	s_delay_alu instid0(VALU_DEP_2) | instskip(NEXT) | instid1(SALU_CYCLE_1)
	s_and_b32 vcc_lo, vcc_lo, exec_lo
	s_or_b32 s14, s14, vcc_lo
	s_or_b32 exec_lo, exec_lo, s31
	s_and_saveexec_b32 s30, s14
	s_cbranch_execnz .LBB2_5411
	s_branch .LBB2_5412
.LBB2_5626:                             ;   in Loop: Header=BB2_4995 Depth=3
	s_mov_b32 s14, -1
	s_mov_b32 s34, exec_lo
                                        ; implicit-def: $sgpr30
	v_cmpx_eq_u16_e64 0x80, v162
; %bb.5627:                             ;   in Loop: Header=BB2_4995 Depth=3
	s_mov_b32 s30, 0x7f800001
	s_xor_b32 s14, exec_lo, -1
; %bb.5628:                             ;   in Loop: Header=BB2_4995 Depth=3
	s_or_b32 exec_lo, exec_lo, s34
	s_delay_alu instid0(SALU_CYCLE_1)
	s_and_b32 s14, s14, exec_lo
                                        ; implicit-def: $vgpr162
	s_or_saveexec_b32 s31, s31
	v_mov_b32_e32 v133, s30
	s_xor_b32 exec_lo, exec_lo, s31
	s_cbranch_execz .LBB2_5422
.LBB2_5629:                             ;   in Loop: Header=BB2_4995 Depth=3
	v_cmp_ne_u16_e64 vcc_lo, 0, v162
	v_mov_b32_e32 v133, 0
	s_and_not1_b32 s14, s14, exec_lo
	s_delay_alu instid0(VALU_DEP_2) | instskip(NEXT) | instid1(SALU_CYCLE_1)
	s_and_b32 vcc_lo, vcc_lo, exec_lo
	s_or_b32 s14, s14, vcc_lo
	s_or_b32 exec_lo, exec_lo, s31
	v_lshl_or_b32 v135, v145, 16, v135
	s_and_saveexec_b32 s30, s14
	s_cbranch_execnz .LBB2_5423
	s_branch .LBB2_5424
.LBB2_5630:                             ;   in Loop: Header=BB2_4995 Depth=3
	s_mov_b32 s14, -1
	s_mov_b32 s34, exec_lo
                                        ; implicit-def: $sgpr30
	v_cmpx_eq_u16_e64 0x80, v163
; %bb.5631:                             ;   in Loop: Header=BB2_4995 Depth=3
	s_mov_b32 s30, 0x7f800001
	s_xor_b32 s14, exec_lo, -1
; %bb.5632:                             ;   in Loop: Header=BB2_4995 Depth=3
	s_or_b32 exec_lo, exec_lo, s34
	s_delay_alu instid0(SALU_CYCLE_1)
	s_and_b32 s14, s14, exec_lo
                                        ; implicit-def: $vgpr163
	s_or_saveexec_b32 s31, s31
	v_mov_b32_e32 v162, s30
	s_xor_b32 exec_lo, exec_lo, s31
	s_cbranch_execz .LBB2_5426
.LBB2_5633:                             ;   in Loop: Header=BB2_4995 Depth=3
	v_cmp_ne_u16_e64 vcc_lo, 0, v163
	v_mov_b32_e32 v162, 0
	s_and_not1_b32 s14, s14, exec_lo
	s_delay_alu instid0(VALU_DEP_2) | instskip(NEXT) | instid1(SALU_CYCLE_1)
	s_and_b32 vcc_lo, vcc_lo, exec_lo
	s_or_b32 s14, s14, vcc_lo
	s_or_b32 exec_lo, exec_lo, s31
	s_and_saveexec_b32 s30, s14
	s_cbranch_execnz .LBB2_5427
	s_branch .LBB2_5428
.LBB2_5634:                             ;   in Loop: Header=BB2_4995 Depth=3
	s_mov_b32 s14, -1
	s_mov_b32 s34, exec_lo
                                        ; implicit-def: $sgpr30
	v_cmpx_eq_u16_e64 0x80, v162
; %bb.5635:                             ;   in Loop: Header=BB2_4995 Depth=3
	s_mov_b32 s30, 0x7f800001
	s_xor_b32 s14, exec_lo, -1
; %bb.5636:                             ;   in Loop: Header=BB2_4995 Depth=3
	s_or_b32 exec_lo, exec_lo, s34
	s_delay_alu instid0(SALU_CYCLE_1)
	s_and_b32 s14, s14, exec_lo
	s_or_saveexec_b32 s31, s31
	v_mov_b32_e32 v145, s30
	s_xor_b32 exec_lo, exec_lo, s31
	s_cbranch_execz .LBB2_5438
.LBB2_5637:                             ;   in Loop: Header=BB2_4995 Depth=3
	v_cmp_ne_u16_e64 vcc_lo, 0, v162
	v_mov_b32_e32 v145, 0
	s_and_not1_b32 s14, s14, exec_lo
	s_delay_alu instid0(VALU_DEP_2) | instskip(NEXT) | instid1(SALU_CYCLE_1)
	s_and_b32 vcc_lo, vcc_lo, exec_lo
	s_or_b32 s14, s14, vcc_lo
	s_or_b32 exec_lo, exec_lo, s31
	s_and_saveexec_b32 s30, s14
	s_cbranch_execnz .LBB2_5439
	s_branch .LBB2_5440
.LBB2_5638:                             ;   in Loop: Header=BB2_4995 Depth=3
	s_mov_b32 s14, -1
	s_mov_b32 s34, exec_lo
                                        ; implicit-def: $sgpr30
	v_cmpx_eq_u16_e64 0x80, v135
; %bb.5639:                             ;   in Loop: Header=BB2_4995 Depth=3
	s_mov_b32 s30, 0x7f800001
	s_xor_b32 s14, exec_lo, -1
; %bb.5640:                             ;   in Loop: Header=BB2_4995 Depth=3
	s_or_b32 exec_lo, exec_lo, s34
	s_delay_alu instid0(SALU_CYCLE_1)
	s_and_b32 s14, s14, exec_lo
	s_or_saveexec_b32 s31, s31
	v_mov_b32_e32 v162, s30
	s_xor_b32 exec_lo, exec_lo, s31
	s_cbranch_execz .LBB2_5442
.LBB2_5641:                             ;   in Loop: Header=BB2_4995 Depth=3
	v_cmp_ne_u16_e64 vcc_lo, 0, v135
	v_mov_b32_e32 v162, 0
	s_and_not1_b32 s14, s14, exec_lo
	s_delay_alu instid0(VALU_DEP_2) | instskip(NEXT) | instid1(SALU_CYCLE_1)
	s_and_b32 vcc_lo, vcc_lo, exec_lo
	s_or_b32 s14, s14, vcc_lo
	s_or_b32 exec_lo, exec_lo, s31
	s_and_saveexec_b32 s30, s14
	s_cbranch_execnz .LBB2_5443
	s_branch .LBB2_5444
.LBB2_5642:                             ;   in Loop: Header=BB2_3186 Depth=2
	s_or_b32 exec_lo, exec_lo, s16
.LBB2_5643:                             ;   in Loop: Header=BB2_3186 Depth=2
	s_delay_alu instid0(SALU_CYCLE_1) | instskip(SKIP_3) | instid1(VALU_DEP_1)
	s_or_b32 exec_lo, exec_lo, s15
	v_dual_mov_b32 v64, 0 :: v_dual_and_b32 v9, 15, v129
	s_mov_b32 s16, 0
	s_mov_b32 s15, exec_lo
                                        ; implicit-def: $vgpr65
                                        ; implicit-def: $vgpr133
                                        ; implicit-def: $vgpr8
	v_cndmask_b32_e64 v66, v67, v9, s13
	s_delay_alu instid0(VALU_DEP_1)
	v_cmpx_ne_u32_e32 0, v66
	s_cbranch_execz .LBB2_6301
; %bb.5644:                             ;   in Loop: Header=BB2_3186 Depth=2
	v_cmp_lt_i32_e32 vcc_lo, 0, v130
	v_ashrrev_i32_e32 v11, 31, v66
	v_sub_nc_u32_e32 v9, v67, v9
	s_mov_b32 s16, exec_lo
	v_cndmask_b32_e32 v8, 0, v71, vcc_lo
	s_delay_alu instid0(VALU_DEP_3) | instskip(NEXT) | instid1(VALU_DEP_3)
	v_lshrrev_b32_e32 v11, 23, v11
	v_cndmask_b32_e64 v9, 0, v9, s13
	s_delay_alu instid0(VALU_DEP_3) | instskip(NEXT) | instid1(VALU_DEP_3)
	v_sub_nc_u32_e32 v8, v8, v130
	v_add_nc_u32_e32 v11, v66, v11
	s_delay_alu instid0(VALU_DEP_3) | instskip(NEXT) | instid1(VALU_DEP_3)
	v_add_nc_u32_e32 v2, v9, v2
	v_lshl_add_u32 v8, v8, 5, v81
	s_delay_alu instid0(VALU_DEP_3) | instskip(SKIP_1) | instid1(VALU_DEP_3)
	v_and_b32_e32 v130, 0xfffffe00, v11
	v_ashrrev_i32_e32 v11, 9, v11
	v_ashrrev_i32_e32 v10, 31, v8
	s_delay_alu instid0(VALU_DEP_3) | instskip(NEXT) | instid1(VALU_DEP_2)
	v_sub_nc_u32_e32 v67, v66, v130
	v_lshrrev_b32_e32 v10, 27, v10
	s_delay_alu instid0(VALU_DEP_2) | instskip(NEXT) | instid1(VALU_DEP_2)
	v_cmp_lt_i32_e64 s13, 15, v67
	v_add_nc_u32_e32 v10, v8, v10
	s_delay_alu instid0(VALU_DEP_2) | instskip(NEXT) | instid1(VALU_DEP_2)
	v_add_co_ci_u32_e64 v11, vcc_lo, 0, v11, s13
	v_and_b32_e32 v51, 0xffffffe0, v10
	v_ashrrev_i32_e32 v10, 5, v10
	s_delay_alu instid0(VALU_DEP_2) | instskip(NEXT) | instid1(VALU_DEP_2)
	v_sub_nc_u32_e32 v131, v8, v51
	v_sub_nc_u32_e32 v132, v11, v10
	s_delay_alu instid0(VALU_DEP_2) | instskip(NEXT) | instid1(VALU_DEP_1)
	v_lshlrev_b32_e32 v8, 4, v131
	v_lshl_add_u32 v8, v10, 9, v8
	s_delay_alu instid0(VALU_DEP_1) | instskip(NEXT) | instid1(VALU_DEP_1)
	v_sub_nc_u32_e32 v133, v66, v8
	v_cmpx_lt_i32_e32 15, v133
	s_cbranch_execz .LBB2_6298
; %bb.5645:                             ;   in Loop: Header=BB2_3186 Depth=2
	s_cbranch_execnz .LBB2_7841
; %bb.5646:                             ;   in Loop: Header=BB2_3186 Depth=2
	ds_load_b64 v[9:10], v0
	ds_load_b128 v[51:54], v0
	v_add_nc_u32_e32 v8, v8, v2
	s_delay_alu instid0(VALU_DEP_1)
	v_ashrrev_i32_e32 v11, 31, v8
	s_waitcnt lgkmcnt(1)
	v_readfirstlane_b32 s14, v9
	s_waitcnt lgkmcnt(0)
	v_add_co_u32 v51, vcc_lo, v51, v8
	v_add_co_ci_u32_e32 v52, vcc_lo, v52, v11, vcc_lo
	s_delay_alu instid0(VALU_DEP_3)
	s_and_b32 s17, s14, 3
	v_add_co_u32 v53, vcc_lo, v53, v8
	s_clz_i32_u32 s30, s17
	v_add_co_ci_u32_e32 v54, vcc_lo, v54, v11, vcc_lo
	s_min_u32 s30, s30, 32
	s_bfe_u32 s31, s14, 0x50002
	s_sub_i32 vcc_lo, s30, 29
	s_sub_i32 s30, 30, s30
	s_lshl_b32 vcc_lo, s14, vcc_lo
	v_and_b32_e32 v134, 0xff, v9
	s_and_b32 s34, vcc_lo, 3
	v_add_co_u32 v64, vcc_lo, v9, v8
	s_cmp_eq_u32 s31, 0
	v_add_co_ci_u32_e32 v65, vcc_lo, v10, v11, vcc_lo
	s_cselect_b32 vcc_lo, s30, s31
	s_cselect_b32 s17, s34, s17
	s_lshl_b32 s14, s14, 24
	s_lshl_b32 s30, s17, 21
	s_lshl_b32 s17, vcc_lo, 23
	s_and_b32 s14, s14, 0x80000000
	s_add_i32 s17, s17, 0x37800000
	s_delay_alu instid0(SALU_CYCLE_1)
	s_or_b32 s14, s14, s17
	s_mov_b32 s17, 0
	s_or_b32 s30, s14, s30
	s_branch .LBB2_5650
.LBB2_5647:                             ;   in Loop: Header=BB2_5650 Depth=3
	s_or_b32 exec_lo, exec_lo, s14
	s_delay_alu instid0(VALU_DEP_1) | instskip(NEXT) | instid1(VALU_DEP_2)
	v_lshrrev_b32_e32 v148, 21, v148
	v_cmp_gt_i32_e32 vcc_lo, 32, v146
	v_min_i32_e32 v165, 31, v146
	v_lshrrev_b32_e32 v11, 24, v11
	s_delay_alu instid0(VALU_DEP_2) | instskip(NEXT) | instid1(VALU_DEP_2)
	v_dual_cndmask_b32 v148, 3, v148 :: v_dual_lshlrev_b32 v165, 2, v165
	v_and_b32_e32 v11, 0x80, v11
	s_delay_alu instid0(VALU_DEP_2) | instskip(SKIP_1) | instid1(VALU_DEP_2)
	v_or_b32_e32 v146, v146, v148
	v_and_b32_e32 v166, 3, v148
	v_cmp_ne_u32_e32 vcc_lo, 0, v146
	v_and_b32_e32 v165, 0xfc, v165
	s_delay_alu instid0(VALU_DEP_1) | instskip(NEXT) | instid1(VALU_DEP_1)
	v_or3_b32 v11, v11, v165, v166
	v_lshlrev_b32_e32 v11, 8, v11
	s_delay_alu instid0(VALU_DEP_1)
	v_cndmask_b32_e32 v146, 0, v11, vcc_lo
.LBB2_5648:                             ;   in Loop: Header=BB2_5650 Depth=3
	s_or_b32 exec_lo, exec_lo, s34
.LBB2_5649:                             ;   in Loop: Header=BB2_5650 Depth=3
	s_delay_alu instid0(SALU_CYCLE_1)
	s_or_b32 exec_lo, exec_lo, s31
	v_or_b32_e32 v9, v9, v162
	v_and_b32_e32 v11, 0xff, v161
	v_lshlrev_b32_e32 v147, 8, v147
	v_and_b32_e32 v149, 0xff, v149
	v_lshlrev_b32_e32 v150, 8, v150
	v_or_b32_e32 v144, v146, v144
	v_and_b32_e32 v148, 0xff, v163
	v_lshlrev_b32_e32 v8, 24, v8
	v_lshlrev_b32_e32 v9, 16, v9
	;; [unrolled: 1-line block ×3, first 2 shown]
	v_perm_b32 v135, v147, v135, 0xc0c0500
	v_lshlrev_b32_e32 v10, 24, v10
	v_lshlrev_b32_e32 v146, 16, v149
	v_perm_b32 v147, v150, v160, 0xc0c0500
	v_and_b32_e32 v145, 0xff, v145
	v_lshlrev_b32_e32 v144, 16, v144
	v_add_co_u32 v51, vcc_lo, v51, v96
	v_or3_b32 v9, v164, v148, v9
	v_or3_b32 v8, v8, v11, v135
	;; [unrolled: 1-line block ×4, first 2 shown]
	v_sub_nc_u32_e32 v133, v133, v82
	v_add_co_ci_u32_e32 v52, vcc_lo, v52, v97, vcc_lo
	v_add_co_u32 v53, vcc_lo, v53, v96
	v_add_co_ci_u32_e32 v54, vcc_lo, v54, v97, vcc_lo
	global_store_b128 v[64:65], v[8:11], off glc slc dlc
	v_cmp_gt_i32_e32 vcc_lo, 16, v133
	v_add_co_u32 v64, s14, v64, v96
	s_delay_alu instid0(VALU_DEP_1) | instskip(SKIP_2) | instid1(SALU_CYCLE_1)
	v_add_co_ci_u32_e64 v65, s14, v65, v97, s14
	v_sub_nc_u32_e32 v132, v132, v71
	s_or_b32 s17, vcc_lo, s17
	s_and_not1_b32 exec_lo, exec_lo, s17
	s_cbranch_execz .LBB2_6297
.LBB2_5650:                             ;   Parent Loop BB2_51 Depth=1
                                        ;     Parent Loop BB2_3186 Depth=2
                                        ; =>    This Inner Loop Header: Depth=3
	v_cmp_gt_i16_e64 vcc_lo, 0x80, v134
	s_delay_alu instid0(VALU_DEP_1)
	s_and_b32 vcc_lo, exec_lo, vcc_lo
	s_cbranch_vccnz .LBB2_5654
; %bb.5651:                             ;   in Loop: Header=BB2_5650 Depth=3
	v_cmp_eq_u16_e64 vcc_lo, 0x80, v134
	s_mov_b32 s14, -1
                                        ; implicit-def: $sgpr31
	s_delay_alu instid0(VALU_DEP_1)
	s_and_b32 vcc_lo, exec_lo, vcc_lo
	s_cbranch_vccz .LBB2_5653
; %bb.5652:                             ;   in Loop: Header=BB2_5650 Depth=3
	s_mov_b32 s14, 0
	s_mov_b32 s31, 0x7f800001
.LBB2_5653:                             ;   in Loop: Header=BB2_5650 Depth=3
	s_mov_b32 vcc_lo, 0
	s_branch .LBB2_5655
.LBB2_5654:                             ;   in Loop: Header=BB2_5650 Depth=3
	s_mov_b32 vcc_lo, -1
	s_mov_b32 s14, 0
                                        ; implicit-def: $sgpr31
.LBB2_5655:                             ;   in Loop: Header=BB2_5650 Depth=3
	s_and_b32 vcc_lo, exec_lo, vcc_lo
	s_cbranch_vccz .LBB2_5657
; %bb.5656:                             ;   in Loop: Header=BB2_5650 Depth=3
	v_cmp_ne_u16_e64 s14, 0, v134
	s_mov_b32 s31, 0
.LBB2_5657:                             ;   in Loop: Header=BB2_5650 Depth=3
	s_delay_alu instid0(VALU_DEP_1)
	s_and_not1_b32 vcc_lo, exec_lo, s14
	s_cbranch_vccnz .LBB2_5659
; %bb.5658:                             ;   in Loop: Header=BB2_5650 Depth=3
	s_mov_b32 s31, s30
.LBB2_5659:                             ;   in Loop: Header=BB2_5650 Depth=3
	global_load_b128 v[8:11], v[51:52], off slc dlc
	s_mov_b32 s14, 0
	s_mov_b32 s35, exec_lo
                                        ; implicit-def: $sgpr34
	s_waitcnt vmcnt(0)
	v_and_b32_e32 v144, 0xff, v8
	s_delay_alu instid0(VALU_DEP_1)
	v_cmpx_lt_i16_e64 0x7f, v144
	s_xor_b32 s35, exec_lo, s35
	s_cbranch_execnz .LBB2_6105
; %bb.5660:                             ;   in Loop: Header=BB2_5650 Depth=3
	s_or_saveexec_b32 s35, s35
	v_mov_b32_e32 v135, s34
	s_xor_b32 exec_lo, exec_lo, s35
	s_cbranch_execnz .LBB2_6108
.LBB2_5661:                             ;   in Loop: Header=BB2_5650 Depth=3
	s_or_b32 exec_lo, exec_lo, s35
	s_and_saveexec_b32 s34, s14
	s_cbranch_execz .LBB2_5663
.LBB2_5662:                             ;   in Loop: Header=BB2_5650 Depth=3
	v_and_b32_e32 v135, 3, v8
	v_bfe_u32 v146, v8, 2, 5
	v_lshlrev_b32_e32 v147, 24, v8
	s_delay_alu instid0(VALU_DEP_3) | instskip(NEXT) | instid1(VALU_DEP_3)
	v_clz_i32_u32_e32 v144, v135
	v_cmp_eq_u32_e32 vcc_lo, 0, v146
	s_delay_alu instid0(VALU_DEP_2) | instskip(NEXT) | instid1(VALU_DEP_1)
	v_min_u32_e32 v144, 32, v144
	v_subrev_nc_u32_e32 v145, 29, v144
	v_sub_nc_u32_e32 v144, 30, v144
	s_delay_alu instid0(VALU_DEP_2) | instskip(NEXT) | instid1(VALU_DEP_1)
	v_lshlrev_b32_e32 v145, v145, v8
	v_dual_cndmask_b32 v144, v146, v144 :: v_dual_and_b32 v145, 3, v145
	s_delay_alu instid0(VALU_DEP_1) | instskip(NEXT) | instid1(VALU_DEP_2)
	v_lshl_add_u32 v144, v144, 23, 0x37800000
	v_cndmask_b32_e32 v135, v135, v145, vcc_lo
	v_and_b32_e32 v145, 0x80000000, v147
	s_delay_alu instid0(VALU_DEP_2) | instskip(NEXT) | instid1(VALU_DEP_1)
	v_lshlrev_b32_e32 v135, 21, v135
	v_or3_b32 v135, v145, v144, v135
.LBB2_5663:                             ;   in Loop: Header=BB2_5650 Depth=3
	s_or_b32 exec_lo, exec_lo, s34
	s_delay_alu instid0(VALU_DEP_1) | instskip(NEXT) | instid1(VALU_DEP_1)
	v_mul_f32_e32 v144, s31, v135
	v_and_b32_e32 v135, 0x7f800000, v144
	s_delay_alu instid0(VALU_DEP_1)
	v_cmp_ne_u32_e32 vcc_lo, 0x7f800000, v135
	v_mov_b32_e32 v135, 0x80
	s_and_saveexec_b32 s34, vcc_lo
	s_cbranch_execz .LBB2_5671
; %bb.5664:                             ;   in Loop: Header=BB2_5650 Depth=3
	v_mov_b32_e32 v135, 0
	s_mov_b32 s35, exec_lo
	v_cmpx_ne_u32_e32 0, v144
	s_cbranch_execz .LBB2_5670
; %bb.5665:                             ;   in Loop: Header=BB2_5650 Depth=3
	v_bfe_u32 v135, v144, 23, 8
	s_delay_alu instid0(VALU_DEP_1) | instskip(SKIP_1) | instid1(VALU_DEP_2)
	v_sub_nc_u32_e32 v146, 0x70, v135
	v_cmp_gt_u32_e32 vcc_lo, 0x71, v135
	v_dual_cndmask_b32 v146, 0, v146 :: v_dual_and_b32 v145, 0x7fffff, v144
	s_delay_alu instid0(VALU_DEP_1) | instskip(SKIP_2) | instid1(VALU_DEP_4)
	v_or_b32_e32 v147, 0x800000, v145
	v_cmp_eq_u32_e32 vcc_lo, 0, v135
	v_add_nc_u32_e32 v135, 0xffffff91, v135
	v_cndmask_b32_e64 v146, v146, 0x6f, vcc_lo
	s_delay_alu instid0(VALU_DEP_2) | instskip(SKIP_1) | instid1(VALU_DEP_3)
	v_cndmask_b32_e64 v135, v135, 0xffffff92, vcc_lo
	v_cndmask_b32_e32 v145, v147, v145, vcc_lo
	v_lshl_add_u32 v147, 0x200000, v146, -1
	v_lshlrev_b32_e64 v150, v146, 0x100000
	s_delay_alu instid0(VALU_DEP_3) | instskip(SKIP_1) | instid1(VALU_DEP_4)
	v_lshrrev_b32_e32 v148, v146, v145
	v_add_nc_u32_e32 v146, v146, v135
	v_and_b32_e32 v145, v147, v145
	s_delay_alu instid0(VALU_DEP_3) | instskip(NEXT) | instid1(VALU_DEP_2)
	v_bfe_u32 v149, v148, 21, 1
	v_cmp_eq_u32_e64 s14, v145, v150
	s_delay_alu instid0(VALU_DEP_2) | instskip(NEXT) | instid1(VALU_DEP_1)
	v_add_nc_u32_e32 v147, -1, v149
	v_cndmask_b32_e64 v145, 0, v147, s14
	v_lshrrev_b32_e32 v147, 23, v148
	s_mov_b32 s14, exec_lo
	s_delay_alu instid0(VALU_DEP_2) | instskip(NEXT) | instid1(VALU_DEP_2)
	v_add_nc_u32_e32 v145, v145, v148
	v_xor_b32_e32 v147, 1, v147
	s_delay_alu instid0(VALU_DEP_2) | instskip(NEXT) | instid1(VALU_DEP_1)
	v_and_b32_e32 v135, 0x1fffff, v145
	v_add_nc_u32_e32 v145, v135, v148
                                        ; implicit-def: $vgpr135
	s_delay_alu instid0(VALU_DEP_3)
	v_cmpx_ne_u32_e64 v146, v147
	s_xor_b32 s14, exec_lo, s14
; %bb.5666:                             ;   in Loop: Header=BB2_5650 Depth=3
	s_delay_alu instid0(VALU_DEP_2) | instskip(SKIP_2) | instid1(VALU_DEP_2)
	v_cmp_lt_u32_e32 vcc_lo, 0xffffff, v145
	v_sub_nc_u32_e32 v135, v146, v147
	v_cndmask_b32_e64 v146, 0, 1, vcc_lo
	v_add_co_ci_u32_e32 v135, vcc_lo, 0, v135, vcc_lo
	s_delay_alu instid0(VALU_DEP_2)
	v_lshrrev_b32_e32 v145, v146, v145
; %bb.5667:                             ;   in Loop: Header=BB2_5650 Depth=3
	s_and_not1_saveexec_b32 s14, s14
; %bb.5668:                             ;   in Loop: Header=BB2_5650 Depth=3
	s_delay_alu instid0(VALU_DEP_1)
	v_bfe_u32 v135, v145, 23, 1
; %bb.5669:                             ;   in Loop: Header=BB2_5650 Depth=3
	s_or_b32 exec_lo, exec_lo, s14
	v_lshrrev_b32_e32 v145, 21, v145
	s_delay_alu instid0(VALU_DEP_2) | instskip(SKIP_2) | instid1(VALU_DEP_2)
	v_cmp_gt_i32_e32 vcc_lo, 32, v135
	v_lshrrev_b32_e32 v144, 24, v144
	v_min_i32_e32 v146, 31, v135
	v_dual_cndmask_b32 v145, 3, v145 :: v_dual_and_b32 v144, 0x80, v144
	s_delay_alu instid0(VALU_DEP_1) | instskip(SKIP_1) | instid1(VALU_DEP_2)
	v_or_b32_e32 v135, v135, v145
	v_and_b32_e32 v147, 3, v145
	v_cmp_ne_u32_e32 vcc_lo, 0, v135
	v_lshlrev_b32_e32 v146, 2, v146
	s_delay_alu instid0(VALU_DEP_1) | instskip(NEXT) | instid1(VALU_DEP_1)
	v_or3_b32 v144, v146, v144, v147
	v_cndmask_b32_e32 v135, 0, v144, vcc_lo
.LBB2_5670:                             ;   in Loop: Header=BB2_5650 Depth=3
	s_or_b32 exec_lo, exec_lo, s35
.LBB2_5671:                             ;   in Loop: Header=BB2_5650 Depth=3
	s_delay_alu instid0(SALU_CYCLE_1) | instskip(SKIP_3) | instid1(VALU_DEP_1)
	s_or_b32 exec_lo, exec_lo, s34
	v_lshrrev_b16 v144, 8, v8
	s_mov_b32 s14, 0
	s_mov_b32 s35, exec_lo
                                        ; implicit-def: $sgpr34
	v_cmpx_lt_i16_e64 0x7f, v144
	s_xor_b32 s35, exec_lo, s35
	s_cbranch_execnz .LBB2_6109
; %bb.5672:                             ;   in Loop: Header=BB2_5650 Depth=3
	s_or_saveexec_b32 s35, s35
	v_mov_b32_e32 v145, s34
	s_xor_b32 exec_lo, exec_lo, s35
	s_cbranch_execnz .LBB2_6112
.LBB2_5673:                             ;   in Loop: Header=BB2_5650 Depth=3
	s_or_b32 exec_lo, exec_lo, s35
	s_and_saveexec_b32 s34, s14
	s_cbranch_execz .LBB2_5675
.LBB2_5674:                             ;   in Loop: Header=BB2_5650 Depth=3
	v_and_b32_e32 v145, 0xffff, v144
	v_lshlrev_b32_e32 v144, 24, v144
	s_delay_alu instid0(VALU_DEP_2) | instskip(NEXT) | instid1(VALU_DEP_2)
	v_and_b32_e32 v146, 3, v145
	v_and_b32_e32 v144, 0x80000000, v144
	s_delay_alu instid0(VALU_DEP_2) | instskip(NEXT) | instid1(VALU_DEP_1)
	v_clz_i32_u32_e32 v147, v146
	v_min_u32_e32 v147, 32, v147
	s_delay_alu instid0(VALU_DEP_1) | instskip(SKIP_1) | instid1(VALU_DEP_2)
	v_subrev_nc_u32_e32 v148, 29, v147
	v_sub_nc_u32_e32 v147, 30, v147
	v_lshlrev_b32_e32 v148, v148, v145
	v_bfe_u32 v145, v145, 2, 5
	s_delay_alu instid0(VALU_DEP_2) | instskip(NEXT) | instid1(VALU_DEP_2)
	v_and_b32_e32 v148, 3, v148
	v_cmp_eq_u32_e32 vcc_lo, 0, v145
	s_delay_alu instid0(VALU_DEP_2) | instskip(NEXT) | instid1(VALU_DEP_1)
	v_dual_cndmask_b32 v145, v145, v147 :: v_dual_cndmask_b32 v146, v146, v148
	v_lshl_add_u32 v145, v145, 23, 0x37800000
	s_delay_alu instid0(VALU_DEP_2) | instskip(NEXT) | instid1(VALU_DEP_1)
	v_lshlrev_b32_e32 v146, 21, v146
	v_or3_b32 v145, v144, v145, v146
.LBB2_5675:                             ;   in Loop: Header=BB2_5650 Depth=3
	s_or_b32 exec_lo, exec_lo, s34
	s_delay_alu instid0(VALU_DEP_1) | instskip(SKIP_1) | instid1(VALU_DEP_1)
	v_dual_mul_f32 v144, s31, v145 :: v_dual_mov_b32 v147, 0x80
	s_mov_b32 s34, exec_lo
	v_and_b32_e32 v145, 0x7f800000, v144
	s_delay_alu instid0(VALU_DEP_1)
	v_cmpx_ne_u32_e32 0x7f800000, v145
	s_cbranch_execz .LBB2_5683
; %bb.5676:                             ;   in Loop: Header=BB2_5650 Depth=3
	v_mov_b32_e32 v147, 0
	s_mov_b32 s35, exec_lo
	v_cmpx_ne_u32_e32 0, v144
	s_cbranch_execz .LBB2_5682
; %bb.5677:                             ;   in Loop: Header=BB2_5650 Depth=3
	v_bfe_u32 v145, v144, 23, 8
	s_delay_alu instid0(VALU_DEP_1) | instskip(SKIP_1) | instid1(VALU_DEP_2)
	v_sub_nc_u32_e32 v147, 0x70, v145
	v_cmp_gt_u32_e32 vcc_lo, 0x71, v145
	v_dual_cndmask_b32 v147, 0, v147 :: v_dual_and_b32 v146, 0x7fffff, v144
	s_delay_alu instid0(VALU_DEP_1) | instskip(SKIP_2) | instid1(VALU_DEP_4)
	v_or_b32_e32 v148, 0x800000, v146
	v_cmp_eq_u32_e32 vcc_lo, 0, v145
	v_add_nc_u32_e32 v145, 0xffffff91, v145
	v_cndmask_b32_e64 v147, v147, 0x6f, vcc_lo
	s_delay_alu instid0(VALU_DEP_4) | instskip(NEXT) | instid1(VALU_DEP_3)
	v_cndmask_b32_e32 v146, v148, v146, vcc_lo
	v_cndmask_b32_e64 v145, v145, 0xffffff92, vcc_lo
	s_delay_alu instid0(VALU_DEP_3) | instskip(NEXT) | instid1(VALU_DEP_3)
	v_lshl_add_u32 v148, 0x200000, v147, -1
	v_lshrrev_b32_e32 v149, v147, v146
	v_lshlrev_b32_e64 v151, v147, 0x100000
	s_delay_alu instid0(VALU_DEP_4) | instskip(NEXT) | instid1(VALU_DEP_4)
	v_add_nc_u32_e32 v147, v147, v145
	v_and_b32_e32 v146, v148, v146
	s_delay_alu instid0(VALU_DEP_4) | instskip(NEXT) | instid1(VALU_DEP_2)
	v_bfe_u32 v150, v149, 21, 1
	v_cmp_eq_u32_e64 s14, v146, v151
	s_delay_alu instid0(VALU_DEP_2) | instskip(NEXT) | instid1(VALU_DEP_1)
	v_add_nc_u32_e32 v148, -1, v150
	v_cndmask_b32_e64 v146, 0, v148, s14
	v_lshrrev_b32_e32 v148, 23, v149
	s_mov_b32 s14, exec_lo
	s_delay_alu instid0(VALU_DEP_2) | instskip(NEXT) | instid1(VALU_DEP_2)
	v_add_nc_u32_e32 v146, v146, v149
	v_xor_b32_e32 v148, 1, v148
	s_delay_alu instid0(VALU_DEP_2) | instskip(NEXT) | instid1(VALU_DEP_1)
	v_and_b32_e32 v145, 0x1fffff, v146
	v_add_nc_u32_e32 v146, v145, v149
                                        ; implicit-def: $vgpr145
	s_delay_alu instid0(VALU_DEP_3)
	v_cmpx_ne_u32_e64 v147, v148
	s_xor_b32 s14, exec_lo, s14
; %bb.5678:                             ;   in Loop: Header=BB2_5650 Depth=3
	s_delay_alu instid0(VALU_DEP_2) | instskip(SKIP_2) | instid1(VALU_DEP_2)
	v_cmp_lt_u32_e32 vcc_lo, 0xffffff, v146
	v_sub_nc_u32_e32 v145, v147, v148
	v_cndmask_b32_e64 v147, 0, 1, vcc_lo
	v_add_co_ci_u32_e32 v145, vcc_lo, 0, v145, vcc_lo
	s_delay_alu instid0(VALU_DEP_2)
	v_lshrrev_b32_e32 v146, v147, v146
; %bb.5679:                             ;   in Loop: Header=BB2_5650 Depth=3
	s_and_not1_saveexec_b32 s14, s14
; %bb.5680:                             ;   in Loop: Header=BB2_5650 Depth=3
	s_delay_alu instid0(VALU_DEP_1)
	v_bfe_u32 v145, v146, 23, 1
; %bb.5681:                             ;   in Loop: Header=BB2_5650 Depth=3
	s_or_b32 exec_lo, exec_lo, s14
	v_lshrrev_b32_e32 v146, 21, v146
	s_delay_alu instid0(VALU_DEP_2) | instskip(SKIP_2) | instid1(VALU_DEP_2)
	v_cmp_gt_i32_e32 vcc_lo, 32, v145
	v_min_i32_e32 v147, 31, v145
	v_lshrrev_b32_e32 v144, 24, v144
	v_dual_cndmask_b32 v146, 3, v146 :: v_dual_lshlrev_b32 v147, 2, v147
	s_delay_alu instid0(VALU_DEP_2) | instskip(NEXT) | instid1(VALU_DEP_2)
	v_and_b32_e32 v144, 0x80, v144
	v_or_b32_e32 v145, v145, v146
	s_delay_alu instid0(VALU_DEP_1) | instskip(SKIP_1) | instid1(VALU_DEP_1)
	v_cmp_ne_u32_e32 vcc_lo, 0, v145
	v_and_b32_e32 v148, 3, v146
	v_or3_b32 v144, v147, v144, v148
	s_delay_alu instid0(VALU_DEP_1)
	v_cndmask_b32_e32 v147, 0, v144, vcc_lo
.LBB2_5682:                             ;   in Loop: Header=BB2_5650 Depth=3
	s_or_b32 exec_lo, exec_lo, s35
.LBB2_5683:                             ;   in Loop: Header=BB2_5650 Depth=3
	s_delay_alu instid0(SALU_CYCLE_1) | instskip(SKIP_3) | instid1(VALU_DEP_1)
	s_or_b32 exec_lo, exec_lo, s34
	v_lshrrev_b32_e32 v144, 16, v8
	s_mov_b32 s14, 0
	s_mov_b32 s35, exec_lo
                                        ; implicit-def: $sgpr34
	v_and_b32_e32 v146, 0xff, v144
	s_delay_alu instid0(VALU_DEP_1)
	v_cmpx_lt_i16_e64 0x7f, v146
	s_xor_b32 s35, exec_lo, s35
	s_cbranch_execnz .LBB2_6113
; %bb.5684:                             ;   in Loop: Header=BB2_5650 Depth=3
	s_or_saveexec_b32 s35, s35
	v_mov_b32_e32 v145, s34
	s_xor_b32 exec_lo, exec_lo, s35
	s_cbranch_execnz .LBB2_6116
.LBB2_5685:                             ;   in Loop: Header=BB2_5650 Depth=3
	s_or_b32 exec_lo, exec_lo, s35
	s_and_saveexec_b32 s34, s14
	s_cbranch_execz .LBB2_5687
.LBB2_5686:                             ;   in Loop: Header=BB2_5650 Depth=3
	v_bfe_u32 v145, v8, 16, 2
	s_delay_alu instid0(VALU_DEP_1) | instskip(NEXT) | instid1(VALU_DEP_1)
	v_clz_i32_u32_e32 v146, v145
	v_min_u32_e32 v146, 32, v146
	s_delay_alu instid0(VALU_DEP_1) | instskip(SKIP_1) | instid1(VALU_DEP_2)
	v_subrev_nc_u32_e32 v148, 29, v146
	v_sub_nc_u32_e32 v146, 30, v146
	v_lshlrev_b32_e32 v144, v148, v144
	v_bfe_u32 v148, v8, 18, 5
	s_delay_alu instid0(VALU_DEP_2) | instskip(NEXT) | instid1(VALU_DEP_2)
	v_and_b32_e32 v144, 3, v144
	v_cmp_eq_u32_e32 vcc_lo, 0, v148
	v_dual_cndmask_b32 v146, v148, v146 :: v_dual_lshlrev_b32 v149, 8, v8
	s_delay_alu instid0(VALU_DEP_1) | instskip(NEXT) | instid1(VALU_DEP_2)
	v_dual_cndmask_b32 v144, v145, v144 :: v_dual_and_b32 v145, 0x80000000, v149
	v_lshl_add_u32 v146, v146, 23, 0x37800000
	s_delay_alu instid0(VALU_DEP_2) | instskip(NEXT) | instid1(VALU_DEP_1)
	v_lshlrev_b32_e32 v144, 21, v144
	v_or3_b32 v145, v145, v146, v144
.LBB2_5687:                             ;   in Loop: Header=BB2_5650 Depth=3
	s_or_b32 exec_lo, exec_lo, s34
	s_delay_alu instid0(VALU_DEP_1) | instskip(SKIP_1) | instid1(VALU_DEP_1)
	v_dual_mul_f32 v144, s31, v145 :: v_dual_mov_b32 v161, 0x80
	s_mov_b32 s34, exec_lo
	v_and_b32_e32 v145, 0x7f800000, v144
	s_delay_alu instid0(VALU_DEP_1)
	v_cmpx_ne_u32_e32 0x7f800000, v145
	s_cbranch_execz .LBB2_5695
; %bb.5688:                             ;   in Loop: Header=BB2_5650 Depth=3
	v_mov_b32_e32 v161, 0
	s_mov_b32 s35, exec_lo
	v_cmpx_ne_u32_e32 0, v144
	s_cbranch_execz .LBB2_5694
; %bb.5689:                             ;   in Loop: Header=BB2_5650 Depth=3
	v_bfe_u32 v145, v144, 23, 8
	v_and_b32_e32 v146, 0x7fffff, v144
	s_delay_alu instid0(VALU_DEP_2) | instskip(SKIP_1) | instid1(VALU_DEP_3)
	v_sub_nc_u32_e32 v148, 0x70, v145
	v_cmp_gt_u32_e32 vcc_lo, 0x71, v145
	v_or_b32_e32 v149, 0x800000, v146
	s_delay_alu instid0(VALU_DEP_3) | instskip(SKIP_2) | instid1(VALU_DEP_3)
	v_cndmask_b32_e32 v148, 0, v148, vcc_lo
	v_cmp_eq_u32_e32 vcc_lo, 0, v145
	v_add_nc_u32_e32 v145, 0xffffff91, v145
	v_cndmask_b32_e64 v148, v148, 0x6f, vcc_lo
	v_cndmask_b32_e32 v146, v149, v146, vcc_lo
	s_delay_alu instid0(VALU_DEP_3) | instskip(NEXT) | instid1(VALU_DEP_3)
	v_cndmask_b32_e64 v145, v145, 0xffffff92, vcc_lo
	v_lshl_add_u32 v149, 0x200000, v148, -1
	s_delay_alu instid0(VALU_DEP_3) | instskip(SKIP_1) | instid1(VALU_DEP_4)
	v_lshrrev_b32_e32 v150, v148, v146
	v_lshlrev_b32_e64 v160, v148, 0x100000
	v_add_nc_u32_e32 v148, v148, v145
	s_delay_alu instid0(VALU_DEP_4) | instskip(NEXT) | instid1(VALU_DEP_4)
	v_and_b32_e32 v146, v149, v146
	v_bfe_u32 v151, v150, 21, 1
	s_delay_alu instid0(VALU_DEP_2) | instskip(NEXT) | instid1(VALU_DEP_2)
	v_cmp_eq_u32_e64 s14, v146, v160
	v_add_nc_u32_e32 v149, -1, v151
	s_delay_alu instid0(VALU_DEP_1) | instskip(SKIP_2) | instid1(VALU_DEP_2)
	v_cndmask_b32_e64 v146, 0, v149, s14
	v_lshrrev_b32_e32 v149, 23, v150
	s_mov_b32 s14, exec_lo
	v_add_nc_u32_e32 v146, v146, v150
	s_delay_alu instid0(VALU_DEP_2) | instskip(NEXT) | instid1(VALU_DEP_2)
	v_xor_b32_e32 v149, 1, v149
	v_and_b32_e32 v145, 0x1fffff, v146
	s_delay_alu instid0(VALU_DEP_1) | instskip(NEXT) | instid1(VALU_DEP_3)
	v_add_nc_u32_e32 v146, v145, v150
                                        ; implicit-def: $vgpr145
	v_cmpx_ne_u32_e64 v148, v149
	s_xor_b32 s14, exec_lo, s14
; %bb.5690:                             ;   in Loop: Header=BB2_5650 Depth=3
	s_delay_alu instid0(VALU_DEP_2) | instskip(SKIP_2) | instid1(VALU_DEP_2)
	v_cmp_lt_u32_e32 vcc_lo, 0xffffff, v146
	v_sub_nc_u32_e32 v145, v148, v149
	v_cndmask_b32_e64 v148, 0, 1, vcc_lo
	v_add_co_ci_u32_e32 v145, vcc_lo, 0, v145, vcc_lo
	s_delay_alu instid0(VALU_DEP_2)
	v_lshrrev_b32_e32 v146, v148, v146
; %bb.5691:                             ;   in Loop: Header=BB2_5650 Depth=3
	s_and_not1_saveexec_b32 s14, s14
; %bb.5692:                             ;   in Loop: Header=BB2_5650 Depth=3
	s_delay_alu instid0(VALU_DEP_1)
	v_bfe_u32 v145, v146, 23, 1
; %bb.5693:                             ;   in Loop: Header=BB2_5650 Depth=3
	s_or_b32 exec_lo, exec_lo, s14
	v_lshrrev_b32_e32 v146, 21, v146
	s_delay_alu instid0(VALU_DEP_2) | instskip(SKIP_2) | instid1(VALU_DEP_4)
	v_cmp_gt_i32_e32 vcc_lo, 32, v145
	v_lshrrev_b32_e32 v144, 24, v144
	v_min_i32_e32 v148, 31, v145
	v_cndmask_b32_e32 v146, 3, v146, vcc_lo
	s_delay_alu instid0(VALU_DEP_3) | instskip(NEXT) | instid1(VALU_DEP_3)
	v_and_b32_e32 v144, 0x80, v144
	v_lshlrev_b32_e32 v148, 2, v148
	s_delay_alu instid0(VALU_DEP_3) | instskip(SKIP_1) | instid1(VALU_DEP_2)
	v_and_b32_e32 v149, 3, v146
	v_or_b32_e32 v145, v145, v146
	v_or3_b32 v144, v148, v144, v149
	s_delay_alu instid0(VALU_DEP_2) | instskip(NEXT) | instid1(VALU_DEP_2)
	v_cmp_ne_u32_e32 vcc_lo, 0, v145
	v_cndmask_b32_e32 v161, 0, v144, vcc_lo
.LBB2_5694:                             ;   in Loop: Header=BB2_5650 Depth=3
	s_or_b32 exec_lo, exec_lo, s35
.LBB2_5695:                             ;   in Loop: Header=BB2_5650 Depth=3
	s_delay_alu instid0(SALU_CYCLE_1) | instskip(SKIP_3) | instid1(VALU_DEP_1)
	s_or_b32 exec_lo, exec_lo, s34
	v_lshrrev_b32_e32 v144, 24, v8
	s_mov_b32 s14, 0
	s_mov_b32 s35, exec_lo
                                        ; implicit-def: $sgpr34
	v_cmpx_lt_i16_e64 0x7f, v144
	s_xor_b32 s35, exec_lo, s35
	s_cbranch_execnz .LBB2_6117
; %bb.5696:                             ;   in Loop: Header=BB2_5650 Depth=3
	s_or_saveexec_b32 s35, s35
	v_mov_b32_e32 v145, s34
	s_xor_b32 exec_lo, exec_lo, s35
	s_cbranch_execnz .LBB2_6120
.LBB2_5697:                             ;   in Loop: Header=BB2_5650 Depth=3
	s_or_b32 exec_lo, exec_lo, s35
	s_and_saveexec_b32 s34, s14
	s_cbranch_execz .LBB2_5699
.LBB2_5698:                             ;   in Loop: Header=BB2_5650 Depth=3
	v_bfe_u32 v145, v8, 24, 2
	s_delay_alu instid0(VALU_DEP_1) | instskip(NEXT) | instid1(VALU_DEP_1)
	v_clz_i32_u32_e32 v146, v145
	v_min_u32_e32 v146, 32, v146
	s_delay_alu instid0(VALU_DEP_1) | instskip(SKIP_1) | instid1(VALU_DEP_2)
	v_subrev_nc_u32_e32 v148, 29, v146
	v_sub_nc_u32_e32 v146, 30, v146
	v_lshlrev_b32_e32 v144, v148, v144
	v_bfe_u32 v148, v8, 26, 5
	v_and_b32_e32 v8, 0x80000000, v8
	s_delay_alu instid0(VALU_DEP_3) | instskip(NEXT) | instid1(VALU_DEP_3)
	v_and_b32_e32 v144, 3, v144
	v_cmp_eq_u32_e32 vcc_lo, 0, v148
	v_cndmask_b32_e32 v146, v148, v146, vcc_lo
	s_delay_alu instid0(VALU_DEP_3) | instskip(NEXT) | instid1(VALU_DEP_2)
	v_cndmask_b32_e32 v144, v145, v144, vcc_lo
	v_lshl_add_u32 v145, v146, 23, 0x37800000
	s_delay_alu instid0(VALU_DEP_2) | instskip(NEXT) | instid1(VALU_DEP_1)
	v_lshlrev_b32_e32 v144, 21, v144
	v_or3_b32 v145, v8, v145, v144
.LBB2_5699:                             ;   in Loop: Header=BB2_5650 Depth=3
	s_or_b32 exec_lo, exec_lo, s34
	s_delay_alu instid0(VALU_DEP_1) | instskip(SKIP_2) | instid1(VALU_DEP_2)
	v_mul_f32_e32 v8, s31, v145
	v_mov_b32_e32 v164, 0x80
	s_mov_b32 s34, exec_lo
	v_and_b32_e32 v144, 0x7f800000, v8
	s_delay_alu instid0(VALU_DEP_1)
	v_cmpx_ne_u32_e32 0x7f800000, v144
	s_cbranch_execz .LBB2_5707
; %bb.5700:                             ;   in Loop: Header=BB2_5650 Depth=3
	v_mov_b32_e32 v164, 0
	s_mov_b32 s35, exec_lo
	v_cmpx_ne_u32_e32 0, v8
	s_cbranch_execz .LBB2_5706
; %bb.5701:                             ;   in Loop: Header=BB2_5650 Depth=3
	v_bfe_u32 v144, v8, 23, 8
	s_delay_alu instid0(VALU_DEP_1) | instskip(SKIP_1) | instid1(VALU_DEP_2)
	v_sub_nc_u32_e32 v146, 0x70, v144
	v_cmp_gt_u32_e32 vcc_lo, 0x71, v144
	v_dual_cndmask_b32 v146, 0, v146 :: v_dual_and_b32 v145, 0x7fffff, v8
	s_delay_alu instid0(VALU_DEP_1) | instskip(SKIP_2) | instid1(VALU_DEP_4)
	v_or_b32_e32 v148, 0x800000, v145
	v_cmp_eq_u32_e32 vcc_lo, 0, v144
	v_add_nc_u32_e32 v144, 0xffffff91, v144
	v_cndmask_b32_e64 v146, v146, 0x6f, vcc_lo
	s_delay_alu instid0(VALU_DEP_4) | instskip(NEXT) | instid1(VALU_DEP_3)
	v_cndmask_b32_e32 v145, v148, v145, vcc_lo
	v_cndmask_b32_e64 v144, v144, 0xffffff92, vcc_lo
	s_delay_alu instid0(VALU_DEP_3) | instskip(NEXT) | instid1(VALU_DEP_3)
	v_lshl_add_u32 v148, 0x200000, v146, -1
	v_lshrrev_b32_e32 v149, v146, v145
	v_lshlrev_b32_e64 v151, v146, 0x100000
	s_delay_alu instid0(VALU_DEP_4) | instskip(NEXT) | instid1(VALU_DEP_4)
	v_add_nc_u32_e32 v146, v146, v144
	v_and_b32_e32 v145, v148, v145
	s_delay_alu instid0(VALU_DEP_4) | instskip(NEXT) | instid1(VALU_DEP_2)
	v_bfe_u32 v150, v149, 21, 1
	v_cmp_eq_u32_e64 s14, v145, v151
	s_delay_alu instid0(VALU_DEP_2) | instskip(NEXT) | instid1(VALU_DEP_1)
	v_add_nc_u32_e32 v148, -1, v150
	v_cndmask_b32_e64 v145, 0, v148, s14
	v_lshrrev_b32_e32 v148, 23, v149
	s_mov_b32 s14, exec_lo
	s_delay_alu instid0(VALU_DEP_2) | instskip(NEXT) | instid1(VALU_DEP_2)
	v_add_nc_u32_e32 v145, v145, v149
	v_xor_b32_e32 v148, 1, v148
	s_delay_alu instid0(VALU_DEP_2) | instskip(NEXT) | instid1(VALU_DEP_1)
	v_and_b32_e32 v144, 0x1fffff, v145
	v_add_nc_u32_e32 v145, v144, v149
                                        ; implicit-def: $vgpr144
	s_delay_alu instid0(VALU_DEP_3)
	v_cmpx_ne_u32_e64 v146, v148
	s_xor_b32 s14, exec_lo, s14
; %bb.5702:                             ;   in Loop: Header=BB2_5650 Depth=3
	s_delay_alu instid0(VALU_DEP_2) | instskip(SKIP_2) | instid1(VALU_DEP_2)
	v_cmp_lt_u32_e32 vcc_lo, 0xffffff, v145
	v_sub_nc_u32_e32 v144, v146, v148
	v_cndmask_b32_e64 v146, 0, 1, vcc_lo
	v_add_co_ci_u32_e32 v144, vcc_lo, 0, v144, vcc_lo
	s_delay_alu instid0(VALU_DEP_2)
	v_lshrrev_b32_e32 v145, v146, v145
; %bb.5703:                             ;   in Loop: Header=BB2_5650 Depth=3
	s_and_not1_saveexec_b32 s14, s14
; %bb.5704:                             ;   in Loop: Header=BB2_5650 Depth=3
	s_delay_alu instid0(VALU_DEP_1)
	v_bfe_u32 v144, v145, 23, 1
; %bb.5705:                             ;   in Loop: Header=BB2_5650 Depth=3
	s_or_b32 exec_lo, exec_lo, s14
	v_lshrrev_b32_e32 v145, 21, v145
	s_delay_alu instid0(VALU_DEP_2) | instskip(SKIP_2) | instid1(VALU_DEP_2)
	v_cmp_gt_i32_e32 vcc_lo, 32, v144
	v_lshrrev_b32_e32 v8, 24, v8
	v_min_i32_e32 v146, 31, v144
	v_dual_cndmask_b32 v145, 3, v145 :: v_dual_and_b32 v8, 0x80, v8
	s_delay_alu instid0(VALU_DEP_2) | instskip(NEXT) | instid1(VALU_DEP_2)
	v_lshlrev_b32_e32 v146, 2, v146
	v_and_b32_e32 v148, 3, v145
	v_or_b32_e32 v144, v144, v145
	s_delay_alu instid0(VALU_DEP_2) | instskip(NEXT) | instid1(VALU_DEP_2)
	v_or3_b32 v8, v146, v8, v148
	v_cmp_ne_u32_e32 vcc_lo, 0, v144
	s_delay_alu instid0(VALU_DEP_2)
	v_cndmask_b32_e32 v164, 0, v8, vcc_lo
.LBB2_5706:                             ;   in Loop: Header=BB2_5650 Depth=3
	s_or_b32 exec_lo, exec_lo, s35
.LBB2_5707:                             ;   in Loop: Header=BB2_5650 Depth=3
	s_delay_alu instid0(SALU_CYCLE_1) | instskip(SKIP_3) | instid1(VALU_DEP_1)
	s_or_b32 exec_lo, exec_lo, s34
	v_and_b32_e32 v144, 0xff, v9
	s_mov_b32 s14, 0
	s_mov_b32 s35, exec_lo
                                        ; implicit-def: $sgpr34
	v_cmpx_lt_i16_e64 0x7f, v144
	s_xor_b32 s35, exec_lo, s35
	s_cbranch_execnz .LBB2_6121
; %bb.5708:                             ;   in Loop: Header=BB2_5650 Depth=3
	s_or_saveexec_b32 s35, s35
	v_mov_b32_e32 v8, s34
	s_xor_b32 exec_lo, exec_lo, s35
	s_cbranch_execnz .LBB2_6124
.LBB2_5709:                             ;   in Loop: Header=BB2_5650 Depth=3
	s_or_b32 exec_lo, exec_lo, s35
	s_and_saveexec_b32 s34, s14
	s_cbranch_execz .LBB2_5711
.LBB2_5710:                             ;   in Loop: Header=BB2_5650 Depth=3
	v_and_b32_e32 v8, 3, v9
	v_bfe_u32 v146, v9, 2, 5
	v_lshlrev_b32_e32 v148, 24, v9
	s_delay_alu instid0(VALU_DEP_3) | instskip(NEXT) | instid1(VALU_DEP_3)
	v_clz_i32_u32_e32 v144, v8
	v_cmp_eq_u32_e32 vcc_lo, 0, v146
	s_delay_alu instid0(VALU_DEP_2) | instskip(NEXT) | instid1(VALU_DEP_1)
	v_min_u32_e32 v144, 32, v144
	v_subrev_nc_u32_e32 v145, 29, v144
	v_sub_nc_u32_e32 v144, 30, v144
	s_delay_alu instid0(VALU_DEP_1) | instskip(NEXT) | instid1(VALU_DEP_1)
	v_dual_cndmask_b32 v144, v146, v144 :: v_dual_lshlrev_b32 v145, v145, v9
	v_and_b32_e32 v145, 3, v145
	s_delay_alu instid0(VALU_DEP_2) | instskip(NEXT) | instid1(VALU_DEP_2)
	v_lshl_add_u32 v144, v144, 23, 0x37800000
	v_dual_cndmask_b32 v8, v8, v145 :: v_dual_and_b32 v145, 0x80000000, v148
	s_delay_alu instid0(VALU_DEP_1) | instskip(NEXT) | instid1(VALU_DEP_1)
	v_lshlrev_b32_e32 v8, 21, v8
	v_or3_b32 v8, v145, v144, v8
.LBB2_5711:                             ;   in Loop: Header=BB2_5650 Depth=3
	s_or_b32 exec_lo, exec_lo, s34
	s_delay_alu instid0(VALU_DEP_1) | instskip(SKIP_1) | instid1(VALU_DEP_1)
	v_dual_mul_f32 v8, s31, v8 :: v_dual_mov_b32 v163, 0x80
	s_mov_b32 s34, exec_lo
	v_and_b32_e32 v144, 0x7f800000, v8
	s_delay_alu instid0(VALU_DEP_1)
	v_cmpx_ne_u32_e32 0x7f800000, v144
	s_cbranch_execz .LBB2_5719
; %bb.5712:                             ;   in Loop: Header=BB2_5650 Depth=3
	v_mov_b32_e32 v163, 0
	s_mov_b32 s35, exec_lo
	v_cmpx_ne_u32_e32 0, v8
	s_cbranch_execz .LBB2_5718
; %bb.5713:                             ;   in Loop: Header=BB2_5650 Depth=3
	v_bfe_u32 v144, v8, 23, 8
	s_delay_alu instid0(VALU_DEP_1) | instskip(SKIP_1) | instid1(VALU_DEP_2)
	v_sub_nc_u32_e32 v146, 0x70, v144
	v_cmp_gt_u32_e32 vcc_lo, 0x71, v144
	v_dual_cndmask_b32 v146, 0, v146 :: v_dual_and_b32 v145, 0x7fffff, v8
	s_delay_alu instid0(VALU_DEP_1) | instskip(SKIP_2) | instid1(VALU_DEP_4)
	v_or_b32_e32 v148, 0x800000, v145
	v_cmp_eq_u32_e32 vcc_lo, 0, v144
	v_add_nc_u32_e32 v144, 0xffffff91, v144
	v_cndmask_b32_e64 v146, v146, 0x6f, vcc_lo
	s_delay_alu instid0(VALU_DEP_4) | instskip(NEXT) | instid1(VALU_DEP_3)
	v_cndmask_b32_e32 v145, v148, v145, vcc_lo
	v_cndmask_b32_e64 v144, v144, 0xffffff92, vcc_lo
	s_delay_alu instid0(VALU_DEP_3) | instskip(NEXT) | instid1(VALU_DEP_3)
	v_lshl_add_u32 v148, 0x200000, v146, -1
	v_lshrrev_b32_e32 v149, v146, v145
	v_lshlrev_b32_e64 v151, v146, 0x100000
	s_delay_alu instid0(VALU_DEP_4) | instskip(NEXT) | instid1(VALU_DEP_4)
	v_add_nc_u32_e32 v146, v146, v144
	v_and_b32_e32 v145, v148, v145
	s_delay_alu instid0(VALU_DEP_4) | instskip(NEXT) | instid1(VALU_DEP_2)
	v_bfe_u32 v150, v149, 21, 1
	v_cmp_eq_u32_e64 s14, v145, v151
	s_delay_alu instid0(VALU_DEP_2) | instskip(NEXT) | instid1(VALU_DEP_1)
	v_add_nc_u32_e32 v148, -1, v150
	v_cndmask_b32_e64 v145, 0, v148, s14
	v_lshrrev_b32_e32 v148, 23, v149
	s_mov_b32 s14, exec_lo
	s_delay_alu instid0(VALU_DEP_2) | instskip(NEXT) | instid1(VALU_DEP_2)
	v_add_nc_u32_e32 v145, v145, v149
	v_xor_b32_e32 v148, 1, v148
	s_delay_alu instid0(VALU_DEP_2) | instskip(NEXT) | instid1(VALU_DEP_1)
	v_and_b32_e32 v144, 0x1fffff, v145
	v_add_nc_u32_e32 v145, v144, v149
                                        ; implicit-def: $vgpr144
	s_delay_alu instid0(VALU_DEP_3)
	v_cmpx_ne_u32_e64 v146, v148
	s_xor_b32 s14, exec_lo, s14
; %bb.5714:                             ;   in Loop: Header=BB2_5650 Depth=3
	s_delay_alu instid0(VALU_DEP_2) | instskip(SKIP_2) | instid1(VALU_DEP_2)
	v_cmp_lt_u32_e32 vcc_lo, 0xffffff, v145
	v_sub_nc_u32_e32 v144, v146, v148
	v_cndmask_b32_e64 v146, 0, 1, vcc_lo
	v_add_co_ci_u32_e32 v144, vcc_lo, 0, v144, vcc_lo
	s_delay_alu instid0(VALU_DEP_2)
	v_lshrrev_b32_e32 v145, v146, v145
; %bb.5715:                             ;   in Loop: Header=BB2_5650 Depth=3
	s_and_not1_saveexec_b32 s14, s14
; %bb.5716:                             ;   in Loop: Header=BB2_5650 Depth=3
	s_delay_alu instid0(VALU_DEP_1)
	v_bfe_u32 v144, v145, 23, 1
; %bb.5717:                             ;   in Loop: Header=BB2_5650 Depth=3
	s_or_b32 exec_lo, exec_lo, s14
	v_lshrrev_b32_e32 v145, 21, v145
	s_delay_alu instid0(VALU_DEP_2) | instskip(SKIP_2) | instid1(VALU_DEP_2)
	v_cmp_gt_i32_e32 vcc_lo, 32, v144
	v_min_i32_e32 v146, 31, v144
	v_lshrrev_b32_e32 v8, 24, v8
	v_dual_cndmask_b32 v145, 3, v145 :: v_dual_lshlrev_b32 v146, 2, v146
	s_delay_alu instid0(VALU_DEP_2) | instskip(NEXT) | instid1(VALU_DEP_2)
	v_and_b32_e32 v8, 0x80, v8
	v_or_b32_e32 v144, v144, v145
	s_delay_alu instid0(VALU_DEP_3) | instskip(NEXT) | instid1(VALU_DEP_2)
	v_and_b32_e32 v146, 0xfc, v146
	v_cmp_ne_u32_e32 vcc_lo, 0, v144
	v_and_b32_e32 v148, 3, v145
	s_delay_alu instid0(VALU_DEP_1) | instskip(NEXT) | instid1(VALU_DEP_1)
	v_or3_b32 v8, v146, v8, v148
	v_cndmask_b32_e32 v163, 0, v8, vcc_lo
.LBB2_5718:                             ;   in Loop: Header=BB2_5650 Depth=3
	s_or_b32 exec_lo, exec_lo, s35
.LBB2_5719:                             ;   in Loop: Header=BB2_5650 Depth=3
	s_delay_alu instid0(SALU_CYCLE_1) | instskip(SKIP_3) | instid1(VALU_DEP_1)
	s_or_b32 exec_lo, exec_lo, s34
	v_lshrrev_b16 v8, 8, v9
	s_mov_b32 s14, 0
	s_mov_b32 s35, exec_lo
                                        ; implicit-def: $sgpr34
	v_cmpx_lt_i16_e32 0x7f, v8
	s_xor_b32 s35, exec_lo, s35
	s_cbranch_execnz .LBB2_6125
; %bb.5720:                             ;   in Loop: Header=BB2_5650 Depth=3
	s_or_saveexec_b32 s35, s35
	v_mov_b32_e32 v144, s34
	s_xor_b32 exec_lo, exec_lo, s35
	s_cbranch_execnz .LBB2_6128
.LBB2_5721:                             ;   in Loop: Header=BB2_5650 Depth=3
	s_or_b32 exec_lo, exec_lo, s35
	s_and_saveexec_b32 s34, s14
	s_cbranch_execz .LBB2_5723
.LBB2_5722:                             ;   in Loop: Header=BB2_5650 Depth=3
	v_and_b32_e32 v144, 0xffff, v8
	v_lshlrev_b32_e32 v8, 24, v8
	s_delay_alu instid0(VALU_DEP_2) | instskip(NEXT) | instid1(VALU_DEP_2)
	v_and_b32_e32 v145, 3, v144
	v_and_b32_e32 v8, 0x80000000, v8
	s_delay_alu instid0(VALU_DEP_2) | instskip(NEXT) | instid1(VALU_DEP_1)
	v_clz_i32_u32_e32 v146, v145
	v_min_u32_e32 v146, 32, v146
	s_delay_alu instid0(VALU_DEP_1) | instskip(SKIP_1) | instid1(VALU_DEP_2)
	v_subrev_nc_u32_e32 v148, 29, v146
	v_sub_nc_u32_e32 v146, 30, v146
	v_lshlrev_b32_e32 v148, v148, v144
	v_bfe_u32 v144, v144, 2, 5
	s_delay_alu instid0(VALU_DEP_2) | instskip(NEXT) | instid1(VALU_DEP_2)
	v_and_b32_e32 v148, 3, v148
	v_cmp_eq_u32_e32 vcc_lo, 0, v144
	s_delay_alu instid0(VALU_DEP_2) | instskip(NEXT) | instid1(VALU_DEP_1)
	v_dual_cndmask_b32 v144, v144, v146 :: v_dual_cndmask_b32 v145, v145, v148
	v_lshl_add_u32 v144, v144, 23, 0x37800000
	s_delay_alu instid0(VALU_DEP_2) | instskip(NEXT) | instid1(VALU_DEP_1)
	v_lshlrev_b32_e32 v145, 21, v145
	v_or3_b32 v144, v8, v144, v145
.LBB2_5723:                             ;   in Loop: Header=BB2_5650 Depth=3
	s_or_b32 exec_lo, exec_lo, s34
	s_delay_alu instid0(VALU_DEP_1) | instskip(SKIP_2) | instid1(VALU_DEP_2)
	v_mul_f32_e32 v8, s31, v144
	v_mov_b32_e32 v166, 0x8000
	s_mov_b32 s34, exec_lo
	v_and_b32_e32 v144, 0x7f800000, v8
	s_delay_alu instid0(VALU_DEP_1)
	v_cmpx_ne_u32_e32 0x7f800000, v144
	s_cbranch_execz .LBB2_5731
; %bb.5724:                             ;   in Loop: Header=BB2_5650 Depth=3
	v_mov_b32_e32 v166, 0
	s_mov_b32 s35, exec_lo
	v_cmpx_ne_u32_e32 0, v8
	s_cbranch_execz .LBB2_5730
; %bb.5725:                             ;   in Loop: Header=BB2_5650 Depth=3
	v_bfe_u32 v144, v8, 23, 8
	s_delay_alu instid0(VALU_DEP_1) | instskip(SKIP_1) | instid1(VALU_DEP_2)
	v_sub_nc_u32_e32 v146, 0x70, v144
	v_cmp_gt_u32_e32 vcc_lo, 0x71, v144
	v_dual_cndmask_b32 v146, 0, v146 :: v_dual_and_b32 v145, 0x7fffff, v8
	s_delay_alu instid0(VALU_DEP_1) | instskip(SKIP_2) | instid1(VALU_DEP_4)
	v_or_b32_e32 v148, 0x800000, v145
	v_cmp_eq_u32_e32 vcc_lo, 0, v144
	v_add_nc_u32_e32 v144, 0xffffff91, v144
	v_cndmask_b32_e64 v146, v146, 0x6f, vcc_lo
	s_delay_alu instid0(VALU_DEP_4) | instskip(NEXT) | instid1(VALU_DEP_3)
	v_cndmask_b32_e32 v145, v148, v145, vcc_lo
	v_cndmask_b32_e64 v144, v144, 0xffffff92, vcc_lo
	s_delay_alu instid0(VALU_DEP_3) | instskip(NEXT) | instid1(VALU_DEP_3)
	v_lshl_add_u32 v148, 0x200000, v146, -1
	v_lshrrev_b32_e32 v149, v146, v145
	v_lshlrev_b32_e64 v151, v146, 0x100000
	s_delay_alu instid0(VALU_DEP_4) | instskip(NEXT) | instid1(VALU_DEP_4)
	v_add_nc_u32_e32 v146, v146, v144
	v_and_b32_e32 v145, v148, v145
	s_delay_alu instid0(VALU_DEP_4) | instskip(NEXT) | instid1(VALU_DEP_2)
	v_bfe_u32 v150, v149, 21, 1
	v_cmp_eq_u32_e64 s14, v145, v151
	s_delay_alu instid0(VALU_DEP_2) | instskip(NEXT) | instid1(VALU_DEP_1)
	v_add_nc_u32_e32 v148, -1, v150
	v_cndmask_b32_e64 v145, 0, v148, s14
	v_lshrrev_b32_e32 v148, 23, v149
	s_mov_b32 s14, exec_lo
	s_delay_alu instid0(VALU_DEP_2) | instskip(NEXT) | instid1(VALU_DEP_2)
	v_add_nc_u32_e32 v145, v145, v149
	v_xor_b32_e32 v148, 1, v148
	s_delay_alu instid0(VALU_DEP_2) | instskip(NEXT) | instid1(VALU_DEP_1)
	v_and_b32_e32 v144, 0x1fffff, v145
	v_add_nc_u32_e32 v145, v144, v149
                                        ; implicit-def: $vgpr144
	s_delay_alu instid0(VALU_DEP_3)
	v_cmpx_ne_u32_e64 v146, v148
	s_xor_b32 s14, exec_lo, s14
; %bb.5726:                             ;   in Loop: Header=BB2_5650 Depth=3
	s_delay_alu instid0(VALU_DEP_2) | instskip(SKIP_2) | instid1(VALU_DEP_2)
	v_cmp_lt_u32_e32 vcc_lo, 0xffffff, v145
	v_sub_nc_u32_e32 v144, v146, v148
	v_cndmask_b32_e64 v146, 0, 1, vcc_lo
	v_add_co_ci_u32_e32 v144, vcc_lo, 0, v144, vcc_lo
	s_delay_alu instid0(VALU_DEP_2)
	v_lshrrev_b32_e32 v145, v146, v145
; %bb.5727:                             ;   in Loop: Header=BB2_5650 Depth=3
	s_and_not1_saveexec_b32 s14, s14
; %bb.5728:                             ;   in Loop: Header=BB2_5650 Depth=3
	s_delay_alu instid0(VALU_DEP_1)
	v_bfe_u32 v144, v145, 23, 1
; %bb.5729:                             ;   in Loop: Header=BB2_5650 Depth=3
	s_or_b32 exec_lo, exec_lo, s14
	v_lshrrev_b32_e32 v145, 21, v145
	s_delay_alu instid0(VALU_DEP_2) | instskip(SKIP_2) | instid1(VALU_DEP_3)
	v_min_i32_e32 v146, 31, v144
	v_cmp_gt_i32_e32 vcc_lo, 32, v144
	v_lshrrev_b32_e32 v8, 24, v8
	v_dual_cndmask_b32 v145, 3, v145 :: v_dual_lshlrev_b32 v146, 2, v146
	s_delay_alu instid0(VALU_DEP_2) | instskip(NEXT) | instid1(VALU_DEP_2)
	v_and_b32_e32 v8, 0x80, v8
	v_and_b32_e32 v146, 0xfc, v146
	s_delay_alu instid0(VALU_DEP_3) | instskip(SKIP_1) | instid1(VALU_DEP_2)
	v_and_b32_e32 v148, 3, v145
	v_or_b32_e32 v144, v144, v145
	v_or3_b32 v8, v8, v146, v148
	s_delay_alu instid0(VALU_DEP_2) | instskip(NEXT) | instid1(VALU_DEP_2)
	v_cmp_ne_u32_e32 vcc_lo, 0, v144
	v_lshlrev_b32_e32 v8, 8, v8
	s_delay_alu instid0(VALU_DEP_1)
	v_cndmask_b32_e32 v166, 0, v8, vcc_lo
.LBB2_5730:                             ;   in Loop: Header=BB2_5650 Depth=3
	s_or_b32 exec_lo, exec_lo, s35
.LBB2_5731:                             ;   in Loop: Header=BB2_5650 Depth=3
	s_delay_alu instid0(SALU_CYCLE_1) | instskip(SKIP_3) | instid1(VALU_DEP_1)
	s_or_b32 exec_lo, exec_lo, s34
	v_lshrrev_b32_e32 v8, 16, v9
	s_mov_b32 s14, 0
	s_mov_b32 s35, exec_lo
                                        ; implicit-def: $sgpr34
	v_and_b32_e32 v145, 0xff, v8
	s_delay_alu instid0(VALU_DEP_1)
	v_cmpx_lt_i16_e64 0x7f, v145
	s_xor_b32 s35, exec_lo, s35
	s_cbranch_execnz .LBB2_6129
; %bb.5732:                             ;   in Loop: Header=BB2_5650 Depth=3
	s_or_saveexec_b32 s35, s35
	v_mov_b32_e32 v144, s34
	s_xor_b32 exec_lo, exec_lo, s35
	s_cbranch_execnz .LBB2_6132
.LBB2_5733:                             ;   in Loop: Header=BB2_5650 Depth=3
	s_or_b32 exec_lo, exec_lo, s35
	s_and_saveexec_b32 s34, s14
	s_cbranch_execz .LBB2_5735
.LBB2_5734:                             ;   in Loop: Header=BB2_5650 Depth=3
	v_bfe_u32 v144, v9, 16, 2
	v_lshlrev_b32_e32 v148, 8, v9
	s_delay_alu instid0(VALU_DEP_2) | instskip(NEXT) | instid1(VALU_DEP_1)
	v_clz_i32_u32_e32 v145, v144
	v_min_u32_e32 v145, 32, v145
	s_delay_alu instid0(VALU_DEP_1) | instskip(SKIP_1) | instid1(VALU_DEP_2)
	v_subrev_nc_u32_e32 v146, 29, v145
	v_sub_nc_u32_e32 v145, 30, v145
	v_lshlrev_b32_e32 v8, v146, v8
	v_bfe_u32 v146, v9, 18, 5
	s_delay_alu instid0(VALU_DEP_1) | instskip(NEXT) | instid1(VALU_DEP_3)
	v_cmp_eq_u32_e32 vcc_lo, 0, v146
	v_dual_cndmask_b32 v145, v146, v145 :: v_dual_and_b32 v8, 3, v8
	s_delay_alu instid0(VALU_DEP_1) | instskip(SKIP_1) | instid1(VALU_DEP_3)
	v_cndmask_b32_e32 v8, v144, v8, vcc_lo
	v_and_b32_e32 v144, 0x80000000, v148
	v_lshl_add_u32 v145, v145, 23, 0x37800000
	s_delay_alu instid0(VALU_DEP_3) | instskip(NEXT) | instid1(VALU_DEP_1)
	v_lshlrev_b32_e32 v8, 21, v8
	v_or3_b32 v144, v144, v145, v8
.LBB2_5735:                             ;   in Loop: Header=BB2_5650 Depth=3
	s_or_b32 exec_lo, exec_lo, s34
	s_delay_alu instid0(VALU_DEP_1) | instskip(SKIP_2) | instid1(VALU_DEP_2)
	v_mul_f32_e32 v8, s31, v144
	v_mov_b32_e32 v162, 0x80
	s_mov_b32 s34, exec_lo
	v_and_b32_e32 v144, 0x7f800000, v8
	s_delay_alu instid0(VALU_DEP_1)
	v_cmpx_ne_u32_e32 0x7f800000, v144
	s_cbranch_execz .LBB2_5743
; %bb.5736:                             ;   in Loop: Header=BB2_5650 Depth=3
	v_mov_b32_e32 v162, 0
	s_mov_b32 s35, exec_lo
	v_cmpx_ne_u32_e32 0, v8
	s_cbranch_execz .LBB2_5742
; %bb.5737:                             ;   in Loop: Header=BB2_5650 Depth=3
	v_bfe_u32 v144, v8, 23, 8
	s_delay_alu instid0(VALU_DEP_1) | instskip(SKIP_1) | instid1(VALU_DEP_2)
	v_sub_nc_u32_e32 v146, 0x70, v144
	v_cmp_gt_u32_e32 vcc_lo, 0x71, v144
	v_dual_cndmask_b32 v146, 0, v146 :: v_dual_and_b32 v145, 0x7fffff, v8
	s_delay_alu instid0(VALU_DEP_1) | instskip(SKIP_2) | instid1(VALU_DEP_4)
	v_or_b32_e32 v148, 0x800000, v145
	v_cmp_eq_u32_e32 vcc_lo, 0, v144
	v_add_nc_u32_e32 v144, 0xffffff91, v144
	v_cndmask_b32_e64 v146, v146, 0x6f, vcc_lo
	s_delay_alu instid0(VALU_DEP_4) | instskip(NEXT) | instid1(VALU_DEP_3)
	v_cndmask_b32_e32 v145, v148, v145, vcc_lo
	v_cndmask_b32_e64 v144, v144, 0xffffff92, vcc_lo
	s_delay_alu instid0(VALU_DEP_3) | instskip(NEXT) | instid1(VALU_DEP_3)
	v_lshl_add_u32 v148, 0x200000, v146, -1
	v_lshrrev_b32_e32 v149, v146, v145
	v_lshlrev_b32_e64 v151, v146, 0x100000
	s_delay_alu instid0(VALU_DEP_4) | instskip(NEXT) | instid1(VALU_DEP_4)
	v_add_nc_u32_e32 v146, v146, v144
	v_and_b32_e32 v145, v148, v145
	s_delay_alu instid0(VALU_DEP_4) | instskip(NEXT) | instid1(VALU_DEP_2)
	v_bfe_u32 v150, v149, 21, 1
	v_cmp_eq_u32_e64 s14, v145, v151
	s_delay_alu instid0(VALU_DEP_2) | instskip(NEXT) | instid1(VALU_DEP_1)
	v_add_nc_u32_e32 v148, -1, v150
	v_cndmask_b32_e64 v145, 0, v148, s14
	v_lshrrev_b32_e32 v148, 23, v149
	s_mov_b32 s14, exec_lo
	s_delay_alu instid0(VALU_DEP_2) | instskip(NEXT) | instid1(VALU_DEP_2)
	v_add_nc_u32_e32 v145, v145, v149
	v_xor_b32_e32 v148, 1, v148
	s_delay_alu instid0(VALU_DEP_2) | instskip(NEXT) | instid1(VALU_DEP_1)
	v_and_b32_e32 v144, 0x1fffff, v145
	v_add_nc_u32_e32 v145, v144, v149
                                        ; implicit-def: $vgpr144
	s_delay_alu instid0(VALU_DEP_3)
	v_cmpx_ne_u32_e64 v146, v148
	s_xor_b32 s14, exec_lo, s14
; %bb.5738:                             ;   in Loop: Header=BB2_5650 Depth=3
	s_delay_alu instid0(VALU_DEP_2) | instskip(SKIP_2) | instid1(VALU_DEP_2)
	v_cmp_lt_u32_e32 vcc_lo, 0xffffff, v145
	v_sub_nc_u32_e32 v144, v146, v148
	v_cndmask_b32_e64 v146, 0, 1, vcc_lo
	v_add_co_ci_u32_e32 v144, vcc_lo, 0, v144, vcc_lo
	s_delay_alu instid0(VALU_DEP_2)
	v_lshrrev_b32_e32 v145, v146, v145
; %bb.5739:                             ;   in Loop: Header=BB2_5650 Depth=3
	s_and_not1_saveexec_b32 s14, s14
; %bb.5740:                             ;   in Loop: Header=BB2_5650 Depth=3
	s_delay_alu instid0(VALU_DEP_1)
	v_bfe_u32 v144, v145, 23, 1
; %bb.5741:                             ;   in Loop: Header=BB2_5650 Depth=3
	s_or_b32 exec_lo, exec_lo, s14
	v_lshrrev_b32_e32 v145, 21, v145
	s_delay_alu instid0(VALU_DEP_2) | instskip(SKIP_2) | instid1(VALU_DEP_3)
	v_min_i32_e32 v146, 31, v144
	v_cmp_gt_i32_e32 vcc_lo, 32, v144
	v_lshrrev_b32_e32 v8, 24, v8
	v_dual_cndmask_b32 v145, 3, v145 :: v_dual_lshlrev_b32 v146, 2, v146
	s_delay_alu instid0(VALU_DEP_2) | instskip(NEXT) | instid1(VALU_DEP_2)
	v_and_b32_e32 v8, 0x80, v8
	v_and_b32_e32 v146, 0xfc, v146
	s_delay_alu instid0(VALU_DEP_3) | instskip(SKIP_1) | instid1(VALU_DEP_2)
	v_and_b32_e32 v148, 3, v145
	v_or_b32_e32 v144, v144, v145
	v_or3_b32 v8, v146, v8, v148
	s_delay_alu instid0(VALU_DEP_2) | instskip(NEXT) | instid1(VALU_DEP_2)
	v_cmp_ne_u32_e32 vcc_lo, 0, v144
	v_cndmask_b32_e32 v162, 0, v8, vcc_lo
.LBB2_5742:                             ;   in Loop: Header=BB2_5650 Depth=3
	s_or_b32 exec_lo, exec_lo, s35
.LBB2_5743:                             ;   in Loop: Header=BB2_5650 Depth=3
	s_delay_alu instid0(SALU_CYCLE_1) | instskip(SKIP_3) | instid1(VALU_DEP_1)
	s_or_b32 exec_lo, exec_lo, s34
	v_lshrrev_b32_e32 v8, 24, v9
	s_mov_b32 s14, 0
	s_mov_b32 s35, exec_lo
                                        ; implicit-def: $sgpr34
	v_cmpx_lt_i16_e32 0x7f, v8
	s_xor_b32 s35, exec_lo, s35
	s_cbranch_execnz .LBB2_6133
; %bb.5744:                             ;   in Loop: Header=BB2_5650 Depth=3
	s_or_saveexec_b32 s35, s35
	v_mov_b32_e32 v144, s34
	s_xor_b32 exec_lo, exec_lo, s35
	s_cbranch_execnz .LBB2_6136
.LBB2_5745:                             ;   in Loop: Header=BB2_5650 Depth=3
	s_or_b32 exec_lo, exec_lo, s35
	s_and_saveexec_b32 s34, s14
	s_cbranch_execz .LBB2_5747
.LBB2_5746:                             ;   in Loop: Header=BB2_5650 Depth=3
	v_bfe_u32 v144, v9, 24, 2
	s_delay_alu instid0(VALU_DEP_1) | instskip(NEXT) | instid1(VALU_DEP_1)
	v_clz_i32_u32_e32 v145, v144
	v_min_u32_e32 v145, 32, v145
	s_delay_alu instid0(VALU_DEP_1) | instskip(SKIP_1) | instid1(VALU_DEP_2)
	v_subrev_nc_u32_e32 v146, 29, v145
	v_sub_nc_u32_e32 v145, 30, v145
	v_lshlrev_b32_e32 v8, v146, v8
	v_bfe_u32 v146, v9, 26, 5
	v_and_b32_e32 v9, 0x80000000, v9
	s_delay_alu instid0(VALU_DEP_2) | instskip(NEXT) | instid1(VALU_DEP_4)
	v_cmp_eq_u32_e32 vcc_lo, 0, v146
	v_dual_cndmask_b32 v145, v146, v145 :: v_dual_and_b32 v8, 3, v8
	s_delay_alu instid0(VALU_DEP_1) | instskip(NEXT) | instid1(VALU_DEP_2)
	v_cndmask_b32_e32 v8, v144, v8, vcc_lo
	v_lshl_add_u32 v144, v145, 23, 0x37800000
	s_delay_alu instid0(VALU_DEP_2) | instskip(NEXT) | instid1(VALU_DEP_1)
	v_lshlrev_b32_e32 v8, 21, v8
	v_or3_b32 v144, v9, v144, v8
.LBB2_5747:                             ;   in Loop: Header=BB2_5650 Depth=3
	s_or_b32 exec_lo, exec_lo, s34
	s_delay_alu instid0(VALU_DEP_1) | instskip(SKIP_1) | instid1(VALU_DEP_1)
	v_dual_mul_f32 v8, s31, v144 :: v_dual_mov_b32 v165, 0x8000
	s_mov_b32 s34, exec_lo
	v_and_b32_e32 v9, 0x7f800000, v8
	s_delay_alu instid0(VALU_DEP_1)
	v_cmpx_ne_u32_e32 0x7f800000, v9
	s_cbranch_execz .LBB2_5755
; %bb.5748:                             ;   in Loop: Header=BB2_5650 Depth=3
	v_mov_b32_e32 v165, 0
	s_mov_b32 s35, exec_lo
	v_cmpx_ne_u32_e32 0, v8
	s_cbranch_execz .LBB2_5754
; %bb.5749:                             ;   in Loop: Header=BB2_5650 Depth=3
	v_bfe_u32 v9, v8, 23, 8
	s_delay_alu instid0(VALU_DEP_1) | instskip(SKIP_1) | instid1(VALU_DEP_2)
	v_sub_nc_u32_e32 v145, 0x70, v9
	v_cmp_gt_u32_e32 vcc_lo, 0x71, v9
	v_dual_cndmask_b32 v145, 0, v145 :: v_dual_and_b32 v144, 0x7fffff, v8
	s_delay_alu instid0(VALU_DEP_1) | instskip(SKIP_2) | instid1(VALU_DEP_4)
	v_or_b32_e32 v146, 0x800000, v144
	v_cmp_eq_u32_e32 vcc_lo, 0, v9
	v_add_nc_u32_e32 v9, 0xffffff91, v9
	v_cndmask_b32_e64 v145, v145, 0x6f, vcc_lo
	s_delay_alu instid0(VALU_DEP_4) | instskip(NEXT) | instid1(VALU_DEP_3)
	v_cndmask_b32_e32 v144, v146, v144, vcc_lo
	v_cndmask_b32_e64 v9, v9, 0xffffff92, vcc_lo
	s_delay_alu instid0(VALU_DEP_3) | instskip(NEXT) | instid1(VALU_DEP_3)
	v_lshl_add_u32 v146, 0x200000, v145, -1
	v_lshrrev_b32_e32 v148, v145, v144
	v_lshlrev_b32_e64 v150, v145, 0x100000
	s_delay_alu instid0(VALU_DEP_4) | instskip(NEXT) | instid1(VALU_DEP_4)
	v_add_nc_u32_e32 v145, v145, v9
	v_and_b32_e32 v144, v146, v144
	s_delay_alu instid0(VALU_DEP_4) | instskip(NEXT) | instid1(VALU_DEP_2)
	v_bfe_u32 v149, v148, 21, 1
	v_cmp_eq_u32_e64 s14, v144, v150
	s_delay_alu instid0(VALU_DEP_2) | instskip(NEXT) | instid1(VALU_DEP_1)
	v_add_nc_u32_e32 v146, -1, v149
	v_cndmask_b32_e64 v144, 0, v146, s14
	v_lshrrev_b32_e32 v146, 23, v148
	s_mov_b32 s14, exec_lo
	s_delay_alu instid0(VALU_DEP_2) | instskip(NEXT) | instid1(VALU_DEP_2)
	v_add_nc_u32_e32 v144, v144, v148
	v_xor_b32_e32 v146, 1, v146
	s_delay_alu instid0(VALU_DEP_2) | instskip(NEXT) | instid1(VALU_DEP_1)
	v_and_b32_e32 v9, 0x1fffff, v144
	v_add_nc_u32_e32 v144, v9, v148
                                        ; implicit-def: $vgpr9
	s_delay_alu instid0(VALU_DEP_3)
	v_cmpx_ne_u32_e64 v145, v146
	s_xor_b32 s14, exec_lo, s14
; %bb.5750:                             ;   in Loop: Header=BB2_5650 Depth=3
	s_delay_alu instid0(VALU_DEP_2) | instskip(SKIP_2) | instid1(VALU_DEP_2)
	v_cmp_lt_u32_e32 vcc_lo, 0xffffff, v144
	v_sub_nc_u32_e32 v9, v145, v146
	v_cndmask_b32_e64 v145, 0, 1, vcc_lo
	v_add_co_ci_u32_e32 v9, vcc_lo, 0, v9, vcc_lo
	s_delay_alu instid0(VALU_DEP_2)
	v_lshrrev_b32_e32 v144, v145, v144
; %bb.5751:                             ;   in Loop: Header=BB2_5650 Depth=3
	s_and_not1_saveexec_b32 s14, s14
; %bb.5752:                             ;   in Loop: Header=BB2_5650 Depth=3
	s_delay_alu instid0(VALU_DEP_1)
	v_bfe_u32 v9, v144, 23, 1
; %bb.5753:                             ;   in Loop: Header=BB2_5650 Depth=3
	s_or_b32 exec_lo, exec_lo, s14
	v_lshrrev_b32_e32 v144, 21, v144
	s_delay_alu instid0(VALU_DEP_2) | instskip(SKIP_2) | instid1(VALU_DEP_3)
	v_min_i32_e32 v145, 31, v9
	v_cmp_gt_i32_e32 vcc_lo, 32, v9
	v_lshrrev_b32_e32 v8, 24, v8
	v_dual_cndmask_b32 v144, 3, v144 :: v_dual_lshlrev_b32 v145, 2, v145
	s_delay_alu instid0(VALU_DEP_2) | instskip(NEXT) | instid1(VALU_DEP_2)
	v_and_b32_e32 v8, 0x80, v8
	v_and_b32_e32 v145, 0xfc, v145
	s_delay_alu instid0(VALU_DEP_3) | instskip(SKIP_1) | instid1(VALU_DEP_2)
	v_and_b32_e32 v146, 3, v144
	v_or_b32_e32 v9, v9, v144
	v_or3_b32 v8, v8, v145, v146
	s_delay_alu instid0(VALU_DEP_2) | instskip(NEXT) | instid1(VALU_DEP_2)
	v_cmp_ne_u32_e32 vcc_lo, 0, v9
	v_lshlrev_b32_e32 v8, 8, v8
	s_delay_alu instid0(VALU_DEP_1)
	v_cndmask_b32_e32 v165, 0, v8, vcc_lo
.LBB2_5754:                             ;   in Loop: Header=BB2_5650 Depth=3
	s_or_b32 exec_lo, exec_lo, s35
.LBB2_5755:                             ;   in Loop: Header=BB2_5650 Depth=3
	s_delay_alu instid0(SALU_CYCLE_1) | instskip(SKIP_3) | instid1(VALU_DEP_1)
	s_or_b32 exec_lo, exec_lo, s34
	v_and_b32_e32 v9, 0xff, v10
	s_mov_b32 s14, 0
	s_mov_b32 s35, exec_lo
                                        ; implicit-def: $sgpr34
	v_cmpx_lt_i16_e32 0x7f, v9
	s_xor_b32 s35, exec_lo, s35
	s_cbranch_execnz .LBB2_6137
; %bb.5756:                             ;   in Loop: Header=BB2_5650 Depth=3
	s_or_saveexec_b32 s35, s35
	v_mov_b32_e32 v8, s34
	s_xor_b32 exec_lo, exec_lo, s35
	s_cbranch_execnz .LBB2_6140
.LBB2_5757:                             ;   in Loop: Header=BB2_5650 Depth=3
	s_or_b32 exec_lo, exec_lo, s35
	s_and_saveexec_b32 s34, s14
	s_cbranch_execz .LBB2_5759
.LBB2_5758:                             ;   in Loop: Header=BB2_5650 Depth=3
	v_bfe_u32 v145, v10, 2, 5
	v_lshlrev_b32_e32 v146, 24, v10
	s_delay_alu instid0(VALU_DEP_2) | instskip(SKIP_1) | instid1(VALU_DEP_1)
	v_cmp_eq_u32_e32 vcc_lo, 0, v145
	v_and_b32_e32 v8, 3, v10
	v_clz_i32_u32_e32 v9, v8
	s_delay_alu instid0(VALU_DEP_1) | instskip(NEXT) | instid1(VALU_DEP_1)
	v_min_u32_e32 v9, 32, v9
	v_subrev_nc_u32_e32 v144, 29, v9
	v_sub_nc_u32_e32 v9, 30, v9
	s_delay_alu instid0(VALU_DEP_1) | instskip(NEXT) | instid1(VALU_DEP_1)
	v_dual_cndmask_b32 v9, v145, v9 :: v_dual_lshlrev_b32 v144, v144, v10
	v_and_b32_e32 v144, 3, v144
	s_delay_alu instid0(VALU_DEP_2) | instskip(NEXT) | instid1(VALU_DEP_2)
	v_lshl_add_u32 v9, v9, 23, 0x37800000
	v_cndmask_b32_e32 v8, v8, v144, vcc_lo
	v_and_b32_e32 v144, 0x80000000, v146
	s_delay_alu instid0(VALU_DEP_2) | instskip(NEXT) | instid1(VALU_DEP_1)
	v_lshlrev_b32_e32 v8, 21, v8
	v_or3_b32 v8, v144, v9, v8
.LBB2_5759:                             ;   in Loop: Header=BB2_5650 Depth=3
	s_or_b32 exec_lo, exec_lo, s34
	s_delay_alu instid0(VALU_DEP_1) | instskip(SKIP_2) | instid1(VALU_DEP_2)
	v_mul_f32_e32 v8, s31, v8
	v_mov_b32_e32 v160, 0x80
	s_mov_b32 s34, exec_lo
	v_and_b32_e32 v9, 0x7f800000, v8
	s_delay_alu instid0(VALU_DEP_1)
	v_cmpx_ne_u32_e32 0x7f800000, v9
	s_cbranch_execz .LBB2_5767
; %bb.5760:                             ;   in Loop: Header=BB2_5650 Depth=3
	v_mov_b32_e32 v160, 0
	s_mov_b32 s35, exec_lo
	v_cmpx_ne_u32_e32 0, v8
	s_cbranch_execz .LBB2_5766
; %bb.5761:                             ;   in Loop: Header=BB2_5650 Depth=3
	v_bfe_u32 v9, v8, 23, 8
	s_delay_alu instid0(VALU_DEP_1) | instskip(SKIP_1) | instid1(VALU_DEP_2)
	v_sub_nc_u32_e32 v145, 0x70, v9
	v_cmp_gt_u32_e32 vcc_lo, 0x71, v9
	v_dual_cndmask_b32 v145, 0, v145 :: v_dual_and_b32 v144, 0x7fffff, v8
	s_delay_alu instid0(VALU_DEP_1) | instskip(SKIP_2) | instid1(VALU_DEP_4)
	v_or_b32_e32 v146, 0x800000, v144
	v_cmp_eq_u32_e32 vcc_lo, 0, v9
	v_add_nc_u32_e32 v9, 0xffffff91, v9
	v_cndmask_b32_e64 v145, v145, 0x6f, vcc_lo
	s_delay_alu instid0(VALU_DEP_4) | instskip(NEXT) | instid1(VALU_DEP_3)
	v_cndmask_b32_e32 v144, v146, v144, vcc_lo
	v_cndmask_b32_e64 v9, v9, 0xffffff92, vcc_lo
	s_delay_alu instid0(VALU_DEP_3) | instskip(NEXT) | instid1(VALU_DEP_3)
	v_lshl_add_u32 v146, 0x200000, v145, -1
	v_lshrrev_b32_e32 v148, v145, v144
	v_lshlrev_b32_e64 v150, v145, 0x100000
	s_delay_alu instid0(VALU_DEP_4) | instskip(NEXT) | instid1(VALU_DEP_4)
	v_add_nc_u32_e32 v145, v145, v9
	v_and_b32_e32 v144, v146, v144
	s_delay_alu instid0(VALU_DEP_4) | instskip(NEXT) | instid1(VALU_DEP_2)
	v_bfe_u32 v149, v148, 21, 1
	v_cmp_eq_u32_e64 s14, v144, v150
	s_delay_alu instid0(VALU_DEP_2) | instskip(NEXT) | instid1(VALU_DEP_1)
	v_add_nc_u32_e32 v146, -1, v149
	v_cndmask_b32_e64 v144, 0, v146, s14
	v_lshrrev_b32_e32 v146, 23, v148
	s_mov_b32 s14, exec_lo
	s_delay_alu instid0(VALU_DEP_2) | instskip(NEXT) | instid1(VALU_DEP_2)
	v_add_nc_u32_e32 v144, v144, v148
	v_xor_b32_e32 v146, 1, v146
	s_delay_alu instid0(VALU_DEP_2) | instskip(NEXT) | instid1(VALU_DEP_1)
	v_and_b32_e32 v9, 0x1fffff, v144
	v_add_nc_u32_e32 v144, v9, v148
                                        ; implicit-def: $vgpr9
	s_delay_alu instid0(VALU_DEP_3)
	v_cmpx_ne_u32_e64 v145, v146
	s_xor_b32 s14, exec_lo, s14
; %bb.5762:                             ;   in Loop: Header=BB2_5650 Depth=3
	s_delay_alu instid0(VALU_DEP_2) | instskip(SKIP_2) | instid1(VALU_DEP_2)
	v_cmp_lt_u32_e32 vcc_lo, 0xffffff, v144
	v_sub_nc_u32_e32 v9, v145, v146
	v_cndmask_b32_e64 v145, 0, 1, vcc_lo
	v_add_co_ci_u32_e32 v9, vcc_lo, 0, v9, vcc_lo
	s_delay_alu instid0(VALU_DEP_2)
	v_lshrrev_b32_e32 v144, v145, v144
; %bb.5763:                             ;   in Loop: Header=BB2_5650 Depth=3
	s_and_not1_saveexec_b32 s14, s14
; %bb.5764:                             ;   in Loop: Header=BB2_5650 Depth=3
	s_delay_alu instid0(VALU_DEP_1)
	v_bfe_u32 v9, v144, 23, 1
; %bb.5765:                             ;   in Loop: Header=BB2_5650 Depth=3
	s_or_b32 exec_lo, exec_lo, s14
	v_lshrrev_b32_e32 v144, 21, v144
	s_delay_alu instid0(VALU_DEP_2) | instskip(SKIP_2) | instid1(VALU_DEP_4)
	v_cmp_gt_i32_e32 vcc_lo, 32, v9
	v_lshrrev_b32_e32 v8, 24, v8
	v_min_i32_e32 v145, 31, v9
	v_cndmask_b32_e32 v144, 3, v144, vcc_lo
	s_delay_alu instid0(VALU_DEP_3) | instskip(NEXT) | instid1(VALU_DEP_3)
	v_and_b32_e32 v8, 0x80, v8
	v_lshlrev_b32_e32 v145, 2, v145
	s_delay_alu instid0(VALU_DEP_3) | instskip(SKIP_1) | instid1(VALU_DEP_2)
	v_and_b32_e32 v146, 3, v144
	v_or_b32_e32 v9, v9, v144
	v_or3_b32 v8, v145, v8, v146
	s_delay_alu instid0(VALU_DEP_2) | instskip(NEXT) | instid1(VALU_DEP_2)
	v_cmp_ne_u32_e32 vcc_lo, 0, v9
	v_cndmask_b32_e32 v160, 0, v8, vcc_lo
.LBB2_5766:                             ;   in Loop: Header=BB2_5650 Depth=3
	s_or_b32 exec_lo, exec_lo, s35
.LBB2_5767:                             ;   in Loop: Header=BB2_5650 Depth=3
	s_delay_alu instid0(SALU_CYCLE_1) | instskip(SKIP_3) | instid1(VALU_DEP_1)
	s_or_b32 exec_lo, exec_lo, s34
	v_lshrrev_b16 v8, 8, v10
	s_mov_b32 s14, 0
	s_mov_b32 s35, exec_lo
                                        ; implicit-def: $sgpr34
	v_cmpx_lt_i16_e32 0x7f, v8
	s_xor_b32 s35, exec_lo, s35
	s_cbranch_execnz .LBB2_6141
; %bb.5768:                             ;   in Loop: Header=BB2_5650 Depth=3
	s_or_saveexec_b32 s35, s35
	v_mov_b32_e32 v9, s34
	s_xor_b32 exec_lo, exec_lo, s35
	s_cbranch_execnz .LBB2_6144
.LBB2_5769:                             ;   in Loop: Header=BB2_5650 Depth=3
	s_or_b32 exec_lo, exec_lo, s35
	s_and_saveexec_b32 s34, s14
	s_cbranch_execz .LBB2_5771
.LBB2_5770:                             ;   in Loop: Header=BB2_5650 Depth=3
	v_and_b32_e32 v9, 0xffff, v8
	v_lshlrev_b32_e32 v8, 24, v8
	s_delay_alu instid0(VALU_DEP_2) | instskip(NEXT) | instid1(VALU_DEP_2)
	v_and_b32_e32 v144, 3, v9
	v_and_b32_e32 v8, 0x80000000, v8
	s_delay_alu instid0(VALU_DEP_2) | instskip(NEXT) | instid1(VALU_DEP_1)
	v_clz_i32_u32_e32 v145, v144
	v_min_u32_e32 v145, 32, v145
	s_delay_alu instid0(VALU_DEP_1) | instskip(SKIP_1) | instid1(VALU_DEP_2)
	v_subrev_nc_u32_e32 v146, 29, v145
	v_sub_nc_u32_e32 v145, 30, v145
	v_lshlrev_b32_e32 v146, v146, v9
	v_bfe_u32 v9, v9, 2, 5
	s_delay_alu instid0(VALU_DEP_1) | instskip(NEXT) | instid1(VALU_DEP_3)
	v_cmp_eq_u32_e32 vcc_lo, 0, v9
	v_dual_cndmask_b32 v9, v9, v145 :: v_dual_and_b32 v146, 3, v146
	s_delay_alu instid0(VALU_DEP_1) | instskip(NEXT) | instid1(VALU_DEP_2)
	v_cndmask_b32_e32 v144, v144, v146, vcc_lo
	v_lshl_add_u32 v9, v9, 23, 0x37800000
	s_delay_alu instid0(VALU_DEP_2) | instskip(NEXT) | instid1(VALU_DEP_1)
	v_lshlrev_b32_e32 v144, 21, v144
	v_or3_b32 v9, v8, v9, v144
.LBB2_5771:                             ;   in Loop: Header=BB2_5650 Depth=3
	s_or_b32 exec_lo, exec_lo, s34
	s_delay_alu instid0(VALU_DEP_1) | instskip(SKIP_2) | instid1(VALU_DEP_2)
	v_mul_f32_e32 v8, s31, v9
	v_mov_b32_e32 v150, 0x80
	s_mov_b32 s34, exec_lo
	v_and_b32_e32 v9, 0x7f800000, v8
	s_delay_alu instid0(VALU_DEP_1)
	v_cmpx_ne_u32_e32 0x7f800000, v9
	s_cbranch_execz .LBB2_5779
; %bb.5772:                             ;   in Loop: Header=BB2_5650 Depth=3
	v_mov_b32_e32 v150, 0
	s_mov_b32 s35, exec_lo
	v_cmpx_ne_u32_e32 0, v8
	s_cbranch_execz .LBB2_5778
; %bb.5773:                             ;   in Loop: Header=BB2_5650 Depth=3
	v_bfe_u32 v9, v8, 23, 8
	s_delay_alu instid0(VALU_DEP_1) | instskip(SKIP_1) | instid1(VALU_DEP_2)
	v_sub_nc_u32_e32 v145, 0x70, v9
	v_cmp_gt_u32_e32 vcc_lo, 0x71, v9
	v_dual_cndmask_b32 v145, 0, v145 :: v_dual_and_b32 v144, 0x7fffff, v8
	s_delay_alu instid0(VALU_DEP_1) | instskip(SKIP_2) | instid1(VALU_DEP_4)
	v_or_b32_e32 v146, 0x800000, v144
	v_cmp_eq_u32_e32 vcc_lo, 0, v9
	v_add_nc_u32_e32 v9, 0xffffff91, v9
	v_cndmask_b32_e64 v145, v145, 0x6f, vcc_lo
	s_delay_alu instid0(VALU_DEP_4) | instskip(NEXT) | instid1(VALU_DEP_3)
	v_cndmask_b32_e32 v144, v146, v144, vcc_lo
	v_cndmask_b32_e64 v9, v9, 0xffffff92, vcc_lo
	s_delay_alu instid0(VALU_DEP_3) | instskip(NEXT) | instid1(VALU_DEP_3)
	v_lshl_add_u32 v146, 0x200000, v145, -1
	v_lshrrev_b32_e32 v148, v145, v144
	v_lshlrev_b32_e64 v150, v145, 0x100000
	s_delay_alu instid0(VALU_DEP_4) | instskip(NEXT) | instid1(VALU_DEP_4)
	v_add_nc_u32_e32 v145, v145, v9
	v_and_b32_e32 v144, v146, v144
	s_delay_alu instid0(VALU_DEP_4) | instskip(NEXT) | instid1(VALU_DEP_2)
	v_bfe_u32 v149, v148, 21, 1
	v_cmp_eq_u32_e64 s14, v144, v150
	s_delay_alu instid0(VALU_DEP_2) | instskip(NEXT) | instid1(VALU_DEP_1)
	v_add_nc_u32_e32 v146, -1, v149
	v_cndmask_b32_e64 v144, 0, v146, s14
	v_lshrrev_b32_e32 v146, 23, v148
	s_mov_b32 s14, exec_lo
	s_delay_alu instid0(VALU_DEP_2) | instskip(NEXT) | instid1(VALU_DEP_2)
	v_add_nc_u32_e32 v144, v144, v148
	v_xor_b32_e32 v146, 1, v146
	s_delay_alu instid0(VALU_DEP_2) | instskip(NEXT) | instid1(VALU_DEP_1)
	v_and_b32_e32 v9, 0x1fffff, v144
	v_add_nc_u32_e32 v144, v9, v148
                                        ; implicit-def: $vgpr9
	s_delay_alu instid0(VALU_DEP_3)
	v_cmpx_ne_u32_e64 v145, v146
	s_xor_b32 s14, exec_lo, s14
; %bb.5774:                             ;   in Loop: Header=BB2_5650 Depth=3
	s_delay_alu instid0(VALU_DEP_2) | instskip(SKIP_2) | instid1(VALU_DEP_2)
	v_cmp_lt_u32_e32 vcc_lo, 0xffffff, v144
	v_sub_nc_u32_e32 v9, v145, v146
	v_cndmask_b32_e64 v145, 0, 1, vcc_lo
	v_add_co_ci_u32_e32 v9, vcc_lo, 0, v9, vcc_lo
	s_delay_alu instid0(VALU_DEP_2)
	v_lshrrev_b32_e32 v144, v145, v144
; %bb.5775:                             ;   in Loop: Header=BB2_5650 Depth=3
	s_and_not1_saveexec_b32 s14, s14
; %bb.5776:                             ;   in Loop: Header=BB2_5650 Depth=3
	s_delay_alu instid0(VALU_DEP_1)
	v_bfe_u32 v9, v144, 23, 1
; %bb.5777:                             ;   in Loop: Header=BB2_5650 Depth=3
	s_or_b32 exec_lo, exec_lo, s14
	v_lshrrev_b32_e32 v144, 21, v144
	s_delay_alu instid0(VALU_DEP_2) | instskip(SKIP_2) | instid1(VALU_DEP_4)
	v_cmp_gt_i32_e32 vcc_lo, 32, v9
	v_lshrrev_b32_e32 v8, 24, v8
	v_min_i32_e32 v145, 31, v9
	v_cndmask_b32_e32 v144, 3, v144, vcc_lo
	s_delay_alu instid0(VALU_DEP_3) | instskip(NEXT) | instid1(VALU_DEP_3)
	v_and_b32_e32 v8, 0x80, v8
	v_lshlrev_b32_e32 v145, 2, v145
	s_delay_alu instid0(VALU_DEP_3) | instskip(SKIP_1) | instid1(VALU_DEP_2)
	v_and_b32_e32 v146, 3, v144
	v_or_b32_e32 v9, v9, v144
	v_or3_b32 v8, v145, v8, v146
	s_delay_alu instid0(VALU_DEP_2) | instskip(NEXT) | instid1(VALU_DEP_2)
	v_cmp_ne_u32_e32 vcc_lo, 0, v9
	v_cndmask_b32_e32 v150, 0, v8, vcc_lo
.LBB2_5778:                             ;   in Loop: Header=BB2_5650 Depth=3
	s_or_b32 exec_lo, exec_lo, s35
.LBB2_5779:                             ;   in Loop: Header=BB2_5650 Depth=3
	s_delay_alu instid0(SALU_CYCLE_1) | instskip(SKIP_3) | instid1(VALU_DEP_1)
	s_or_b32 exec_lo, exec_lo, s34
	v_lshrrev_b32_e32 v8, 16, v10
	s_mov_b32 s14, 0
	s_mov_b32 s35, exec_lo
                                        ; implicit-def: $sgpr34
	v_and_b32_e32 v144, 0xff, v8
	s_delay_alu instid0(VALU_DEP_1)
	v_cmpx_lt_i16_e64 0x7f, v144
	s_xor_b32 s35, exec_lo, s35
	s_cbranch_execnz .LBB2_6145
; %bb.5780:                             ;   in Loop: Header=BB2_5650 Depth=3
	s_or_saveexec_b32 s35, s35
	v_mov_b32_e32 v9, s34
	s_xor_b32 exec_lo, exec_lo, s35
	s_cbranch_execnz .LBB2_6148
.LBB2_5781:                             ;   in Loop: Header=BB2_5650 Depth=3
	s_or_b32 exec_lo, exec_lo, s35
	s_and_saveexec_b32 s34, s14
	s_cbranch_execz .LBB2_5783
.LBB2_5782:                             ;   in Loop: Header=BB2_5650 Depth=3
	v_bfe_u32 v9, v10, 16, 2
	v_lshlrev_b32_e32 v146, 8, v10
	s_delay_alu instid0(VALU_DEP_2) | instskip(NEXT) | instid1(VALU_DEP_1)
	v_clz_i32_u32_e32 v144, v9
	v_min_u32_e32 v144, 32, v144
	s_delay_alu instid0(VALU_DEP_1) | instskip(SKIP_1) | instid1(VALU_DEP_2)
	v_subrev_nc_u32_e32 v145, 29, v144
	v_sub_nc_u32_e32 v144, 30, v144
	v_lshlrev_b32_e32 v8, v145, v8
	v_bfe_u32 v145, v10, 18, 5
	s_delay_alu instid0(VALU_DEP_2) | instskip(NEXT) | instid1(VALU_DEP_2)
	v_and_b32_e32 v8, 3, v8
	v_cmp_eq_u32_e32 vcc_lo, 0, v145
	v_cndmask_b32_e32 v144, v145, v144, vcc_lo
	s_delay_alu instid0(VALU_DEP_3) | instskip(NEXT) | instid1(VALU_DEP_2)
	v_dual_cndmask_b32 v8, v9, v8 :: v_dual_and_b32 v9, 0x80000000, v146
	v_lshl_add_u32 v144, v144, 23, 0x37800000
	s_delay_alu instid0(VALU_DEP_2) | instskip(NEXT) | instid1(VALU_DEP_1)
	v_lshlrev_b32_e32 v8, 21, v8
	v_or3_b32 v9, v9, v144, v8
.LBB2_5783:                             ;   in Loop: Header=BB2_5650 Depth=3
	s_or_b32 exec_lo, exec_lo, s34
	s_delay_alu instid0(VALU_DEP_1) | instskip(SKIP_1) | instid1(VALU_DEP_1)
	v_dual_mul_f32 v8, s31, v9 :: v_dual_mov_b32 v149, 0x80
	s_mov_b32 s34, exec_lo
	v_and_b32_e32 v9, 0x7f800000, v8
	s_delay_alu instid0(VALU_DEP_1)
	v_cmpx_ne_u32_e32 0x7f800000, v9
	s_cbranch_execz .LBB2_5791
; %bb.5784:                             ;   in Loop: Header=BB2_5650 Depth=3
	v_mov_b32_e32 v149, 0
	s_mov_b32 s35, exec_lo
	v_cmpx_ne_u32_e32 0, v8
	s_cbranch_execz .LBB2_5790
; %bb.5785:                             ;   in Loop: Header=BB2_5650 Depth=3
	v_bfe_u32 v9, v8, 23, 8
	s_delay_alu instid0(VALU_DEP_1) | instskip(SKIP_1) | instid1(VALU_DEP_2)
	v_sub_nc_u32_e32 v145, 0x70, v9
	v_cmp_gt_u32_e32 vcc_lo, 0x71, v9
	v_dual_cndmask_b32 v145, 0, v145 :: v_dual_and_b32 v144, 0x7fffff, v8
	s_delay_alu instid0(VALU_DEP_1) | instskip(SKIP_2) | instid1(VALU_DEP_4)
	v_or_b32_e32 v146, 0x800000, v144
	v_cmp_eq_u32_e32 vcc_lo, 0, v9
	v_add_nc_u32_e32 v9, 0xffffff91, v9
	v_cndmask_b32_e64 v145, v145, 0x6f, vcc_lo
	s_delay_alu instid0(VALU_DEP_4) | instskip(NEXT) | instid1(VALU_DEP_3)
	v_cndmask_b32_e32 v144, v146, v144, vcc_lo
	v_cndmask_b32_e64 v9, v9, 0xffffff92, vcc_lo
	s_delay_alu instid0(VALU_DEP_3) | instskip(NEXT) | instid1(VALU_DEP_3)
	v_lshl_add_u32 v146, 0x200000, v145, -1
	v_lshrrev_b32_e32 v148, v145, v144
	v_lshlrev_b32_e64 v151, v145, 0x100000
	s_delay_alu instid0(VALU_DEP_4) | instskip(NEXT) | instid1(VALU_DEP_4)
	v_add_nc_u32_e32 v145, v145, v9
	v_and_b32_e32 v144, v146, v144
	s_delay_alu instid0(VALU_DEP_4) | instskip(NEXT) | instid1(VALU_DEP_2)
	v_bfe_u32 v149, v148, 21, 1
	v_cmp_eq_u32_e64 s14, v144, v151
	s_delay_alu instid0(VALU_DEP_2) | instskip(NEXT) | instid1(VALU_DEP_1)
	v_add_nc_u32_e32 v146, -1, v149
	v_cndmask_b32_e64 v144, 0, v146, s14
	v_lshrrev_b32_e32 v146, 23, v148
	s_mov_b32 s14, exec_lo
	s_delay_alu instid0(VALU_DEP_2) | instskip(NEXT) | instid1(VALU_DEP_2)
	v_add_nc_u32_e32 v144, v144, v148
	v_xor_b32_e32 v146, 1, v146
	s_delay_alu instid0(VALU_DEP_2) | instskip(NEXT) | instid1(VALU_DEP_1)
	v_and_b32_e32 v9, 0x1fffff, v144
	v_add_nc_u32_e32 v144, v9, v148
                                        ; implicit-def: $vgpr9
	s_delay_alu instid0(VALU_DEP_3)
	v_cmpx_ne_u32_e64 v145, v146
	s_xor_b32 s14, exec_lo, s14
; %bb.5786:                             ;   in Loop: Header=BB2_5650 Depth=3
	s_delay_alu instid0(VALU_DEP_2) | instskip(SKIP_2) | instid1(VALU_DEP_2)
	v_cmp_lt_u32_e32 vcc_lo, 0xffffff, v144
	v_sub_nc_u32_e32 v9, v145, v146
	v_cndmask_b32_e64 v145, 0, 1, vcc_lo
	v_add_co_ci_u32_e32 v9, vcc_lo, 0, v9, vcc_lo
	s_delay_alu instid0(VALU_DEP_2)
	v_lshrrev_b32_e32 v144, v145, v144
; %bb.5787:                             ;   in Loop: Header=BB2_5650 Depth=3
	s_and_not1_saveexec_b32 s14, s14
; %bb.5788:                             ;   in Loop: Header=BB2_5650 Depth=3
	s_delay_alu instid0(VALU_DEP_1)
	v_bfe_u32 v9, v144, 23, 1
; %bb.5789:                             ;   in Loop: Header=BB2_5650 Depth=3
	s_or_b32 exec_lo, exec_lo, s14
	v_lshrrev_b32_e32 v144, 21, v144
	s_delay_alu instid0(VALU_DEP_2) | instskip(SKIP_2) | instid1(VALU_DEP_4)
	v_cmp_gt_i32_e32 vcc_lo, 32, v9
	v_lshrrev_b32_e32 v8, 24, v8
	v_min_i32_e32 v145, 31, v9
	v_cndmask_b32_e32 v144, 3, v144, vcc_lo
	s_delay_alu instid0(VALU_DEP_3) | instskip(NEXT) | instid1(VALU_DEP_3)
	v_and_b32_e32 v8, 0x80, v8
	v_lshlrev_b32_e32 v145, 2, v145
	s_delay_alu instid0(VALU_DEP_3) | instskip(SKIP_1) | instid1(VALU_DEP_2)
	v_and_b32_e32 v146, 3, v144
	v_or_b32_e32 v9, v9, v144
	v_or3_b32 v8, v145, v8, v146
	s_delay_alu instid0(VALU_DEP_2) | instskip(NEXT) | instid1(VALU_DEP_2)
	v_cmp_ne_u32_e32 vcc_lo, 0, v9
	v_cndmask_b32_e32 v149, 0, v8, vcc_lo
.LBB2_5790:                             ;   in Loop: Header=BB2_5650 Depth=3
	s_or_b32 exec_lo, exec_lo, s35
.LBB2_5791:                             ;   in Loop: Header=BB2_5650 Depth=3
	s_delay_alu instid0(SALU_CYCLE_1) | instskip(SKIP_3) | instid1(VALU_DEP_1)
	s_or_b32 exec_lo, exec_lo, s34
	v_lshrrev_b32_e32 v8, 24, v10
	s_mov_b32 s14, 0
	s_mov_b32 s35, exec_lo
                                        ; implicit-def: $sgpr34
	v_cmpx_lt_i16_e32 0x7f, v8
	s_xor_b32 s35, exec_lo, s35
	s_cbranch_execnz .LBB2_6149
; %bb.5792:                             ;   in Loop: Header=BB2_5650 Depth=3
	s_or_saveexec_b32 s35, s35
	v_mov_b32_e32 v9, s34
	s_xor_b32 exec_lo, exec_lo, s35
	s_cbranch_execnz .LBB2_6152
.LBB2_5793:                             ;   in Loop: Header=BB2_5650 Depth=3
	s_or_b32 exec_lo, exec_lo, s35
	s_and_saveexec_b32 s34, s14
	s_cbranch_execz .LBB2_5795
.LBB2_5794:                             ;   in Loop: Header=BB2_5650 Depth=3
	v_bfe_u32 v9, v10, 24, 2
	s_delay_alu instid0(VALU_DEP_1) | instskip(NEXT) | instid1(VALU_DEP_1)
	v_clz_i32_u32_e32 v144, v9
	v_min_u32_e32 v144, 32, v144
	s_delay_alu instid0(VALU_DEP_1) | instskip(SKIP_1) | instid1(VALU_DEP_2)
	v_subrev_nc_u32_e32 v145, 29, v144
	v_sub_nc_u32_e32 v144, 30, v144
	v_lshlrev_b32_e32 v8, v145, v8
	v_bfe_u32 v145, v10, 26, 5
	s_delay_alu instid0(VALU_DEP_2) | instskip(NEXT) | instid1(VALU_DEP_2)
	v_and_b32_e32 v8, 3, v8
	v_cmp_eq_u32_e32 vcc_lo, 0, v145
	v_cndmask_b32_e32 v144, v145, v144, vcc_lo
	s_delay_alu instid0(VALU_DEP_3) | instskip(NEXT) | instid1(VALU_DEP_2)
	v_dual_cndmask_b32 v8, v9, v8 :: v_dual_and_b32 v9, 0x80000000, v10
	v_lshl_add_u32 v10, v144, 23, 0x37800000
	s_delay_alu instid0(VALU_DEP_2) | instskip(NEXT) | instid1(VALU_DEP_1)
	v_lshlrev_b32_e32 v8, 21, v8
	v_or3_b32 v9, v9, v10, v8
.LBB2_5795:                             ;   in Loop: Header=BB2_5650 Depth=3
	s_or_b32 exec_lo, exec_lo, s34
	s_delay_alu instid0(VALU_DEP_1) | instskip(SKIP_2) | instid1(VALU_DEP_2)
	v_mul_f32_e32 v8, s31, v9
	v_mov_b32_e32 v146, 0x80
	s_mov_b32 s34, exec_lo
	v_and_b32_e32 v9, 0x7f800000, v8
	s_delay_alu instid0(VALU_DEP_1)
	v_cmpx_ne_u32_e32 0x7f800000, v9
	s_cbranch_execz .LBB2_5803
; %bb.5796:                             ;   in Loop: Header=BB2_5650 Depth=3
	v_mov_b32_e32 v146, 0
	s_mov_b32 s35, exec_lo
	v_cmpx_ne_u32_e32 0, v8
	s_cbranch_execz .LBB2_5802
; %bb.5797:                             ;   in Loop: Header=BB2_5650 Depth=3
	v_bfe_u32 v9, v8, 23, 8
	v_and_b32_e32 v10, 0x7fffff, v8
	s_delay_alu instid0(VALU_DEP_2) | instskip(SKIP_1) | instid1(VALU_DEP_3)
	v_sub_nc_u32_e32 v144, 0x70, v9
	v_cmp_gt_u32_e32 vcc_lo, 0x71, v9
	v_or_b32_e32 v145, 0x800000, v10
	s_delay_alu instid0(VALU_DEP_3) | instskip(SKIP_2) | instid1(VALU_DEP_3)
	v_cndmask_b32_e32 v144, 0, v144, vcc_lo
	v_cmp_eq_u32_e32 vcc_lo, 0, v9
	v_add_nc_u32_e32 v9, 0xffffff91, v9
	v_cndmask_b32_e64 v144, v144, 0x6f, vcc_lo
	v_cndmask_b32_e32 v10, v145, v10, vcc_lo
	s_delay_alu instid0(VALU_DEP_3) | instskip(NEXT) | instid1(VALU_DEP_3)
	v_cndmask_b32_e64 v9, v9, 0xffffff92, vcc_lo
	v_lshl_add_u32 v145, 0x200000, v144, -1
	s_delay_alu instid0(VALU_DEP_3) | instskip(SKIP_1) | instid1(VALU_DEP_4)
	v_lshrrev_b32_e32 v146, v144, v10
	v_lshlrev_b32_e64 v151, v144, 0x100000
	v_add_nc_u32_e32 v144, v144, v9
	s_delay_alu instid0(VALU_DEP_4) | instskip(NEXT) | instid1(VALU_DEP_4)
	v_and_b32_e32 v10, v145, v10
	v_bfe_u32 v148, v146, 21, 1
	s_delay_alu instid0(VALU_DEP_2) | instskip(NEXT) | instid1(VALU_DEP_2)
	v_cmp_eq_u32_e64 s14, v10, v151
	v_add_nc_u32_e32 v145, -1, v148
	s_delay_alu instid0(VALU_DEP_1) | instskip(SKIP_2) | instid1(VALU_DEP_2)
	v_cndmask_b32_e64 v10, 0, v145, s14
	v_lshrrev_b32_e32 v145, 23, v146
	s_mov_b32 s14, exec_lo
	v_add_nc_u32_e32 v10, v10, v146
	s_delay_alu instid0(VALU_DEP_2) | instskip(NEXT) | instid1(VALU_DEP_2)
	v_xor_b32_e32 v145, 1, v145
	v_and_b32_e32 v9, 0x1fffff, v10
	s_delay_alu instid0(VALU_DEP_1) | instskip(NEXT) | instid1(VALU_DEP_3)
	v_add_nc_u32_e32 v10, v9, v146
                                        ; implicit-def: $vgpr9
	v_cmpx_ne_u32_e64 v144, v145
	s_xor_b32 s14, exec_lo, s14
; %bb.5798:                             ;   in Loop: Header=BB2_5650 Depth=3
	s_delay_alu instid0(VALU_DEP_2) | instskip(SKIP_2) | instid1(VALU_DEP_2)
	v_cmp_lt_u32_e32 vcc_lo, 0xffffff, v10
	v_sub_nc_u32_e32 v9, v144, v145
	v_cndmask_b32_e64 v144, 0, 1, vcc_lo
	v_add_co_ci_u32_e32 v9, vcc_lo, 0, v9, vcc_lo
	s_delay_alu instid0(VALU_DEP_2)
	v_lshrrev_b32_e32 v10, v144, v10
; %bb.5799:                             ;   in Loop: Header=BB2_5650 Depth=3
	s_and_not1_saveexec_b32 s14, s14
; %bb.5800:                             ;   in Loop: Header=BB2_5650 Depth=3
	s_delay_alu instid0(VALU_DEP_1)
	v_bfe_u32 v9, v10, 23, 1
; %bb.5801:                             ;   in Loop: Header=BB2_5650 Depth=3
	s_or_b32 exec_lo, exec_lo, s14
	v_lshrrev_b32_e32 v10, 21, v10
	s_delay_alu instid0(VALU_DEP_2) | instskip(SKIP_2) | instid1(VALU_DEP_4)
	v_cmp_gt_i32_e32 vcc_lo, 32, v9
	v_lshrrev_b32_e32 v8, 24, v8
	v_min_i32_e32 v144, 31, v9
	v_cndmask_b32_e32 v10, 3, v10, vcc_lo
	s_delay_alu instid0(VALU_DEP_3) | instskip(NEXT) | instid1(VALU_DEP_3)
	v_and_b32_e32 v8, 0x80, v8
	v_lshlrev_b32_e32 v144, 2, v144
	s_delay_alu instid0(VALU_DEP_3) | instskip(NEXT) | instid1(VALU_DEP_1)
	v_or_b32_e32 v9, v9, v10
	v_cmp_ne_u32_e32 vcc_lo, 0, v9
	v_and_b32_e32 v145, 3, v10
	s_delay_alu instid0(VALU_DEP_1) | instskip(NEXT) | instid1(VALU_DEP_1)
	v_or3_b32 v8, v144, v8, v145
	v_cndmask_b32_e32 v146, 0, v8, vcc_lo
.LBB2_5802:                             ;   in Loop: Header=BB2_5650 Depth=3
	s_or_b32 exec_lo, exec_lo, s35
.LBB2_5803:                             ;   in Loop: Header=BB2_5650 Depth=3
	s_delay_alu instid0(SALU_CYCLE_1) | instskip(SKIP_3) | instid1(VALU_DEP_1)
	s_or_b32 exec_lo, exec_lo, s34
	v_and_b32_e32 v9, 0xff, v11
	s_mov_b32 s14, 0
	s_mov_b32 s35, exec_lo
                                        ; implicit-def: $sgpr34
	v_cmpx_lt_i16_e32 0x7f, v9
	s_xor_b32 s35, exec_lo, s35
	s_cbranch_execnz .LBB2_6153
; %bb.5804:                             ;   in Loop: Header=BB2_5650 Depth=3
	s_or_saveexec_b32 s35, s35
	v_mov_b32_e32 v8, s34
	s_xor_b32 exec_lo, exec_lo, s35
	s_cbranch_execnz .LBB2_6156
.LBB2_5805:                             ;   in Loop: Header=BB2_5650 Depth=3
	s_or_b32 exec_lo, exec_lo, s35
	s_and_saveexec_b32 s34, s14
	s_cbranch_execz .LBB2_5807
.LBB2_5806:                             ;   in Loop: Header=BB2_5650 Depth=3
	v_bfe_u32 v144, v11, 2, 5
	s_delay_alu instid0(VALU_DEP_1) | instskip(SKIP_1) | instid1(VALU_DEP_1)
	v_cmp_eq_u32_e32 vcc_lo, 0, v144
	v_and_b32_e32 v8, 3, v11
	v_clz_i32_u32_e32 v9, v8
	s_delay_alu instid0(VALU_DEP_1) | instskip(NEXT) | instid1(VALU_DEP_1)
	v_min_u32_e32 v9, 32, v9
	v_subrev_nc_u32_e32 v10, 29, v9
	v_sub_nc_u32_e32 v9, 30, v9
	s_delay_alu instid0(VALU_DEP_1) | instskip(NEXT) | instid1(VALU_DEP_1)
	v_dual_cndmask_b32 v9, v144, v9 :: v_dual_lshlrev_b32 v10, v10, v11
	v_and_b32_e32 v10, 3, v10
	v_lshlrev_b32_e32 v145, 24, v11
	s_delay_alu instid0(VALU_DEP_3) | instskip(NEXT) | instid1(VALU_DEP_3)
	v_lshl_add_u32 v9, v9, 23, 0x37800000
	v_cndmask_b32_e32 v8, v8, v10, vcc_lo
	s_delay_alu instid0(VALU_DEP_3) | instskip(NEXT) | instid1(VALU_DEP_2)
	v_and_b32_e32 v10, 0x80000000, v145
	v_lshlrev_b32_e32 v8, 21, v8
	s_delay_alu instid0(VALU_DEP_1)
	v_or3_b32 v8, v10, v9, v8
.LBB2_5807:                             ;   in Loop: Header=BB2_5650 Depth=3
	s_or_b32 exec_lo, exec_lo, s34
	s_delay_alu instid0(VALU_DEP_1) | instskip(SKIP_1) | instid1(VALU_DEP_1)
	v_dual_mul_f32 v8, s31, v8 :: v_dual_mov_b32 v145, 0x80
	s_mov_b32 s34, exec_lo
	v_and_b32_e32 v9, 0x7f800000, v8
	s_delay_alu instid0(VALU_DEP_1)
	v_cmpx_ne_u32_e32 0x7f800000, v9
	s_cbranch_execz .LBB2_5815
; %bb.5808:                             ;   in Loop: Header=BB2_5650 Depth=3
	v_mov_b32_e32 v145, 0
	s_mov_b32 s35, exec_lo
	v_cmpx_ne_u32_e32 0, v8
	s_cbranch_execz .LBB2_5814
; %bb.5809:                             ;   in Loop: Header=BB2_5650 Depth=3
	v_bfe_u32 v9, v8, 23, 8
	v_and_b32_e32 v10, 0x7fffff, v8
	s_delay_alu instid0(VALU_DEP_2) | instskip(SKIP_1) | instid1(VALU_DEP_3)
	v_sub_nc_u32_e32 v144, 0x70, v9
	v_cmp_gt_u32_e32 vcc_lo, 0x71, v9
	v_or_b32_e32 v145, 0x800000, v10
	s_delay_alu instid0(VALU_DEP_3) | instskip(SKIP_2) | instid1(VALU_DEP_3)
	v_cndmask_b32_e32 v144, 0, v144, vcc_lo
	v_cmp_eq_u32_e32 vcc_lo, 0, v9
	v_add_nc_u32_e32 v9, 0xffffff91, v9
	v_cndmask_b32_e64 v144, v144, 0x6f, vcc_lo
	v_cndmask_b32_e32 v10, v145, v10, vcc_lo
	s_delay_alu instid0(VALU_DEP_3) | instskip(NEXT) | instid1(VALU_DEP_3)
	v_cndmask_b32_e64 v9, v9, 0xffffff92, vcc_lo
	v_lshl_add_u32 v145, 0x200000, v144, -1
	s_delay_alu instid0(VALU_DEP_3) | instskip(SKIP_1) | instid1(VALU_DEP_4)
	v_lshrrev_b32_e32 v148, v144, v10
	v_lshlrev_b32_e64 v167, v144, 0x100000
	v_add_nc_u32_e32 v144, v144, v9
	s_delay_alu instid0(VALU_DEP_4) | instskip(NEXT) | instid1(VALU_DEP_4)
	v_and_b32_e32 v10, v145, v10
	v_bfe_u32 v151, v148, 21, 1
	s_delay_alu instid0(VALU_DEP_2) | instskip(NEXT) | instid1(VALU_DEP_2)
	v_cmp_eq_u32_e64 s14, v10, v167
	v_add_nc_u32_e32 v145, -1, v151
	s_delay_alu instid0(VALU_DEP_1) | instskip(SKIP_2) | instid1(VALU_DEP_2)
	v_cndmask_b32_e64 v10, 0, v145, s14
	v_lshrrev_b32_e32 v145, 23, v148
	s_mov_b32 s14, exec_lo
	v_add_nc_u32_e32 v10, v10, v148
	s_delay_alu instid0(VALU_DEP_2) | instskip(NEXT) | instid1(VALU_DEP_2)
	v_xor_b32_e32 v145, 1, v145
	v_and_b32_e32 v9, 0x1fffff, v10
	s_delay_alu instid0(VALU_DEP_1) | instskip(NEXT) | instid1(VALU_DEP_3)
	v_add_nc_u32_e32 v10, v9, v148
                                        ; implicit-def: $vgpr9
	v_cmpx_ne_u32_e64 v144, v145
	s_xor_b32 s14, exec_lo, s14
; %bb.5810:                             ;   in Loop: Header=BB2_5650 Depth=3
	s_delay_alu instid0(VALU_DEP_2) | instskip(SKIP_2) | instid1(VALU_DEP_2)
	v_cmp_lt_u32_e32 vcc_lo, 0xffffff, v10
	v_sub_nc_u32_e32 v9, v144, v145
	v_cndmask_b32_e64 v144, 0, 1, vcc_lo
	v_add_co_ci_u32_e32 v9, vcc_lo, 0, v9, vcc_lo
	s_delay_alu instid0(VALU_DEP_2)
	v_lshrrev_b32_e32 v10, v144, v10
; %bb.5811:                             ;   in Loop: Header=BB2_5650 Depth=3
	s_and_not1_saveexec_b32 s14, s14
; %bb.5812:                             ;   in Loop: Header=BB2_5650 Depth=3
	s_delay_alu instid0(VALU_DEP_1)
	v_bfe_u32 v9, v10, 23, 1
; %bb.5813:                             ;   in Loop: Header=BB2_5650 Depth=3
	s_or_b32 exec_lo, exec_lo, s14
	v_lshrrev_b32_e32 v10, 21, v10
	s_delay_alu instid0(VALU_DEP_2) | instskip(SKIP_2) | instid1(VALU_DEP_3)
	v_min_i32_e32 v144, 31, v9
	v_cmp_gt_i32_e32 vcc_lo, 32, v9
	v_lshrrev_b32_e32 v8, 24, v8
	v_lshlrev_b32_e32 v144, 2, v144
	v_cndmask_b32_e32 v10, 3, v10, vcc_lo
	s_delay_alu instid0(VALU_DEP_3) | instskip(NEXT) | instid1(VALU_DEP_3)
	v_and_b32_e32 v8, 0x80, v8
	v_and_b32_e32 v144, 0xfc, v144
	s_delay_alu instid0(VALU_DEP_3) | instskip(SKIP_1) | instid1(VALU_DEP_2)
	v_and_b32_e32 v145, 3, v10
	v_or_b32_e32 v9, v9, v10
	v_or3_b32 v8, v144, v8, v145
	s_delay_alu instid0(VALU_DEP_2) | instskip(NEXT) | instid1(VALU_DEP_2)
	v_cmp_ne_u32_e32 vcc_lo, 0, v9
	v_cndmask_b32_e32 v145, 0, v8, vcc_lo
.LBB2_5814:                             ;   in Loop: Header=BB2_5650 Depth=3
	s_or_b32 exec_lo, exec_lo, s35
.LBB2_5815:                             ;   in Loop: Header=BB2_5650 Depth=3
	s_delay_alu instid0(SALU_CYCLE_1) | instskip(SKIP_3) | instid1(VALU_DEP_1)
	s_or_b32 exec_lo, exec_lo, s34
	v_lshrrev_b16 v8, 8, v11
	s_mov_b32 s14, 0
	s_mov_b32 s35, exec_lo
                                        ; implicit-def: $sgpr34
	v_cmpx_lt_i16_e32 0x7f, v8
	s_xor_b32 s35, exec_lo, s35
	s_cbranch_execnz .LBB2_6157
; %bb.5816:                             ;   in Loop: Header=BB2_5650 Depth=3
	s_or_saveexec_b32 s35, s35
	v_mov_b32_e32 v9, s34
	s_xor_b32 exec_lo, exec_lo, s35
	s_cbranch_execnz .LBB2_6160
.LBB2_5817:                             ;   in Loop: Header=BB2_5650 Depth=3
	s_or_b32 exec_lo, exec_lo, s35
	s_and_saveexec_b32 s34, s14
	s_cbranch_execz .LBB2_5819
.LBB2_5818:                             ;   in Loop: Header=BB2_5650 Depth=3
	v_and_b32_e32 v9, 0xffff, v8
	v_lshlrev_b32_e32 v8, 24, v8
	s_delay_alu instid0(VALU_DEP_2) | instskip(NEXT) | instid1(VALU_DEP_2)
	v_and_b32_e32 v10, 3, v9
	v_and_b32_e32 v8, 0x80000000, v8
	s_delay_alu instid0(VALU_DEP_2) | instskip(NEXT) | instid1(VALU_DEP_1)
	v_clz_i32_u32_e32 v144, v10
	v_min_u32_e32 v144, 32, v144
	s_delay_alu instid0(VALU_DEP_1) | instskip(SKIP_1) | instid1(VALU_DEP_2)
	v_subrev_nc_u32_e32 v148, 29, v144
	v_sub_nc_u32_e32 v144, 30, v144
	v_lshlrev_b32_e32 v148, v148, v9
	v_bfe_u32 v9, v9, 2, 5
	s_delay_alu instid0(VALU_DEP_2) | instskip(NEXT) | instid1(VALU_DEP_2)
	v_and_b32_e32 v148, 3, v148
	v_cmp_eq_u32_e32 vcc_lo, 0, v9
	v_cndmask_b32_e32 v9, v9, v144, vcc_lo
	s_delay_alu instid0(VALU_DEP_3) | instskip(NEXT) | instid1(VALU_DEP_2)
	v_cndmask_b32_e32 v10, v10, v148, vcc_lo
	v_lshl_add_u32 v9, v9, 23, 0x37800000
	s_delay_alu instid0(VALU_DEP_2) | instskip(NEXT) | instid1(VALU_DEP_1)
	v_lshlrev_b32_e32 v10, 21, v10
	v_or3_b32 v9, v8, v9, v10
.LBB2_5819:                             ;   in Loop: Header=BB2_5650 Depth=3
	s_or_b32 exec_lo, exec_lo, s34
	s_delay_alu instid0(VALU_DEP_1) | instskip(SKIP_1) | instid1(VALU_DEP_1)
	v_dual_mul_f32 v8, s31, v9 :: v_dual_mov_b32 v151, 0x8000
	s_mov_b32 s34, exec_lo
	v_and_b32_e32 v9, 0x7f800000, v8
	s_delay_alu instid0(VALU_DEP_1)
	v_cmpx_ne_u32_e32 0x7f800000, v9
	s_cbranch_execz .LBB2_5827
; %bb.5820:                             ;   in Loop: Header=BB2_5650 Depth=3
	v_mov_b32_e32 v151, 0
	s_mov_b32 s35, exec_lo
	v_cmpx_ne_u32_e32 0, v8
	s_cbranch_execz .LBB2_5826
; %bb.5821:                             ;   in Loop: Header=BB2_5650 Depth=3
	v_bfe_u32 v9, v8, 23, 8
	v_and_b32_e32 v10, 0x7fffff, v8
	s_delay_alu instid0(VALU_DEP_2) | instskip(SKIP_1) | instid1(VALU_DEP_3)
	v_sub_nc_u32_e32 v144, 0x70, v9
	v_cmp_gt_u32_e32 vcc_lo, 0x71, v9
	v_or_b32_e32 v148, 0x800000, v10
	s_delay_alu instid0(VALU_DEP_3) | instskip(SKIP_2) | instid1(VALU_DEP_3)
	v_cndmask_b32_e32 v144, 0, v144, vcc_lo
	v_cmp_eq_u32_e32 vcc_lo, 0, v9
	v_add_nc_u32_e32 v9, 0xffffff91, v9
	v_cndmask_b32_e64 v144, v144, 0x6f, vcc_lo
	v_cndmask_b32_e32 v10, v148, v10, vcc_lo
	s_delay_alu instid0(VALU_DEP_3) | instskip(NEXT) | instid1(VALU_DEP_3)
	v_cndmask_b32_e64 v9, v9, 0xffffff92, vcc_lo
	v_lshl_add_u32 v148, 0x200000, v144, -1
	s_delay_alu instid0(VALU_DEP_3) | instskip(SKIP_1) | instid1(VALU_DEP_4)
	v_lshrrev_b32_e32 v151, v144, v10
	v_lshlrev_b32_e64 v176, v144, 0x100000
	v_add_nc_u32_e32 v144, v144, v9
	s_delay_alu instid0(VALU_DEP_4) | instskip(NEXT) | instid1(VALU_DEP_4)
	v_and_b32_e32 v10, v148, v10
	v_bfe_u32 v167, v151, 21, 1
	s_delay_alu instid0(VALU_DEP_2) | instskip(NEXT) | instid1(VALU_DEP_2)
	v_cmp_eq_u32_e64 s14, v10, v176
	v_add_nc_u32_e32 v148, -1, v167
	s_delay_alu instid0(VALU_DEP_1) | instskip(SKIP_2) | instid1(VALU_DEP_2)
	v_cndmask_b32_e64 v10, 0, v148, s14
	v_lshrrev_b32_e32 v148, 23, v151
	s_mov_b32 s14, exec_lo
	v_add_nc_u32_e32 v10, v10, v151
	s_delay_alu instid0(VALU_DEP_2) | instskip(NEXT) | instid1(VALU_DEP_2)
	v_xor_b32_e32 v148, 1, v148
	v_and_b32_e32 v9, 0x1fffff, v10
	s_delay_alu instid0(VALU_DEP_1) | instskip(NEXT) | instid1(VALU_DEP_3)
	v_add_nc_u32_e32 v10, v9, v151
                                        ; implicit-def: $vgpr9
	v_cmpx_ne_u32_e64 v144, v148
	s_xor_b32 s14, exec_lo, s14
; %bb.5822:                             ;   in Loop: Header=BB2_5650 Depth=3
	s_delay_alu instid0(VALU_DEP_2) | instskip(SKIP_2) | instid1(VALU_DEP_2)
	v_cmp_lt_u32_e32 vcc_lo, 0xffffff, v10
	v_sub_nc_u32_e32 v9, v144, v148
	v_cndmask_b32_e64 v144, 0, 1, vcc_lo
	v_add_co_ci_u32_e32 v9, vcc_lo, 0, v9, vcc_lo
	s_delay_alu instid0(VALU_DEP_2)
	v_lshrrev_b32_e32 v10, v144, v10
; %bb.5823:                             ;   in Loop: Header=BB2_5650 Depth=3
	s_and_not1_saveexec_b32 s14, s14
; %bb.5824:                             ;   in Loop: Header=BB2_5650 Depth=3
	s_delay_alu instid0(VALU_DEP_1)
	v_bfe_u32 v9, v10, 23, 1
; %bb.5825:                             ;   in Loop: Header=BB2_5650 Depth=3
	s_or_b32 exec_lo, exec_lo, s14
	v_lshrrev_b32_e32 v10, 21, v10
	s_delay_alu instid0(VALU_DEP_2) | instskip(SKIP_2) | instid1(VALU_DEP_3)
	v_min_i32_e32 v144, 31, v9
	v_cmp_gt_i32_e32 vcc_lo, 32, v9
	v_lshrrev_b32_e32 v8, 24, v8
	v_lshlrev_b32_e32 v144, 2, v144
	v_cndmask_b32_e32 v10, 3, v10, vcc_lo
	s_delay_alu instid0(VALU_DEP_3) | instskip(NEXT) | instid1(VALU_DEP_3)
	v_and_b32_e32 v8, 0x80, v8
	v_and_b32_e32 v144, 0xfc, v144
	s_delay_alu instid0(VALU_DEP_3) | instskip(SKIP_1) | instid1(VALU_DEP_2)
	v_and_b32_e32 v148, 3, v10
	v_or_b32_e32 v9, v9, v10
	v_or3_b32 v8, v8, v144, v148
	s_delay_alu instid0(VALU_DEP_2) | instskip(NEXT) | instid1(VALU_DEP_2)
	v_cmp_ne_u32_e32 vcc_lo, 0, v9
	v_lshlrev_b32_e32 v8, 8, v8
	s_delay_alu instid0(VALU_DEP_1)
	v_cndmask_b32_e32 v151, 0, v8, vcc_lo
.LBB2_5826:                             ;   in Loop: Header=BB2_5650 Depth=3
	s_or_b32 exec_lo, exec_lo, s35
.LBB2_5827:                             ;   in Loop: Header=BB2_5650 Depth=3
	s_delay_alu instid0(SALU_CYCLE_1) | instskip(SKIP_3) | instid1(VALU_DEP_1)
	s_or_b32 exec_lo, exec_lo, s34
	v_lshrrev_b32_e32 v8, 16, v11
	s_mov_b32 s14, 0
	s_mov_b32 s35, exec_lo
                                        ; implicit-def: $sgpr34
	v_and_b32_e32 v10, 0xff, v8
	s_delay_alu instid0(VALU_DEP_1)
	v_cmpx_lt_i16_e32 0x7f, v10
	s_xor_b32 s35, exec_lo, s35
	s_cbranch_execnz .LBB2_6161
; %bb.5828:                             ;   in Loop: Header=BB2_5650 Depth=3
	s_or_saveexec_b32 s35, s35
	v_mov_b32_e32 v9, s34
	s_xor_b32 exec_lo, exec_lo, s35
	s_cbranch_execnz .LBB2_6164
.LBB2_5829:                             ;   in Loop: Header=BB2_5650 Depth=3
	s_or_b32 exec_lo, exec_lo, s35
	s_and_saveexec_b32 s34, s14
	s_cbranch_execz .LBB2_5831
.LBB2_5830:                             ;   in Loop: Header=BB2_5650 Depth=3
	v_bfe_u32 v9, v11, 16, 2
	v_lshlrev_b32_e32 v148, 8, v11
	s_delay_alu instid0(VALU_DEP_2) | instskip(NEXT) | instid1(VALU_DEP_1)
	v_clz_i32_u32_e32 v10, v9
	v_min_u32_e32 v10, 32, v10
	s_delay_alu instid0(VALU_DEP_1) | instskip(SKIP_1) | instid1(VALU_DEP_2)
	v_subrev_nc_u32_e32 v144, 29, v10
	v_sub_nc_u32_e32 v10, 30, v10
	v_lshlrev_b32_e32 v8, v144, v8
	v_bfe_u32 v144, v11, 18, 5
	s_delay_alu instid0(VALU_DEP_2) | instskip(NEXT) | instid1(VALU_DEP_2)
	v_and_b32_e32 v8, 3, v8
	v_cmp_eq_u32_e32 vcc_lo, 0, v144
	v_cndmask_b32_e32 v10, v144, v10, vcc_lo
	s_delay_alu instid0(VALU_DEP_3) | instskip(SKIP_1) | instid1(VALU_DEP_3)
	v_cndmask_b32_e32 v8, v9, v8, vcc_lo
	v_and_b32_e32 v9, 0x80000000, v148
	v_lshl_add_u32 v10, v10, 23, 0x37800000
	s_delay_alu instid0(VALU_DEP_3) | instskip(NEXT) | instid1(VALU_DEP_1)
	v_lshlrev_b32_e32 v8, 21, v8
	v_or3_b32 v9, v9, v10, v8
.LBB2_5831:                             ;   in Loop: Header=BB2_5650 Depth=3
	s_or_b32 exec_lo, exec_lo, s34
	s_delay_alu instid0(VALU_DEP_1) | instskip(SKIP_2) | instid1(VALU_DEP_2)
	v_mul_f32_e32 v8, s31, v9
	v_mov_b32_e32 v144, 0x80
	s_mov_b32 s34, exec_lo
	v_and_b32_e32 v9, 0x7f800000, v8
	s_delay_alu instid0(VALU_DEP_1)
	v_cmpx_ne_u32_e32 0x7f800000, v9
	s_cbranch_execz .LBB2_5839
; %bb.5832:                             ;   in Loop: Header=BB2_5650 Depth=3
	v_mov_b32_e32 v144, 0
	s_mov_b32 s35, exec_lo
	v_cmpx_ne_u32_e32 0, v8
	s_cbranch_execz .LBB2_5838
; %bb.5833:                             ;   in Loop: Header=BB2_5650 Depth=3
	v_bfe_u32 v9, v8, 23, 8
	v_and_b32_e32 v10, 0x7fffff, v8
	s_delay_alu instid0(VALU_DEP_2) | instskip(SKIP_1) | instid1(VALU_DEP_3)
	v_sub_nc_u32_e32 v144, 0x70, v9
	v_cmp_gt_u32_e32 vcc_lo, 0x71, v9
	v_or_b32_e32 v148, 0x800000, v10
	s_delay_alu instid0(VALU_DEP_3) | instskip(SKIP_2) | instid1(VALU_DEP_3)
	v_cndmask_b32_e32 v144, 0, v144, vcc_lo
	v_cmp_eq_u32_e32 vcc_lo, 0, v9
	v_add_nc_u32_e32 v9, 0xffffff91, v9
	v_cndmask_b32_e64 v144, v144, 0x6f, vcc_lo
	v_cndmask_b32_e32 v10, v148, v10, vcc_lo
	s_delay_alu instid0(VALU_DEP_3) | instskip(NEXT) | instid1(VALU_DEP_3)
	v_cndmask_b32_e64 v9, v9, 0xffffff92, vcc_lo
	v_lshl_add_u32 v148, 0x200000, v144, -1
	s_delay_alu instid0(VALU_DEP_3) | instskip(SKIP_1) | instid1(VALU_DEP_4)
	v_lshrrev_b32_e32 v167, v144, v10
	v_lshlrev_b32_e64 v177, v144, 0x100000
	v_add_nc_u32_e32 v144, v144, v9
	s_delay_alu instid0(VALU_DEP_4) | instskip(NEXT) | instid1(VALU_DEP_4)
	v_and_b32_e32 v10, v148, v10
	v_bfe_u32 v176, v167, 21, 1
	s_delay_alu instid0(VALU_DEP_2) | instskip(NEXT) | instid1(VALU_DEP_2)
	v_cmp_eq_u32_e64 s14, v10, v177
	v_add_nc_u32_e32 v148, -1, v176
	s_delay_alu instid0(VALU_DEP_1) | instskip(SKIP_2) | instid1(VALU_DEP_2)
	v_cndmask_b32_e64 v10, 0, v148, s14
	v_lshrrev_b32_e32 v148, 23, v167
	s_mov_b32 s14, exec_lo
	v_add_nc_u32_e32 v10, v10, v167
	s_delay_alu instid0(VALU_DEP_2) | instskip(NEXT) | instid1(VALU_DEP_2)
	v_xor_b32_e32 v148, 1, v148
	v_and_b32_e32 v9, 0x1fffff, v10
	s_delay_alu instid0(VALU_DEP_1) | instskip(NEXT) | instid1(VALU_DEP_3)
	v_add_nc_u32_e32 v10, v9, v167
                                        ; implicit-def: $vgpr9
	v_cmpx_ne_u32_e64 v144, v148
	s_xor_b32 s14, exec_lo, s14
; %bb.5834:                             ;   in Loop: Header=BB2_5650 Depth=3
	s_delay_alu instid0(VALU_DEP_2) | instskip(SKIP_2) | instid1(VALU_DEP_2)
	v_cmp_lt_u32_e32 vcc_lo, 0xffffff, v10
	v_sub_nc_u32_e32 v9, v144, v148
	v_cndmask_b32_e64 v144, 0, 1, vcc_lo
	v_add_co_ci_u32_e32 v9, vcc_lo, 0, v9, vcc_lo
	s_delay_alu instid0(VALU_DEP_2)
	v_lshrrev_b32_e32 v10, v144, v10
; %bb.5835:                             ;   in Loop: Header=BB2_5650 Depth=3
	s_and_not1_saveexec_b32 s14, s14
; %bb.5836:                             ;   in Loop: Header=BB2_5650 Depth=3
	s_delay_alu instid0(VALU_DEP_1)
	v_bfe_u32 v9, v10, 23, 1
; %bb.5837:                             ;   in Loop: Header=BB2_5650 Depth=3
	s_or_b32 exec_lo, exec_lo, s14
	v_lshrrev_b32_e32 v10, 21, v10
	s_delay_alu instid0(VALU_DEP_2) | instskip(SKIP_2) | instid1(VALU_DEP_3)
	v_min_i32_e32 v144, 31, v9
	v_cmp_gt_i32_e32 vcc_lo, 32, v9
	v_lshrrev_b32_e32 v8, 24, v8
	v_lshlrev_b32_e32 v144, 2, v144
	v_cndmask_b32_e32 v10, 3, v10, vcc_lo
	s_delay_alu instid0(VALU_DEP_3) | instskip(NEXT) | instid1(VALU_DEP_3)
	v_and_b32_e32 v8, 0x80, v8
	v_and_b32_e32 v144, 0xfc, v144
	s_delay_alu instid0(VALU_DEP_3) | instskip(SKIP_1) | instid1(VALU_DEP_2)
	v_and_b32_e32 v148, 3, v10
	v_or_b32_e32 v9, v9, v10
	v_or3_b32 v8, v144, v8, v148
	s_delay_alu instid0(VALU_DEP_2) | instskip(NEXT) | instid1(VALU_DEP_2)
	v_cmp_ne_u32_e32 vcc_lo, 0, v9
	v_cndmask_b32_e32 v144, 0, v8, vcc_lo
.LBB2_5838:                             ;   in Loop: Header=BB2_5650 Depth=3
	s_or_b32 exec_lo, exec_lo, s35
.LBB2_5839:                             ;   in Loop: Header=BB2_5650 Depth=3
	s_delay_alu instid0(SALU_CYCLE_1) | instskip(SKIP_3) | instid1(VALU_DEP_1)
	s_or_b32 exec_lo, exec_lo, s34
	v_lshrrev_b32_e32 v8, 24, v11
	s_mov_b32 s14, 0
	s_mov_b32 s35, exec_lo
                                        ; implicit-def: $sgpr34
	v_cmpx_lt_i16_e32 0x7f, v8
	s_xor_b32 s35, exec_lo, s35
	s_cbranch_execnz .LBB2_6165
; %bb.5840:                             ;   in Loop: Header=BB2_5650 Depth=3
	s_or_saveexec_b32 s35, s35
	v_mov_b32_e32 v9, s34
	s_xor_b32 exec_lo, exec_lo, s35
	s_cbranch_execnz .LBB2_6168
.LBB2_5841:                             ;   in Loop: Header=BB2_5650 Depth=3
	s_or_b32 exec_lo, exec_lo, s35
	s_and_saveexec_b32 s34, s14
	s_cbranch_execz .LBB2_5843
.LBB2_5842:                             ;   in Loop: Header=BB2_5650 Depth=3
	v_bfe_u32 v9, v11, 24, 2
	s_delay_alu instid0(VALU_DEP_1) | instskip(NEXT) | instid1(VALU_DEP_1)
	v_clz_i32_u32_e32 v10, v9
	v_min_u32_e32 v10, 32, v10
	s_delay_alu instid0(VALU_DEP_1) | instskip(SKIP_1) | instid1(VALU_DEP_2)
	v_subrev_nc_u32_e32 v148, 29, v10
	v_sub_nc_u32_e32 v10, 30, v10
	v_lshlrev_b32_e32 v8, v148, v8
	v_bfe_u32 v148, v11, 26, 5
	s_delay_alu instid0(VALU_DEP_2) | instskip(NEXT) | instid1(VALU_DEP_2)
	v_and_b32_e32 v8, 3, v8
	v_cmp_eq_u32_e32 vcc_lo, 0, v148
	v_cndmask_b32_e32 v10, v148, v10, vcc_lo
	s_delay_alu instid0(VALU_DEP_3) | instskip(NEXT) | instid1(VALU_DEP_2)
	v_dual_cndmask_b32 v8, v9, v8 :: v_dual_and_b32 v9, 0x80000000, v11
	v_lshl_add_u32 v10, v10, 23, 0x37800000
	s_delay_alu instid0(VALU_DEP_2) | instskip(NEXT) | instid1(VALU_DEP_1)
	v_lshlrev_b32_e32 v8, 21, v8
	v_or3_b32 v9, v9, v10, v8
.LBB2_5843:                             ;   in Loop: Header=BB2_5650 Depth=3
	s_or_b32 exec_lo, exec_lo, s34
	s_delay_alu instid0(VALU_DEP_1) | instskip(SKIP_2) | instid1(VALU_DEP_2)
	v_mul_f32_e32 v8, s31, v9
	v_mov_b32_e32 v148, 0x8000
	s_mov_b32 s31, exec_lo
	v_and_b32_e32 v9, 0x7f800000, v8
	s_delay_alu instid0(VALU_DEP_1)
	v_cmpx_ne_u32_e32 0x7f800000, v9
	s_cbranch_execz .LBB2_5851
; %bb.5844:                             ;   in Loop: Header=BB2_5650 Depth=3
	v_mov_b32_e32 v148, 0
	s_mov_b32 s34, exec_lo
	v_cmpx_ne_u32_e32 0, v8
	s_cbranch_execz .LBB2_5850
; %bb.5845:                             ;   in Loop: Header=BB2_5650 Depth=3
	v_bfe_u32 v9, v8, 23, 8
	s_delay_alu instid0(VALU_DEP_1) | instskip(SKIP_1) | instid1(VALU_DEP_2)
	v_sub_nc_u32_e32 v11, 0x70, v9
	v_cmp_gt_u32_e32 vcc_lo, 0x71, v9
	v_dual_cndmask_b32 v11, 0, v11 :: v_dual_and_b32 v10, 0x7fffff, v8
	s_delay_alu instid0(VALU_DEP_1) | instskip(SKIP_2) | instid1(VALU_DEP_4)
	v_or_b32_e32 v148, 0x800000, v10
	v_cmp_eq_u32_e32 vcc_lo, 0, v9
	v_add_nc_u32_e32 v9, 0xffffff91, v9
	v_cndmask_b32_e64 v11, v11, 0x6f, vcc_lo
	s_delay_alu instid0(VALU_DEP_4) | instskip(NEXT) | instid1(VALU_DEP_3)
	v_cndmask_b32_e32 v10, v148, v10, vcc_lo
	v_cndmask_b32_e64 v9, v9, 0xffffff92, vcc_lo
	s_delay_alu instid0(VALU_DEP_3) | instskip(NEXT) | instid1(VALU_DEP_3)
	v_lshl_add_u32 v148, 0x200000, v11, -1
	v_lshrrev_b32_e32 v167, v11, v10
	v_lshlrev_b32_e64 v177, v11, 0x100000
	s_delay_alu instid0(VALU_DEP_4) | instskip(NEXT) | instid1(VALU_DEP_4)
	v_add_nc_u32_e32 v11, v11, v9
	v_and_b32_e32 v10, v148, v10
	s_delay_alu instid0(VALU_DEP_4) | instskip(NEXT) | instid1(VALU_DEP_2)
	v_bfe_u32 v176, v167, 21, 1
	v_cmp_eq_u32_e64 s14, v10, v177
	s_delay_alu instid0(VALU_DEP_2) | instskip(NEXT) | instid1(VALU_DEP_1)
	v_add_nc_u32_e32 v148, -1, v176
	v_cndmask_b32_e64 v10, 0, v148, s14
	v_lshrrev_b32_e32 v148, 23, v167
	s_mov_b32 s14, exec_lo
	s_delay_alu instid0(VALU_DEP_2) | instskip(NEXT) | instid1(VALU_DEP_2)
	v_add_nc_u32_e32 v10, v10, v167
	v_xor_b32_e32 v148, 1, v148
	s_delay_alu instid0(VALU_DEP_2) | instskip(NEXT) | instid1(VALU_DEP_1)
	v_and_b32_e32 v9, 0x1fffff, v10
	v_add_nc_u32_e32 v10, v9, v167
                                        ; implicit-def: $vgpr9
	s_delay_alu instid0(VALU_DEP_3)
	v_cmpx_ne_u32_e64 v11, v148
	s_xor_b32 s14, exec_lo, s14
; %bb.5846:                             ;   in Loop: Header=BB2_5650 Depth=3
	s_delay_alu instid0(VALU_DEP_2) | instskip(SKIP_2) | instid1(VALU_DEP_2)
	v_cmp_lt_u32_e32 vcc_lo, 0xffffff, v10
	v_sub_nc_u32_e32 v9, v11, v148
	v_cndmask_b32_e64 v11, 0, 1, vcc_lo
	v_add_co_ci_u32_e32 v9, vcc_lo, 0, v9, vcc_lo
	s_delay_alu instid0(VALU_DEP_2)
	v_lshrrev_b32_e32 v10, v11, v10
; %bb.5847:                             ;   in Loop: Header=BB2_5650 Depth=3
	s_and_not1_saveexec_b32 s14, s14
; %bb.5848:                             ;   in Loop: Header=BB2_5650 Depth=3
	s_delay_alu instid0(VALU_DEP_1)
	v_bfe_u32 v9, v10, 23, 1
; %bb.5849:                             ;   in Loop: Header=BB2_5650 Depth=3
	s_or_b32 exec_lo, exec_lo, s14
	v_lshrrev_b32_e32 v10, 21, v10
	s_delay_alu instid0(VALU_DEP_2) | instskip(SKIP_2) | instid1(VALU_DEP_2)
	v_cmp_gt_i32_e32 vcc_lo, 32, v9
	v_min_i32_e32 v11, 31, v9
	v_lshrrev_b32_e32 v8, 24, v8
	v_dual_cndmask_b32 v10, 3, v10 :: v_dual_lshlrev_b32 v11, 2, v11
	s_delay_alu instid0(VALU_DEP_2) | instskip(NEXT) | instid1(VALU_DEP_2)
	v_and_b32_e32 v8, 0x80, v8
	v_or_b32_e32 v9, v9, v10
	v_and_b32_e32 v148, 3, v10
	s_delay_alu instid0(VALU_DEP_2) | instskip(SKIP_1) | instid1(VALU_DEP_1)
	v_cmp_ne_u32_e32 vcc_lo, 0, v9
	v_and_b32_e32 v11, 0xfc, v11
	v_or3_b32 v8, v8, v11, v148
	s_delay_alu instid0(VALU_DEP_1) | instskip(NEXT) | instid1(VALU_DEP_1)
	v_lshlrev_b32_e32 v8, 8, v8
	v_cndmask_b32_e32 v148, 0, v8, vcc_lo
.LBB2_5850:                             ;   in Loop: Header=BB2_5650 Depth=3
	s_or_b32 exec_lo, exec_lo, s34
.LBB2_5851:                             ;   in Loop: Header=BB2_5650 Depth=3
	s_delay_alu instid0(SALU_CYCLE_1) | instskip(SKIP_4) | instid1(VALU_DEP_1)
	s_or_b32 exec_lo, exec_lo, s31
	global_load_b128 v[8:11], v[53:54], off slc dlc
	v_and_b32_e32 v176, 0xff, v135
	s_mov_b32 s14, 0
	s_mov_b32 s34, exec_lo
                                        ; implicit-def: $sgpr31
	v_cmpx_lt_i16_e64 0x7f, v176
	s_xor_b32 s34, exec_lo, s34
	s_cbranch_execnz .LBB2_6169
; %bb.5852:                             ;   in Loop: Header=BB2_5650 Depth=3
	s_or_saveexec_b32 s34, s34
	v_mov_b32_e32 v167, s31
	s_xor_b32 exec_lo, exec_lo, s34
	s_cbranch_execnz .LBB2_6172
.LBB2_5853:                             ;   in Loop: Header=BB2_5650 Depth=3
	s_or_b32 exec_lo, exec_lo, s34
	s_and_saveexec_b32 s31, s14
	s_cbranch_execz .LBB2_5855
.LBB2_5854:                             ;   in Loop: Header=BB2_5650 Depth=3
	v_bfe_u32 v178, v135, 2, 5
	s_delay_alu instid0(VALU_DEP_1) | instskip(SKIP_1) | instid1(VALU_DEP_1)
	v_cmp_eq_u32_e32 vcc_lo, 0, v178
	v_and_b32_e32 v167, 3, v135
	v_clz_i32_u32_e32 v176, v167
	s_delay_alu instid0(VALU_DEP_1) | instskip(NEXT) | instid1(VALU_DEP_1)
	v_min_u32_e32 v176, 32, v176
	v_subrev_nc_u32_e32 v177, 29, v176
	v_sub_nc_u32_e32 v176, 30, v176
	s_delay_alu instid0(VALU_DEP_1) | instskip(SKIP_1) | instid1(VALU_DEP_2)
	v_dual_cndmask_b32 v176, v178, v176 :: v_dual_lshlrev_b32 v177, v177, v135
	v_lshlrev_b32_e32 v135, 24, v135
	v_and_b32_e32 v177, 3, v177
	s_delay_alu instid0(VALU_DEP_3) | instskip(NEXT) | instid1(VALU_DEP_3)
	v_lshl_add_u32 v176, v176, 23, 0x37800000
	v_and_b32_e32 v135, 0x80000000, v135
	s_delay_alu instid0(VALU_DEP_3) | instskip(NEXT) | instid1(VALU_DEP_1)
	v_cndmask_b32_e32 v167, v167, v177, vcc_lo
	v_lshlrev_b32_e32 v167, 21, v167
	s_delay_alu instid0(VALU_DEP_1)
	v_or3_b32 v167, v135, v176, v167
.LBB2_5855:                             ;   in Loop: Header=BB2_5650 Depth=3
	s_or_b32 exec_lo, exec_lo, s31
	s_waitcnt vmcnt(0)
	v_and_b32_e32 v176, 0xff, v8
	s_mov_b32 s14, 0
	s_mov_b32 s34, exec_lo
                                        ; implicit-def: $sgpr31
	s_delay_alu instid0(VALU_DEP_1)
	v_cmpx_lt_i16_e64 0x7f, v176
	s_xor_b32 s34, exec_lo, s34
	s_cbranch_execnz .LBB2_6173
; %bb.5856:                             ;   in Loop: Header=BB2_5650 Depth=3
	s_or_saveexec_b32 s34, s34
	v_mov_b32_e32 v135, s31
	s_xor_b32 exec_lo, exec_lo, s34
	s_cbranch_execnz .LBB2_6176
.LBB2_5857:                             ;   in Loop: Header=BB2_5650 Depth=3
	s_or_b32 exec_lo, exec_lo, s34
	s_and_saveexec_b32 s31, s14
	s_cbranch_execz .LBB2_5859
.LBB2_5858:                             ;   in Loop: Header=BB2_5650 Depth=3
	v_and_b32_e32 v135, 3, v8
	v_bfe_u32 v178, v8, 2, 5
	v_lshlrev_b32_e32 v179, 24, v8
	s_delay_alu instid0(VALU_DEP_3) | instskip(NEXT) | instid1(VALU_DEP_3)
	v_clz_i32_u32_e32 v176, v135
	v_cmp_eq_u32_e32 vcc_lo, 0, v178
	s_delay_alu instid0(VALU_DEP_2) | instskip(NEXT) | instid1(VALU_DEP_1)
	v_min_u32_e32 v176, 32, v176
	v_subrev_nc_u32_e32 v177, 29, v176
	v_sub_nc_u32_e32 v176, 30, v176
	s_delay_alu instid0(VALU_DEP_2) | instskip(NEXT) | instid1(VALU_DEP_1)
	v_lshlrev_b32_e32 v177, v177, v8
	v_dual_cndmask_b32 v176, v178, v176 :: v_dual_and_b32 v177, 3, v177
	s_delay_alu instid0(VALU_DEP_1) | instskip(NEXT) | instid1(VALU_DEP_2)
	v_lshl_add_u32 v176, v176, 23, 0x37800000
	v_cndmask_b32_e32 v135, v135, v177, vcc_lo
	v_and_b32_e32 v177, 0x80000000, v179
	s_delay_alu instid0(VALU_DEP_2) | instskip(NEXT) | instid1(VALU_DEP_1)
	v_lshlrev_b32_e32 v135, 21, v135
	v_or3_b32 v135, v177, v176, v135
.LBB2_5859:                             ;   in Loop: Header=BB2_5650 Depth=3
	s_or_b32 exec_lo, exec_lo, s31
	s_delay_alu instid0(VALU_DEP_1) | instskip(NEXT) | instid1(VALU_DEP_1)
	v_add_f32_e32 v167, v167, v135
	v_and_b32_e32 v135, 0x7f800000, v167
	s_delay_alu instid0(VALU_DEP_1)
	v_cmp_ne_u32_e32 vcc_lo, 0x7f800000, v135
	v_mov_b32_e32 v135, 0x80
	s_and_saveexec_b32 s31, vcc_lo
	s_cbranch_execz .LBB2_5867
; %bb.5860:                             ;   in Loop: Header=BB2_5650 Depth=3
	v_mov_b32_e32 v135, 0
	s_mov_b32 s34, exec_lo
	v_cmpx_ne_u32_e32 0, v167
	s_cbranch_execz .LBB2_5866
; %bb.5861:                             ;   in Loop: Header=BB2_5650 Depth=3
	v_bfe_u32 v135, v167, 23, 8
	s_delay_alu instid0(VALU_DEP_1) | instskip(SKIP_1) | instid1(VALU_DEP_2)
	v_sub_nc_u32_e32 v177, 0x70, v135
	v_cmp_gt_u32_e32 vcc_lo, 0x71, v135
	v_dual_cndmask_b32 v177, 0, v177 :: v_dual_and_b32 v176, 0x7fffff, v167
	s_delay_alu instid0(VALU_DEP_1) | instskip(SKIP_2) | instid1(VALU_DEP_4)
	v_or_b32_e32 v178, 0x800000, v176
	v_cmp_eq_u32_e32 vcc_lo, 0, v135
	v_add_nc_u32_e32 v135, 0xffffff91, v135
	v_cndmask_b32_e64 v177, v177, 0x6f, vcc_lo
	s_delay_alu instid0(VALU_DEP_4) | instskip(NEXT) | instid1(VALU_DEP_3)
	v_cndmask_b32_e32 v176, v178, v176, vcc_lo
	v_cndmask_b32_e64 v135, v135, 0xffffff92, vcc_lo
	s_delay_alu instid0(VALU_DEP_3) | instskip(NEXT) | instid1(VALU_DEP_3)
	v_lshl_add_u32 v178, 0x200000, v177, -1
	v_lshrrev_b32_e32 v179, v177, v176
	v_lshlrev_b32_e64 v181, v177, 0x100000
	s_delay_alu instid0(VALU_DEP_4) | instskip(NEXT) | instid1(VALU_DEP_4)
	v_add_nc_u32_e32 v177, v177, v135
	v_and_b32_e32 v176, v178, v176
	s_delay_alu instid0(VALU_DEP_4) | instskip(NEXT) | instid1(VALU_DEP_2)
	v_bfe_u32 v180, v179, 21, 1
	v_cmp_eq_u32_e64 s14, v176, v181
	s_delay_alu instid0(VALU_DEP_2) | instskip(NEXT) | instid1(VALU_DEP_1)
	v_add_nc_u32_e32 v178, -1, v180
	v_cndmask_b32_e64 v176, 0, v178, s14
	v_lshrrev_b32_e32 v178, 23, v179
	s_mov_b32 s14, exec_lo
	s_delay_alu instid0(VALU_DEP_2) | instskip(NEXT) | instid1(VALU_DEP_2)
	v_add_nc_u32_e32 v176, v176, v179
	v_xor_b32_e32 v178, 1, v178
	s_delay_alu instid0(VALU_DEP_2) | instskip(NEXT) | instid1(VALU_DEP_1)
	v_and_b32_e32 v135, 0x1fffff, v176
	v_add_nc_u32_e32 v176, v135, v179
                                        ; implicit-def: $vgpr135
	s_delay_alu instid0(VALU_DEP_3)
	v_cmpx_ne_u32_e64 v177, v178
	s_xor_b32 s14, exec_lo, s14
; %bb.5862:                             ;   in Loop: Header=BB2_5650 Depth=3
	s_delay_alu instid0(VALU_DEP_2) | instskip(SKIP_2) | instid1(VALU_DEP_2)
	v_cmp_lt_u32_e32 vcc_lo, 0xffffff, v176
	v_sub_nc_u32_e32 v135, v177, v178
	v_cndmask_b32_e64 v177, 0, 1, vcc_lo
	v_add_co_ci_u32_e32 v135, vcc_lo, 0, v135, vcc_lo
	s_delay_alu instid0(VALU_DEP_2)
	v_lshrrev_b32_e32 v176, v177, v176
; %bb.5863:                             ;   in Loop: Header=BB2_5650 Depth=3
	s_and_not1_saveexec_b32 s14, s14
; %bb.5864:                             ;   in Loop: Header=BB2_5650 Depth=3
	s_delay_alu instid0(VALU_DEP_1)
	v_bfe_u32 v135, v176, 23, 1
; %bb.5865:                             ;   in Loop: Header=BB2_5650 Depth=3
	s_or_b32 exec_lo, exec_lo, s14
	v_lshrrev_b32_e32 v176, 21, v176
	s_delay_alu instid0(VALU_DEP_2) | instskip(SKIP_2) | instid1(VALU_DEP_2)
	v_cmp_gt_i32_e32 vcc_lo, 32, v135
	v_lshrrev_b32_e32 v167, 24, v167
	v_min_i32_e32 v177, 31, v135
	v_dual_cndmask_b32 v176, 3, v176 :: v_dual_and_b32 v167, 0x80, v167
	s_delay_alu instid0(VALU_DEP_2) | instskip(NEXT) | instid1(VALU_DEP_2)
	v_lshlrev_b32_e32 v177, 2, v177
	v_or_b32_e32 v135, v135, v176
	s_delay_alu instid0(VALU_DEP_1) | instskip(SKIP_1) | instid1(VALU_DEP_1)
	v_cmp_ne_u32_e32 vcc_lo, 0, v135
	v_and_b32_e32 v178, 3, v176
	v_or3_b32 v167, v177, v167, v178
	s_delay_alu instid0(VALU_DEP_1)
	v_cndmask_b32_e32 v135, 0, v167, vcc_lo
.LBB2_5866:                             ;   in Loop: Header=BB2_5650 Depth=3
	s_or_b32 exec_lo, exec_lo, s34
.LBB2_5867:                             ;   in Loop: Header=BB2_5650 Depth=3
	s_delay_alu instid0(SALU_CYCLE_1) | instskip(SKIP_3) | instid1(VALU_DEP_1)
	s_or_b32 exec_lo, exec_lo, s31
	v_and_b32_e32 v176, 0xff, v147
	s_mov_b32 s14, 0
	s_mov_b32 s34, exec_lo
                                        ; implicit-def: $sgpr31
	v_cmpx_lt_i16_e64 0x7f, v176
	s_xor_b32 s34, exec_lo, s34
	s_cbranch_execnz .LBB2_6177
; %bb.5868:                             ;   in Loop: Header=BB2_5650 Depth=3
	s_or_saveexec_b32 s34, s34
	v_mov_b32_e32 v167, s31
	s_xor_b32 exec_lo, exec_lo, s34
	s_cbranch_execnz .LBB2_6180
.LBB2_5869:                             ;   in Loop: Header=BB2_5650 Depth=3
	s_or_b32 exec_lo, exec_lo, s34
	s_and_saveexec_b32 s31, s14
	s_cbranch_execz .LBB2_5871
.LBB2_5870:                             ;   in Loop: Header=BB2_5650 Depth=3
	v_bfe_u32 v178, v147, 2, 5
	s_delay_alu instid0(VALU_DEP_1) | instskip(SKIP_1) | instid1(VALU_DEP_1)
	v_cmp_eq_u32_e32 vcc_lo, 0, v178
	v_and_b32_e32 v167, 3, v147
	v_clz_i32_u32_e32 v176, v167
	s_delay_alu instid0(VALU_DEP_1) | instskip(NEXT) | instid1(VALU_DEP_1)
	v_min_u32_e32 v176, 32, v176
	v_subrev_nc_u32_e32 v177, 29, v176
	v_sub_nc_u32_e32 v176, 30, v176
	s_delay_alu instid0(VALU_DEP_1) | instskip(SKIP_1) | instid1(VALU_DEP_2)
	v_dual_cndmask_b32 v176, v178, v176 :: v_dual_lshlrev_b32 v177, v177, v147
	v_lshlrev_b32_e32 v147, 24, v147
	v_and_b32_e32 v177, 3, v177
	s_delay_alu instid0(VALU_DEP_3) | instskip(NEXT) | instid1(VALU_DEP_3)
	v_lshl_add_u32 v176, v176, 23, 0x37800000
	v_and_b32_e32 v147, 0x80000000, v147
	s_delay_alu instid0(VALU_DEP_3) | instskip(NEXT) | instid1(VALU_DEP_1)
	v_cndmask_b32_e32 v167, v167, v177, vcc_lo
	v_lshlrev_b32_e32 v167, 21, v167
	s_delay_alu instid0(VALU_DEP_1)
	v_or3_b32 v167, v147, v176, v167
.LBB2_5871:                             ;   in Loop: Header=BB2_5650 Depth=3
	s_or_b32 exec_lo, exec_lo, s31
	v_lshrrev_b16 v147, 8, v8
	s_mov_b32 s14, 0
	s_mov_b32 s34, exec_lo
                                        ; implicit-def: $sgpr31
	s_delay_alu instid0(VALU_DEP_1)
	v_cmpx_lt_i16_e64 0x7f, v147
	s_xor_b32 s34, exec_lo, s34
	s_cbranch_execnz .LBB2_6181
; %bb.5872:                             ;   in Loop: Header=BB2_5650 Depth=3
	s_or_saveexec_b32 s34, s34
	v_mov_b32_e32 v176, s31
	s_xor_b32 exec_lo, exec_lo, s34
	s_cbranch_execnz .LBB2_6184
.LBB2_5873:                             ;   in Loop: Header=BB2_5650 Depth=3
	s_or_b32 exec_lo, exec_lo, s34
	s_and_saveexec_b32 s31, s14
	s_cbranch_execz .LBB2_5875
.LBB2_5874:                             ;   in Loop: Header=BB2_5650 Depth=3
	v_and_b32_e32 v176, 0xffff, v147
	v_lshlrev_b32_e32 v147, 24, v147
	s_delay_alu instid0(VALU_DEP_2) | instskip(NEXT) | instid1(VALU_DEP_2)
	v_and_b32_e32 v177, 3, v176
	v_and_b32_e32 v147, 0x80000000, v147
	s_delay_alu instid0(VALU_DEP_2) | instskip(NEXT) | instid1(VALU_DEP_1)
	v_clz_i32_u32_e32 v178, v177
	v_min_u32_e32 v178, 32, v178
	s_delay_alu instid0(VALU_DEP_1) | instskip(SKIP_1) | instid1(VALU_DEP_2)
	v_subrev_nc_u32_e32 v179, 29, v178
	v_sub_nc_u32_e32 v178, 30, v178
	v_lshlrev_b32_e32 v179, v179, v176
	v_bfe_u32 v176, v176, 2, 5
	s_delay_alu instid0(VALU_DEP_2) | instskip(NEXT) | instid1(VALU_DEP_2)
	v_and_b32_e32 v179, 3, v179
	v_cmp_eq_u32_e32 vcc_lo, 0, v176
	s_delay_alu instid0(VALU_DEP_2) | instskip(NEXT) | instid1(VALU_DEP_1)
	v_dual_cndmask_b32 v176, v176, v178 :: v_dual_cndmask_b32 v177, v177, v179
	v_lshl_add_u32 v176, v176, 23, 0x37800000
	s_delay_alu instid0(VALU_DEP_2) | instskip(NEXT) | instid1(VALU_DEP_1)
	v_lshlrev_b32_e32 v177, 21, v177
	v_or3_b32 v176, v147, v176, v177
.LBB2_5875:                             ;   in Loop: Header=BB2_5650 Depth=3
	s_or_b32 exec_lo, exec_lo, s31
	s_delay_alu instid0(VALU_DEP_1) | instskip(NEXT) | instid1(VALU_DEP_1)
	v_add_f32_e32 v167, v167, v176
	v_and_b32_e32 v147, 0x7f800000, v167
	s_delay_alu instid0(VALU_DEP_1)
	v_cmp_ne_u32_e32 vcc_lo, 0x7f800000, v147
	v_mov_b32_e32 v147, 0x80
	s_and_saveexec_b32 s31, vcc_lo
	s_cbranch_execz .LBB2_5883
; %bb.5876:                             ;   in Loop: Header=BB2_5650 Depth=3
	v_mov_b32_e32 v147, 0
	s_mov_b32 s34, exec_lo
	v_cmpx_ne_u32_e32 0, v167
	s_cbranch_execz .LBB2_5882
; %bb.5877:                             ;   in Loop: Header=BB2_5650 Depth=3
	v_bfe_u32 v147, v167, 23, 8
	s_delay_alu instid0(VALU_DEP_1) | instskip(SKIP_1) | instid1(VALU_DEP_2)
	v_sub_nc_u32_e32 v177, 0x70, v147
	v_cmp_gt_u32_e32 vcc_lo, 0x71, v147
	v_dual_cndmask_b32 v177, 0, v177 :: v_dual_and_b32 v176, 0x7fffff, v167
	s_delay_alu instid0(VALU_DEP_1) | instskip(SKIP_2) | instid1(VALU_DEP_4)
	v_or_b32_e32 v178, 0x800000, v176
	v_cmp_eq_u32_e32 vcc_lo, 0, v147
	v_add_nc_u32_e32 v147, 0xffffff91, v147
	v_cndmask_b32_e64 v177, v177, 0x6f, vcc_lo
	s_delay_alu instid0(VALU_DEP_4) | instskip(NEXT) | instid1(VALU_DEP_3)
	v_cndmask_b32_e32 v176, v178, v176, vcc_lo
	v_cndmask_b32_e64 v147, v147, 0xffffff92, vcc_lo
	s_delay_alu instid0(VALU_DEP_3) | instskip(NEXT) | instid1(VALU_DEP_3)
	v_lshl_add_u32 v178, 0x200000, v177, -1
	v_lshrrev_b32_e32 v179, v177, v176
	v_lshlrev_b32_e64 v181, v177, 0x100000
	s_delay_alu instid0(VALU_DEP_4) | instskip(NEXT) | instid1(VALU_DEP_4)
	v_add_nc_u32_e32 v177, v177, v147
	v_and_b32_e32 v176, v178, v176
	s_delay_alu instid0(VALU_DEP_4) | instskip(NEXT) | instid1(VALU_DEP_2)
	v_bfe_u32 v180, v179, 21, 1
	v_cmp_eq_u32_e64 s14, v176, v181
	s_delay_alu instid0(VALU_DEP_2) | instskip(NEXT) | instid1(VALU_DEP_1)
	v_add_nc_u32_e32 v178, -1, v180
	v_cndmask_b32_e64 v176, 0, v178, s14
	v_lshrrev_b32_e32 v178, 23, v179
	s_mov_b32 s14, exec_lo
	s_delay_alu instid0(VALU_DEP_2) | instskip(NEXT) | instid1(VALU_DEP_2)
	v_add_nc_u32_e32 v176, v176, v179
	v_xor_b32_e32 v178, 1, v178
	s_delay_alu instid0(VALU_DEP_2) | instskip(NEXT) | instid1(VALU_DEP_1)
	v_and_b32_e32 v147, 0x1fffff, v176
	v_add_nc_u32_e32 v176, v147, v179
                                        ; implicit-def: $vgpr147
	s_delay_alu instid0(VALU_DEP_3)
	v_cmpx_ne_u32_e64 v177, v178
	s_xor_b32 s14, exec_lo, s14
; %bb.5878:                             ;   in Loop: Header=BB2_5650 Depth=3
	s_delay_alu instid0(VALU_DEP_2) | instskip(SKIP_2) | instid1(VALU_DEP_2)
	v_cmp_lt_u32_e32 vcc_lo, 0xffffff, v176
	v_sub_nc_u32_e32 v147, v177, v178
	v_cndmask_b32_e64 v177, 0, 1, vcc_lo
	v_add_co_ci_u32_e32 v147, vcc_lo, 0, v147, vcc_lo
	s_delay_alu instid0(VALU_DEP_2)
	v_lshrrev_b32_e32 v176, v177, v176
; %bb.5879:                             ;   in Loop: Header=BB2_5650 Depth=3
	s_and_not1_saveexec_b32 s14, s14
; %bb.5880:                             ;   in Loop: Header=BB2_5650 Depth=3
	s_delay_alu instid0(VALU_DEP_1)
	v_bfe_u32 v147, v176, 23, 1
; %bb.5881:                             ;   in Loop: Header=BB2_5650 Depth=3
	s_or_b32 exec_lo, exec_lo, s14
	v_lshrrev_b32_e32 v176, 21, v176
	s_delay_alu instid0(VALU_DEP_2) | instskip(SKIP_2) | instid1(VALU_DEP_2)
	v_cmp_gt_i32_e32 vcc_lo, 32, v147
	v_lshrrev_b32_e32 v167, 24, v167
	v_min_i32_e32 v177, 31, v147
	v_dual_cndmask_b32 v176, 3, v176 :: v_dual_and_b32 v167, 0x80, v167
	s_delay_alu instid0(VALU_DEP_2) | instskip(NEXT) | instid1(VALU_DEP_2)
	v_lshlrev_b32_e32 v177, 2, v177
	v_or_b32_e32 v147, v147, v176
	s_delay_alu instid0(VALU_DEP_1) | instskip(SKIP_1) | instid1(VALU_DEP_1)
	v_cmp_ne_u32_e32 vcc_lo, 0, v147
	v_and_b32_e32 v178, 3, v176
	v_or3_b32 v167, v177, v167, v178
	s_delay_alu instid0(VALU_DEP_1)
	v_cndmask_b32_e32 v147, 0, v167, vcc_lo
.LBB2_5882:                             ;   in Loop: Header=BB2_5650 Depth=3
	s_or_b32 exec_lo, exec_lo, s34
.LBB2_5883:                             ;   in Loop: Header=BB2_5650 Depth=3
	s_delay_alu instid0(SALU_CYCLE_1) | instskip(SKIP_3) | instid1(VALU_DEP_1)
	s_or_b32 exec_lo, exec_lo, s31
	v_and_b32_e32 v176, 0xff, v161
	s_mov_b32 s14, 0
	s_mov_b32 s34, exec_lo
                                        ; implicit-def: $sgpr31
	v_cmpx_lt_i16_e64 0x7f, v176
	s_xor_b32 s34, exec_lo, s34
	s_cbranch_execnz .LBB2_6185
; %bb.5884:                             ;   in Loop: Header=BB2_5650 Depth=3
	s_or_saveexec_b32 s34, s34
	v_mov_b32_e32 v167, s31
	s_xor_b32 exec_lo, exec_lo, s34
	s_cbranch_execnz .LBB2_6188
.LBB2_5885:                             ;   in Loop: Header=BB2_5650 Depth=3
	s_or_b32 exec_lo, exec_lo, s34
	s_and_saveexec_b32 s31, s14
	s_cbranch_execz .LBB2_5887
.LBB2_5886:                             ;   in Loop: Header=BB2_5650 Depth=3
	v_bfe_u32 v178, v161, 2, 5
	s_delay_alu instid0(VALU_DEP_1) | instskip(SKIP_1) | instid1(VALU_DEP_1)
	v_cmp_eq_u32_e32 vcc_lo, 0, v178
	v_and_b32_e32 v167, 3, v161
	v_clz_i32_u32_e32 v176, v167
	s_delay_alu instid0(VALU_DEP_1) | instskip(NEXT) | instid1(VALU_DEP_1)
	v_min_u32_e32 v176, 32, v176
	v_subrev_nc_u32_e32 v177, 29, v176
	v_sub_nc_u32_e32 v176, 30, v176
	s_delay_alu instid0(VALU_DEP_1) | instskip(SKIP_1) | instid1(VALU_DEP_2)
	v_dual_cndmask_b32 v176, v178, v176 :: v_dual_lshlrev_b32 v177, v177, v161
	v_lshlrev_b32_e32 v161, 24, v161
	v_and_b32_e32 v177, 3, v177
	s_delay_alu instid0(VALU_DEP_3) | instskip(NEXT) | instid1(VALU_DEP_3)
	v_lshl_add_u32 v176, v176, 23, 0x37800000
	v_and_b32_e32 v161, 0x80000000, v161
	s_delay_alu instid0(VALU_DEP_3) | instskip(NEXT) | instid1(VALU_DEP_1)
	v_cndmask_b32_e32 v167, v167, v177, vcc_lo
	v_lshlrev_b32_e32 v167, 21, v167
	s_delay_alu instid0(VALU_DEP_1)
	v_or3_b32 v167, v161, v176, v167
.LBB2_5887:                             ;   in Loop: Header=BB2_5650 Depth=3
	s_or_b32 exec_lo, exec_lo, s31
	v_lshrrev_b32_e32 v161, 16, v8
	s_mov_b32 s14, 0
	s_mov_b32 s34, exec_lo
                                        ; implicit-def: $sgpr31
	s_delay_alu instid0(VALU_DEP_1) | instskip(NEXT) | instid1(VALU_DEP_1)
	v_and_b32_e32 v177, 0xff, v161
	v_cmpx_lt_i16_e64 0x7f, v177
	s_xor_b32 s34, exec_lo, s34
	s_cbranch_execnz .LBB2_6189
; %bb.5888:                             ;   in Loop: Header=BB2_5650 Depth=3
	s_or_saveexec_b32 s34, s34
	v_mov_b32_e32 v176, s31
	s_xor_b32 exec_lo, exec_lo, s34
	s_cbranch_execnz .LBB2_6192
.LBB2_5889:                             ;   in Loop: Header=BB2_5650 Depth=3
	s_or_b32 exec_lo, exec_lo, s34
	s_and_saveexec_b32 s31, s14
	s_cbranch_execz .LBB2_5891
.LBB2_5890:                             ;   in Loop: Header=BB2_5650 Depth=3
	v_bfe_u32 v176, v8, 16, 2
	v_lshlrev_b32_e32 v179, 8, v8
	s_delay_alu instid0(VALU_DEP_2) | instskip(NEXT) | instid1(VALU_DEP_1)
	v_clz_i32_u32_e32 v177, v176
	v_min_u32_e32 v177, 32, v177
	s_delay_alu instid0(VALU_DEP_1) | instskip(SKIP_1) | instid1(VALU_DEP_2)
	v_subrev_nc_u32_e32 v178, 29, v177
	v_sub_nc_u32_e32 v177, 30, v177
	v_lshlrev_b32_e32 v161, v178, v161
	v_bfe_u32 v178, v8, 18, 5
	s_delay_alu instid0(VALU_DEP_2) | instskip(NEXT) | instid1(VALU_DEP_2)
	v_and_b32_e32 v161, 3, v161
	v_cmp_eq_u32_e32 vcc_lo, 0, v178
	v_cndmask_b32_e32 v177, v178, v177, vcc_lo
	s_delay_alu instid0(VALU_DEP_3) | instskip(NEXT) | instid1(VALU_DEP_2)
	v_dual_cndmask_b32 v161, v176, v161 :: v_dual_and_b32 v176, 0x80000000, v179
	v_lshl_add_u32 v177, v177, 23, 0x37800000
	s_delay_alu instid0(VALU_DEP_2) | instskip(NEXT) | instid1(VALU_DEP_1)
	v_lshlrev_b32_e32 v161, 21, v161
	v_or3_b32 v176, v176, v177, v161
.LBB2_5891:                             ;   in Loop: Header=BB2_5650 Depth=3
	s_or_b32 exec_lo, exec_lo, s31
	s_delay_alu instid0(VALU_DEP_1) | instskip(NEXT) | instid1(VALU_DEP_1)
	v_add_f32_e32 v167, v167, v176
	v_and_b32_e32 v161, 0x7f800000, v167
	s_delay_alu instid0(VALU_DEP_1)
	v_cmp_ne_u32_e32 vcc_lo, 0x7f800000, v161
	v_mov_b32_e32 v161, 0x80
	s_and_saveexec_b32 s31, vcc_lo
	s_cbranch_execz .LBB2_5899
; %bb.5892:                             ;   in Loop: Header=BB2_5650 Depth=3
	v_mov_b32_e32 v161, 0
	s_mov_b32 s34, exec_lo
	v_cmpx_ne_u32_e32 0, v167
	s_cbranch_execz .LBB2_5898
; %bb.5893:                             ;   in Loop: Header=BB2_5650 Depth=3
	v_bfe_u32 v161, v167, 23, 8
	s_delay_alu instid0(VALU_DEP_1) | instskip(SKIP_1) | instid1(VALU_DEP_2)
	v_sub_nc_u32_e32 v177, 0x70, v161
	v_cmp_gt_u32_e32 vcc_lo, 0x71, v161
	v_dual_cndmask_b32 v177, 0, v177 :: v_dual_and_b32 v176, 0x7fffff, v167
	s_delay_alu instid0(VALU_DEP_1) | instskip(SKIP_2) | instid1(VALU_DEP_4)
	v_or_b32_e32 v178, 0x800000, v176
	v_cmp_eq_u32_e32 vcc_lo, 0, v161
	v_add_nc_u32_e32 v161, 0xffffff91, v161
	v_cndmask_b32_e64 v177, v177, 0x6f, vcc_lo
	s_delay_alu instid0(VALU_DEP_4) | instskip(NEXT) | instid1(VALU_DEP_3)
	v_cndmask_b32_e32 v176, v178, v176, vcc_lo
	v_cndmask_b32_e64 v161, v161, 0xffffff92, vcc_lo
	s_delay_alu instid0(VALU_DEP_3) | instskip(NEXT) | instid1(VALU_DEP_3)
	v_lshl_add_u32 v178, 0x200000, v177, -1
	v_lshrrev_b32_e32 v179, v177, v176
	v_lshlrev_b32_e64 v181, v177, 0x100000
	s_delay_alu instid0(VALU_DEP_4) | instskip(NEXT) | instid1(VALU_DEP_4)
	v_add_nc_u32_e32 v177, v177, v161
	v_and_b32_e32 v176, v178, v176
	s_delay_alu instid0(VALU_DEP_4) | instskip(NEXT) | instid1(VALU_DEP_2)
	v_bfe_u32 v180, v179, 21, 1
	v_cmp_eq_u32_e64 s14, v176, v181
	s_delay_alu instid0(VALU_DEP_2) | instskip(NEXT) | instid1(VALU_DEP_1)
	v_add_nc_u32_e32 v178, -1, v180
	v_cndmask_b32_e64 v176, 0, v178, s14
	v_lshrrev_b32_e32 v178, 23, v179
	s_mov_b32 s14, exec_lo
	s_delay_alu instid0(VALU_DEP_2) | instskip(NEXT) | instid1(VALU_DEP_2)
	v_add_nc_u32_e32 v176, v176, v179
	v_xor_b32_e32 v178, 1, v178
	s_delay_alu instid0(VALU_DEP_2) | instskip(NEXT) | instid1(VALU_DEP_1)
	v_and_b32_e32 v161, 0x1fffff, v176
	v_add_nc_u32_e32 v176, v161, v179
                                        ; implicit-def: $vgpr161
	s_delay_alu instid0(VALU_DEP_3)
	v_cmpx_ne_u32_e64 v177, v178
	s_xor_b32 s14, exec_lo, s14
; %bb.5894:                             ;   in Loop: Header=BB2_5650 Depth=3
	s_delay_alu instid0(VALU_DEP_2) | instskip(SKIP_2) | instid1(VALU_DEP_2)
	v_cmp_lt_u32_e32 vcc_lo, 0xffffff, v176
	v_sub_nc_u32_e32 v161, v177, v178
	v_cndmask_b32_e64 v177, 0, 1, vcc_lo
	v_add_co_ci_u32_e32 v161, vcc_lo, 0, v161, vcc_lo
	s_delay_alu instid0(VALU_DEP_2)
	v_lshrrev_b32_e32 v176, v177, v176
; %bb.5895:                             ;   in Loop: Header=BB2_5650 Depth=3
	s_and_not1_saveexec_b32 s14, s14
; %bb.5896:                             ;   in Loop: Header=BB2_5650 Depth=3
	s_delay_alu instid0(VALU_DEP_1)
	v_bfe_u32 v161, v176, 23, 1
; %bb.5897:                             ;   in Loop: Header=BB2_5650 Depth=3
	s_or_b32 exec_lo, exec_lo, s14
	v_lshrrev_b32_e32 v176, 21, v176
	s_delay_alu instid0(VALU_DEP_2) | instskip(SKIP_2) | instid1(VALU_DEP_2)
	v_cmp_gt_i32_e32 vcc_lo, 32, v161
	v_lshrrev_b32_e32 v167, 24, v167
	v_min_i32_e32 v177, 31, v161
	v_dual_cndmask_b32 v176, 3, v176 :: v_dual_and_b32 v167, 0x80, v167
	s_delay_alu instid0(VALU_DEP_2) | instskip(NEXT) | instid1(VALU_DEP_2)
	v_lshlrev_b32_e32 v177, 2, v177
	v_or_b32_e32 v161, v161, v176
	s_delay_alu instid0(VALU_DEP_1) | instskip(SKIP_1) | instid1(VALU_DEP_1)
	v_cmp_ne_u32_e32 vcc_lo, 0, v161
	v_and_b32_e32 v178, 3, v176
	v_or3_b32 v167, v177, v167, v178
	s_delay_alu instid0(VALU_DEP_1)
	v_cndmask_b32_e32 v161, 0, v167, vcc_lo
.LBB2_5898:                             ;   in Loop: Header=BB2_5650 Depth=3
	s_or_b32 exec_lo, exec_lo, s34
.LBB2_5899:                             ;   in Loop: Header=BB2_5650 Depth=3
	s_delay_alu instid0(SALU_CYCLE_1) | instskip(SKIP_3) | instid1(VALU_DEP_1)
	s_or_b32 exec_lo, exec_lo, s31
	v_and_b32_e32 v176, 0xff, v164
	s_mov_b32 s14, 0
	s_mov_b32 s34, exec_lo
                                        ; implicit-def: $sgpr31
	v_cmpx_lt_i16_e64 0x7f, v176
	s_xor_b32 s34, exec_lo, s34
	s_cbranch_execnz .LBB2_6193
; %bb.5900:                             ;   in Loop: Header=BB2_5650 Depth=3
	s_or_saveexec_b32 s34, s34
	v_mov_b32_e32 v167, s31
	s_xor_b32 exec_lo, exec_lo, s34
	s_cbranch_execnz .LBB2_6196
.LBB2_5901:                             ;   in Loop: Header=BB2_5650 Depth=3
	s_or_b32 exec_lo, exec_lo, s34
	s_and_saveexec_b32 s31, s14
	s_cbranch_execz .LBB2_5903
.LBB2_5902:                             ;   in Loop: Header=BB2_5650 Depth=3
	v_lshlrev_b32_e32 v164, 8, v164
	s_delay_alu instid0(VALU_DEP_1) | instskip(SKIP_1) | instid1(VALU_DEP_2)
	v_and_b32_e32 v167, 0xff00, v164
	v_bfe_u32 v164, v164, 10, 5
	v_bfe_u32 v177, v167, 8, 2
	s_delay_alu instid0(VALU_DEP_2) | instskip(NEXT) | instid1(VALU_DEP_2)
	v_cmp_eq_u32_e32 vcc_lo, 0, v164
	v_clz_i32_u32_e32 v178, v177
	s_delay_alu instid0(VALU_DEP_1) | instskip(NEXT) | instid1(VALU_DEP_1)
	v_min_u32_e32 v178, 32, v178
	v_subrev_nc_u32_e32 v179, 29, v178
	v_sub_nc_u32_e32 v178, 30, v178
	s_delay_alu instid0(VALU_DEP_2) | instskip(NEXT) | instid1(VALU_DEP_2)
	v_lshlrev_b32_e32 v176, v179, v176
	v_cndmask_b32_e32 v164, v164, v178, vcc_lo
	s_delay_alu instid0(VALU_DEP_2) | instskip(SKIP_1) | instid1(VALU_DEP_3)
	v_and_b32_e32 v176, 3, v176
	v_lshlrev_b32_e32 v167, 16, v167
	v_lshl_add_u32 v164, v164, 23, 0x37800000
	s_delay_alu instid0(VALU_DEP_2) | instskip(NEXT) | instid1(VALU_DEP_1)
	v_dual_cndmask_b32 v176, v177, v176 :: v_dual_and_b32 v167, 0x80000000, v167
	v_lshlrev_b32_e32 v176, 21, v176
	s_delay_alu instid0(VALU_DEP_1)
	v_or3_b32 v167, v167, v164, v176
.LBB2_5903:                             ;   in Loop: Header=BB2_5650 Depth=3
	s_or_b32 exec_lo, exec_lo, s31
	v_lshrrev_b32_e32 v164, 24, v8
	s_mov_b32 s14, 0
	s_mov_b32 s34, exec_lo
                                        ; implicit-def: $sgpr31
	s_delay_alu instid0(VALU_DEP_1)
	v_cmpx_lt_i16_e64 0x7f, v164
	s_xor_b32 s34, exec_lo, s34
	s_cbranch_execnz .LBB2_6197
; %bb.5904:                             ;   in Loop: Header=BB2_5650 Depth=3
	s_or_saveexec_b32 s34, s34
	v_mov_b32_e32 v176, s31
	s_xor_b32 exec_lo, exec_lo, s34
	s_cbranch_execnz .LBB2_6200
.LBB2_5905:                             ;   in Loop: Header=BB2_5650 Depth=3
	s_or_b32 exec_lo, exec_lo, s34
	s_and_saveexec_b32 s31, s14
	s_cbranch_execz .LBB2_5907
.LBB2_5906:                             ;   in Loop: Header=BB2_5650 Depth=3
	v_bfe_u32 v176, v8, 24, 2
	s_delay_alu instid0(VALU_DEP_1) | instskip(NEXT) | instid1(VALU_DEP_1)
	v_clz_i32_u32_e32 v177, v176
	v_min_u32_e32 v177, 32, v177
	s_delay_alu instid0(VALU_DEP_1) | instskip(SKIP_1) | instid1(VALU_DEP_2)
	v_subrev_nc_u32_e32 v178, 29, v177
	v_sub_nc_u32_e32 v177, 30, v177
	v_lshlrev_b32_e32 v164, v178, v164
	v_bfe_u32 v178, v8, 26, 5
	v_and_b32_e32 v8, 0x80000000, v8
	s_delay_alu instid0(VALU_DEP_2) | instskip(NEXT) | instid1(VALU_DEP_4)
	v_cmp_eq_u32_e32 vcc_lo, 0, v178
	v_dual_cndmask_b32 v177, v178, v177 :: v_dual_and_b32 v164, 3, v164
	s_delay_alu instid0(VALU_DEP_1) | instskip(NEXT) | instid1(VALU_DEP_2)
	v_cndmask_b32_e32 v164, v176, v164, vcc_lo
	v_lshl_add_u32 v176, v177, 23, 0x37800000
	s_delay_alu instid0(VALU_DEP_2) | instskip(NEXT) | instid1(VALU_DEP_1)
	v_lshlrev_b32_e32 v164, 21, v164
	v_or3_b32 v176, v8, v176, v164
.LBB2_5907:                             ;   in Loop: Header=BB2_5650 Depth=3
	s_or_b32 exec_lo, exec_lo, s31
	s_delay_alu instid0(VALU_DEP_1) | instskip(NEXT) | instid1(VALU_DEP_1)
	v_add_f32_e32 v164, v167, v176
	v_and_b32_e32 v8, 0x7f800000, v164
	s_delay_alu instid0(VALU_DEP_1)
	v_cmp_ne_u32_e32 vcc_lo, 0x7f800000, v8
	v_mov_b32_e32 v8, 0x80
	s_and_saveexec_b32 s31, vcc_lo
	s_cbranch_execz .LBB2_5915
; %bb.5908:                             ;   in Loop: Header=BB2_5650 Depth=3
	v_mov_b32_e32 v8, 0
	s_mov_b32 s34, exec_lo
	v_cmpx_ne_u32_e32 0, v164
	s_cbranch_execz .LBB2_5914
; %bb.5909:                             ;   in Loop: Header=BB2_5650 Depth=3
	v_bfe_u32 v8, v164, 23, 8
	v_and_b32_e32 v167, 0x7fffff, v164
	s_delay_alu instid0(VALU_DEP_2) | instskip(SKIP_1) | instid1(VALU_DEP_3)
	v_sub_nc_u32_e32 v176, 0x70, v8
	v_cmp_gt_u32_e32 vcc_lo, 0x71, v8
	v_or_b32_e32 v177, 0x800000, v167
	s_delay_alu instid0(VALU_DEP_3) | instskip(SKIP_1) | instid1(VALU_DEP_3)
	v_cndmask_b32_e32 v176, 0, v176, vcc_lo
	v_cmp_eq_u32_e32 vcc_lo, 0, v8
	v_dual_cndmask_b32 v167, v177, v167 :: v_dual_add_nc_u32 v8, 0xffffff91, v8
	s_delay_alu instid0(VALU_DEP_3) | instskip(NEXT) | instid1(VALU_DEP_2)
	v_cndmask_b32_e64 v176, v176, 0x6f, vcc_lo
	v_cndmask_b32_e64 v8, v8, 0xffffff92, vcc_lo
	s_delay_alu instid0(VALU_DEP_2) | instskip(SKIP_2) | instid1(VALU_DEP_4)
	v_lshrrev_b32_e32 v178, v176, v167
	v_lshl_add_u32 v177, 0x200000, v176, -1
	v_lshlrev_b32_e64 v180, v176, 0x100000
	v_add_nc_u32_e32 v176, v176, v8
	s_delay_alu instid0(VALU_DEP_4) | instskip(NEXT) | instid1(VALU_DEP_4)
	v_bfe_u32 v179, v178, 21, 1
	v_and_b32_e32 v167, v177, v167
	s_delay_alu instid0(VALU_DEP_2) | instskip(NEXT) | instid1(VALU_DEP_2)
	v_add_nc_u32_e32 v177, -1, v179
	v_cmp_eq_u32_e64 s14, v167, v180
	s_delay_alu instid0(VALU_DEP_1) | instskip(SKIP_2) | instid1(VALU_DEP_2)
	v_cndmask_b32_e64 v167, 0, v177, s14
	v_lshrrev_b32_e32 v177, 23, v178
	s_mov_b32 s14, exec_lo
	v_add_nc_u32_e32 v167, v167, v178
	s_delay_alu instid0(VALU_DEP_2) | instskip(NEXT) | instid1(VALU_DEP_2)
	v_xor_b32_e32 v177, 1, v177
	v_and_b32_e32 v8, 0x1fffff, v167
	s_delay_alu instid0(VALU_DEP_1) | instskip(NEXT) | instid1(VALU_DEP_3)
	v_add_nc_u32_e32 v167, v8, v178
                                        ; implicit-def: $vgpr8
	v_cmpx_ne_u32_e64 v176, v177
	s_xor_b32 s14, exec_lo, s14
; %bb.5910:                             ;   in Loop: Header=BB2_5650 Depth=3
	s_delay_alu instid0(VALU_DEP_2) | instskip(SKIP_2) | instid1(VALU_DEP_2)
	v_cmp_lt_u32_e32 vcc_lo, 0xffffff, v167
	v_sub_nc_u32_e32 v8, v176, v177
	v_cndmask_b32_e64 v176, 0, 1, vcc_lo
	v_add_co_ci_u32_e32 v8, vcc_lo, 0, v8, vcc_lo
	s_delay_alu instid0(VALU_DEP_2)
	v_lshrrev_b32_e32 v167, v176, v167
; %bb.5911:                             ;   in Loop: Header=BB2_5650 Depth=3
	s_and_not1_saveexec_b32 s14, s14
; %bb.5912:                             ;   in Loop: Header=BB2_5650 Depth=3
	s_delay_alu instid0(VALU_DEP_1)
	v_bfe_u32 v8, v167, 23, 1
; %bb.5913:                             ;   in Loop: Header=BB2_5650 Depth=3
	s_or_b32 exec_lo, exec_lo, s14
	v_lshrrev_b32_e32 v167, 21, v167
	s_delay_alu instid0(VALU_DEP_2) | instskip(SKIP_2) | instid1(VALU_DEP_2)
	v_cmp_gt_i32_e32 vcc_lo, 32, v8
	v_lshrrev_b32_e32 v164, 24, v164
	v_min_i32_e32 v176, 31, v8
	v_dual_cndmask_b32 v167, 3, v167 :: v_dual_and_b32 v164, 0x80, v164
	s_delay_alu instid0(VALU_DEP_2) | instskip(NEXT) | instid1(VALU_DEP_2)
	v_lshlrev_b32_e32 v176, 2, v176
	v_or_b32_e32 v8, v8, v167
	s_delay_alu instid0(VALU_DEP_1) | instskip(SKIP_1) | instid1(VALU_DEP_1)
	v_cmp_ne_u32_e32 vcc_lo, 0, v8
	v_and_b32_e32 v177, 3, v167
	v_or3_b32 v164, v176, v164, v177
	s_delay_alu instid0(VALU_DEP_1)
	v_cndmask_b32_e32 v8, 0, v164, vcc_lo
.LBB2_5914:                             ;   in Loop: Header=BB2_5650 Depth=3
	s_or_b32 exec_lo, exec_lo, s34
.LBB2_5915:                             ;   in Loop: Header=BB2_5650 Depth=3
	s_delay_alu instid0(SALU_CYCLE_1) | instskip(SKIP_3) | instid1(VALU_DEP_1)
	s_or_b32 exec_lo, exec_lo, s31
	v_or_b32_e32 v166, v166, v163
	s_mov_b32 s14, 0
	s_mov_b32 s34, exec_lo
                                        ; implicit-def: $sgpr31
	v_and_b32_e32 v164, 0xff, v166
	s_delay_alu instid0(VALU_DEP_1)
	v_cmpx_lt_i16_e64 0x7f, v164
	s_xor_b32 s34, exec_lo, s34
	s_cbranch_execnz .LBB2_6201
; %bb.5916:                             ;   in Loop: Header=BB2_5650 Depth=3
	s_or_saveexec_b32 s34, s34
	v_mov_b32_e32 v163, s31
	s_xor_b32 exec_lo, exec_lo, s34
	s_cbranch_execnz .LBB2_6204
.LBB2_5917:                             ;   in Loop: Header=BB2_5650 Depth=3
	s_or_b32 exec_lo, exec_lo, s34
	s_and_saveexec_b32 s31, s14
	s_cbranch_execz .LBB2_5919
.LBB2_5918:                             ;   in Loop: Header=BB2_5650 Depth=3
	v_bfe_u32 v176, v166, 2, 5
	v_lshlrev_b32_e32 v177, 24, v166
	s_delay_alu instid0(VALU_DEP_2) | instskip(SKIP_1) | instid1(VALU_DEP_1)
	v_cmp_eq_u32_e32 vcc_lo, 0, v176
	v_and_b32_e32 v163, 3, v166
	v_clz_i32_u32_e32 v164, v163
	s_delay_alu instid0(VALU_DEP_1) | instskip(NEXT) | instid1(VALU_DEP_1)
	v_min_u32_e32 v164, 32, v164
	v_subrev_nc_u32_e32 v167, 29, v164
	v_sub_nc_u32_e32 v164, 30, v164
	s_delay_alu instid0(VALU_DEP_1) | instskip(NEXT) | instid1(VALU_DEP_1)
	v_dual_cndmask_b32 v164, v176, v164 :: v_dual_lshlrev_b32 v167, v167, v166
	v_and_b32_e32 v167, 3, v167
	s_delay_alu instid0(VALU_DEP_2) | instskip(NEXT) | instid1(VALU_DEP_2)
	v_lshl_add_u32 v164, v164, 23, 0x37800000
	v_cndmask_b32_e32 v163, v163, v167, vcc_lo
	v_and_b32_e32 v167, 0x80000000, v177
	s_delay_alu instid0(VALU_DEP_2) | instskip(NEXT) | instid1(VALU_DEP_1)
	v_lshlrev_b32_e32 v163, 21, v163
	v_or3_b32 v163, v167, v164, v163
.LBB2_5919:                             ;   in Loop: Header=BB2_5650 Depth=3
	s_or_b32 exec_lo, exec_lo, s31
	v_and_b32_e32 v167, 0xff, v9
	s_mov_b32 s14, 0
	s_mov_b32 s34, exec_lo
                                        ; implicit-def: $sgpr31
	s_delay_alu instid0(VALU_DEP_1)
	v_cmpx_lt_i16_e64 0x7f, v167
	s_xor_b32 s34, exec_lo, s34
	s_cbranch_execnz .LBB2_6205
; %bb.5920:                             ;   in Loop: Header=BB2_5650 Depth=3
	s_or_saveexec_b32 s34, s34
	v_mov_b32_e32 v164, s31
	s_xor_b32 exec_lo, exec_lo, s34
	s_cbranch_execnz .LBB2_6208
.LBB2_5921:                             ;   in Loop: Header=BB2_5650 Depth=3
	s_or_b32 exec_lo, exec_lo, s34
	s_and_saveexec_b32 s31, s14
	s_cbranch_execz .LBB2_5923
.LBB2_5922:                             ;   in Loop: Header=BB2_5650 Depth=3
	v_bfe_u32 v177, v9, 2, 5
	v_lshlrev_b32_e32 v178, 24, v9
	s_delay_alu instid0(VALU_DEP_2) | instskip(SKIP_1) | instid1(VALU_DEP_1)
	v_cmp_eq_u32_e32 vcc_lo, 0, v177
	v_and_b32_e32 v164, 3, v9
	v_clz_i32_u32_e32 v167, v164
	s_delay_alu instid0(VALU_DEP_1) | instskip(NEXT) | instid1(VALU_DEP_1)
	v_min_u32_e32 v167, 32, v167
	v_subrev_nc_u32_e32 v176, 29, v167
	v_sub_nc_u32_e32 v167, 30, v167
	s_delay_alu instid0(VALU_DEP_1) | instskip(NEXT) | instid1(VALU_DEP_1)
	v_dual_cndmask_b32 v167, v177, v167 :: v_dual_lshlrev_b32 v176, v176, v9
	v_and_b32_e32 v176, 3, v176
	s_delay_alu instid0(VALU_DEP_2) | instskip(NEXT) | instid1(VALU_DEP_2)
	v_lshl_add_u32 v167, v167, 23, 0x37800000
	v_cndmask_b32_e32 v164, v164, v176, vcc_lo
	v_and_b32_e32 v176, 0x80000000, v178
	s_delay_alu instid0(VALU_DEP_2) | instskip(NEXT) | instid1(VALU_DEP_1)
	v_lshlrev_b32_e32 v164, 21, v164
	v_or3_b32 v164, v176, v167, v164
.LBB2_5923:                             ;   in Loop: Header=BB2_5650 Depth=3
	s_or_b32 exec_lo, exec_lo, s31
	s_delay_alu instid0(VALU_DEP_1) | instskip(NEXT) | instid1(VALU_DEP_1)
	v_add_f32_e32 v164, v163, v164
	v_and_b32_e32 v163, 0x7f800000, v164
	s_delay_alu instid0(VALU_DEP_1)
	v_cmp_ne_u32_e32 vcc_lo, 0x7f800000, v163
	v_mov_b32_e32 v163, 0x80
	s_and_saveexec_b32 s31, vcc_lo
	s_cbranch_execz .LBB2_5931
; %bb.5924:                             ;   in Loop: Header=BB2_5650 Depth=3
	v_mov_b32_e32 v163, 0
	s_mov_b32 s34, exec_lo
	v_cmpx_ne_u32_e32 0, v164
	s_cbranch_execz .LBB2_5930
; %bb.5925:                             ;   in Loop: Header=BB2_5650 Depth=3
	v_bfe_u32 v163, v164, 23, 8
	v_and_b32_e32 v167, 0x7fffff, v164
	s_delay_alu instid0(VALU_DEP_2) | instskip(SKIP_1) | instid1(VALU_DEP_3)
	v_sub_nc_u32_e32 v176, 0x70, v163
	v_cmp_gt_u32_e32 vcc_lo, 0x71, v163
	v_or_b32_e32 v177, 0x800000, v167
	s_delay_alu instid0(VALU_DEP_3) | instskip(SKIP_2) | instid1(VALU_DEP_4)
	v_cndmask_b32_e32 v176, 0, v176, vcc_lo
	v_cmp_eq_u32_e32 vcc_lo, 0, v163
	v_add_nc_u32_e32 v163, 0xffffff91, v163
	v_cndmask_b32_e32 v167, v177, v167, vcc_lo
	s_delay_alu instid0(VALU_DEP_4) | instskip(NEXT) | instid1(VALU_DEP_3)
	v_cndmask_b32_e64 v176, v176, 0x6f, vcc_lo
	v_cndmask_b32_e64 v163, v163, 0xffffff92, vcc_lo
	s_delay_alu instid0(VALU_DEP_2) | instskip(SKIP_2) | instid1(VALU_DEP_4)
	v_lshrrev_b32_e32 v178, v176, v167
	v_lshl_add_u32 v177, 0x200000, v176, -1
	v_lshlrev_b32_e64 v180, v176, 0x100000
	v_add_nc_u32_e32 v176, v176, v163
	s_delay_alu instid0(VALU_DEP_4) | instskip(NEXT) | instid1(VALU_DEP_4)
	v_bfe_u32 v179, v178, 21, 1
	v_and_b32_e32 v167, v177, v167
	s_delay_alu instid0(VALU_DEP_2) | instskip(NEXT) | instid1(VALU_DEP_2)
	v_add_nc_u32_e32 v177, -1, v179
	v_cmp_eq_u32_e64 s14, v167, v180
	s_delay_alu instid0(VALU_DEP_1) | instskip(SKIP_2) | instid1(VALU_DEP_2)
	v_cndmask_b32_e64 v167, 0, v177, s14
	v_lshrrev_b32_e32 v177, 23, v178
	s_mov_b32 s14, exec_lo
	v_add_nc_u32_e32 v167, v167, v178
	s_delay_alu instid0(VALU_DEP_2) | instskip(NEXT) | instid1(VALU_DEP_2)
	v_xor_b32_e32 v177, 1, v177
	v_and_b32_e32 v163, 0x1fffff, v167
	s_delay_alu instid0(VALU_DEP_1) | instskip(NEXT) | instid1(VALU_DEP_3)
	v_add_nc_u32_e32 v167, v163, v178
                                        ; implicit-def: $vgpr163
	v_cmpx_ne_u32_e64 v176, v177
	s_xor_b32 s14, exec_lo, s14
; %bb.5926:                             ;   in Loop: Header=BB2_5650 Depth=3
	s_delay_alu instid0(VALU_DEP_2) | instskip(SKIP_2) | instid1(VALU_DEP_2)
	v_cmp_lt_u32_e32 vcc_lo, 0xffffff, v167
	v_sub_nc_u32_e32 v163, v176, v177
	v_cndmask_b32_e64 v176, 0, 1, vcc_lo
	v_add_co_ci_u32_e32 v163, vcc_lo, 0, v163, vcc_lo
	s_delay_alu instid0(VALU_DEP_2)
	v_lshrrev_b32_e32 v167, v176, v167
; %bb.5927:                             ;   in Loop: Header=BB2_5650 Depth=3
	s_and_not1_saveexec_b32 s14, s14
; %bb.5928:                             ;   in Loop: Header=BB2_5650 Depth=3
	s_delay_alu instid0(VALU_DEP_1)
	v_bfe_u32 v163, v167, 23, 1
; %bb.5929:                             ;   in Loop: Header=BB2_5650 Depth=3
	s_or_b32 exec_lo, exec_lo, s14
	v_lshrrev_b32_e32 v167, 21, v167
	s_delay_alu instid0(VALU_DEP_2) | instskip(SKIP_2) | instid1(VALU_DEP_2)
	v_cmp_gt_i32_e32 vcc_lo, 32, v163
	v_lshrrev_b32_e32 v164, 24, v164
	v_min_i32_e32 v176, 31, v163
	v_dual_cndmask_b32 v167, 3, v167 :: v_dual_and_b32 v164, 0x80, v164
	s_delay_alu instid0(VALU_DEP_2) | instskip(NEXT) | instid1(VALU_DEP_2)
	v_lshlrev_b32_e32 v176, 2, v176
	v_and_b32_e32 v177, 3, v167
	v_or_b32_e32 v163, v163, v167
	s_delay_alu instid0(VALU_DEP_2) | instskip(NEXT) | instid1(VALU_DEP_2)
	v_or3_b32 v164, v176, v164, v177
	v_cmp_ne_u32_e32 vcc_lo, 0, v163
	s_delay_alu instid0(VALU_DEP_2)
	v_cndmask_b32_e32 v163, 0, v164, vcc_lo
.LBB2_5930:                             ;   in Loop: Header=BB2_5650 Depth=3
	s_or_b32 exec_lo, exec_lo, s34
.LBB2_5931:                             ;   in Loop: Header=BB2_5650 Depth=3
	s_delay_alu instid0(SALU_CYCLE_1) | instskip(SKIP_3) | instid1(VALU_DEP_1)
	s_or_b32 exec_lo, exec_lo, s31
	v_lshrrev_b16 v167, 8, v166
	s_mov_b32 s14, 0
	s_mov_b32 s34, exec_lo
                                        ; implicit-def: $sgpr31
	v_cmpx_lt_i16_e64 0x7f, v167
	s_xor_b32 s34, exec_lo, s34
	s_cbranch_execnz .LBB2_6209
; %bb.5932:                             ;   in Loop: Header=BB2_5650 Depth=3
	s_or_saveexec_b32 s34, s34
	v_mov_b32_e32 v164, s31
	s_xor_b32 exec_lo, exec_lo, s34
	s_cbranch_execnz .LBB2_6212
.LBB2_5933:                             ;   in Loop: Header=BB2_5650 Depth=3
	s_or_b32 exec_lo, exec_lo, s34
	s_and_saveexec_b32 s31, s14
	s_cbranch_execz .LBB2_5935
.LBB2_5934:                             ;   in Loop: Header=BB2_5650 Depth=3
	v_and_b32_e32 v164, 0xffff, v167
	s_delay_alu instid0(VALU_DEP_1) | instskip(NEXT) | instid1(VALU_DEP_1)
	v_and_b32_e32 v176, 3, v164
	v_clz_i32_u32_e32 v177, v176
	s_delay_alu instid0(VALU_DEP_1) | instskip(NEXT) | instid1(VALU_DEP_1)
	v_min_u32_e32 v177, 32, v177
	v_subrev_nc_u32_e32 v178, 29, v177
	v_sub_nc_u32_e32 v177, 30, v177
	s_delay_alu instid0(VALU_DEP_2) | instskip(SKIP_1) | instid1(VALU_DEP_2)
	v_lshlrev_b32_e32 v178, v178, v164
	v_bfe_u32 v164, v164, 2, 5
	v_and_b32_e32 v178, 3, v178
	s_delay_alu instid0(VALU_DEP_2) | instskip(SKIP_1) | instid1(VALU_DEP_1)
	v_cmp_eq_u32_e32 vcc_lo, 0, v164
	v_dual_cndmask_b32 v164, v164, v177 :: v_dual_lshlrev_b32 v167, 24, v167
	v_dual_cndmask_b32 v176, v176, v178 :: v_dual_and_b32 v167, 0x80000000, v167
	s_delay_alu instid0(VALU_DEP_2) | instskip(NEXT) | instid1(VALU_DEP_2)
	v_lshl_add_u32 v164, v164, 23, 0x37800000
	v_lshlrev_b32_e32 v176, 21, v176
	s_delay_alu instid0(VALU_DEP_1)
	v_or3_b32 v164, v167, v164, v176
.LBB2_5935:                             ;   in Loop: Header=BB2_5650 Depth=3
	s_or_b32 exec_lo, exec_lo, s31
	v_lshrrev_b16 v167, 8, v9
	s_mov_b32 s14, 0
	s_mov_b32 s34, exec_lo
                                        ; implicit-def: $sgpr31
	s_delay_alu instid0(VALU_DEP_1)
	v_cmpx_lt_i16_e64 0x7f, v167
	s_xor_b32 s34, exec_lo, s34
	s_cbranch_execnz .LBB2_6213
; %bb.5936:                             ;   in Loop: Header=BB2_5650 Depth=3
	s_or_saveexec_b32 s34, s34
	v_mov_b32_e32 v176, s31
	s_xor_b32 exec_lo, exec_lo, s34
	s_cbranch_execnz .LBB2_6216
.LBB2_5937:                             ;   in Loop: Header=BB2_5650 Depth=3
	s_or_b32 exec_lo, exec_lo, s34
	s_and_saveexec_b32 s31, s14
	s_cbranch_execz .LBB2_5939
.LBB2_5938:                             ;   in Loop: Header=BB2_5650 Depth=3
	v_and_b32_e32 v176, 0xffff, v167
	v_lshlrev_b32_e32 v167, 24, v167
	s_delay_alu instid0(VALU_DEP_2) | instskip(NEXT) | instid1(VALU_DEP_2)
	v_and_b32_e32 v177, 3, v176
	v_and_b32_e32 v167, 0x80000000, v167
	s_delay_alu instid0(VALU_DEP_2) | instskip(NEXT) | instid1(VALU_DEP_1)
	v_clz_i32_u32_e32 v178, v177
	v_min_u32_e32 v178, 32, v178
	s_delay_alu instid0(VALU_DEP_1) | instskip(SKIP_1) | instid1(VALU_DEP_2)
	v_subrev_nc_u32_e32 v179, 29, v178
	v_sub_nc_u32_e32 v178, 30, v178
	v_lshlrev_b32_e32 v179, v179, v176
	v_bfe_u32 v176, v176, 2, 5
	s_delay_alu instid0(VALU_DEP_2) | instskip(NEXT) | instid1(VALU_DEP_2)
	v_and_b32_e32 v179, 3, v179
	v_cmp_eq_u32_e32 vcc_lo, 0, v176
	s_delay_alu instid0(VALU_DEP_2) | instskip(NEXT) | instid1(VALU_DEP_1)
	v_dual_cndmask_b32 v176, v176, v178 :: v_dual_cndmask_b32 v177, v177, v179
	v_lshl_add_u32 v176, v176, 23, 0x37800000
	s_delay_alu instid0(VALU_DEP_2) | instskip(NEXT) | instid1(VALU_DEP_1)
	v_lshlrev_b32_e32 v177, 21, v177
	v_or3_b32 v176, v167, v176, v177
.LBB2_5939:                             ;   in Loop: Header=BB2_5650 Depth=3
	s_or_b32 exec_lo, exec_lo, s31
	s_delay_alu instid0(VALU_DEP_1) | instskip(NEXT) | instid1(VALU_DEP_1)
	v_add_f32_e32 v167, v164, v176
	v_and_b32_e32 v164, 0x7f800000, v167
	s_delay_alu instid0(VALU_DEP_1)
	v_cmp_ne_u32_e32 vcc_lo, 0x7f800000, v164
	v_mov_b32_e32 v164, 0x8000
	s_and_saveexec_b32 s31, vcc_lo
	s_cbranch_execz .LBB2_5947
; %bb.5940:                             ;   in Loop: Header=BB2_5650 Depth=3
	v_mov_b32_e32 v164, 0
	s_mov_b32 s34, exec_lo
	v_cmpx_ne_u32_e32 0, v167
	s_cbranch_execz .LBB2_5946
; %bb.5941:                             ;   in Loop: Header=BB2_5650 Depth=3
	v_bfe_u32 v164, v167, 23, 8
	s_delay_alu instid0(VALU_DEP_1) | instskip(SKIP_1) | instid1(VALU_DEP_2)
	v_sub_nc_u32_e32 v177, 0x70, v164
	v_cmp_gt_u32_e32 vcc_lo, 0x71, v164
	v_dual_cndmask_b32 v177, 0, v177 :: v_dual_and_b32 v176, 0x7fffff, v167
	s_delay_alu instid0(VALU_DEP_1) | instskip(SKIP_2) | instid1(VALU_DEP_4)
	v_or_b32_e32 v178, 0x800000, v176
	v_cmp_eq_u32_e32 vcc_lo, 0, v164
	v_add_nc_u32_e32 v164, 0xffffff91, v164
	v_cndmask_b32_e64 v177, v177, 0x6f, vcc_lo
	s_delay_alu instid0(VALU_DEP_4) | instskip(NEXT) | instid1(VALU_DEP_3)
	v_cndmask_b32_e32 v176, v178, v176, vcc_lo
	v_cndmask_b32_e64 v164, v164, 0xffffff92, vcc_lo
	s_delay_alu instid0(VALU_DEP_3) | instskip(NEXT) | instid1(VALU_DEP_3)
	v_lshl_add_u32 v178, 0x200000, v177, -1
	v_lshrrev_b32_e32 v179, v177, v176
	v_lshlrev_b32_e64 v181, v177, 0x100000
	s_delay_alu instid0(VALU_DEP_4) | instskip(NEXT) | instid1(VALU_DEP_4)
	v_add_nc_u32_e32 v177, v177, v164
	v_and_b32_e32 v176, v178, v176
	s_delay_alu instid0(VALU_DEP_4) | instskip(NEXT) | instid1(VALU_DEP_2)
	v_bfe_u32 v180, v179, 21, 1
	v_cmp_eq_u32_e64 s14, v176, v181
	s_delay_alu instid0(VALU_DEP_2) | instskip(NEXT) | instid1(VALU_DEP_1)
	v_add_nc_u32_e32 v178, -1, v180
	v_cndmask_b32_e64 v176, 0, v178, s14
	v_lshrrev_b32_e32 v178, 23, v179
	s_mov_b32 s14, exec_lo
	s_delay_alu instid0(VALU_DEP_2) | instskip(NEXT) | instid1(VALU_DEP_2)
	v_add_nc_u32_e32 v176, v176, v179
	v_xor_b32_e32 v178, 1, v178
	s_delay_alu instid0(VALU_DEP_2) | instskip(NEXT) | instid1(VALU_DEP_1)
	v_and_b32_e32 v164, 0x1fffff, v176
	v_add_nc_u32_e32 v176, v164, v179
                                        ; implicit-def: $vgpr164
	s_delay_alu instid0(VALU_DEP_3)
	v_cmpx_ne_u32_e64 v177, v178
	s_xor_b32 s14, exec_lo, s14
; %bb.5942:                             ;   in Loop: Header=BB2_5650 Depth=3
	s_delay_alu instid0(VALU_DEP_2) | instskip(SKIP_2) | instid1(VALU_DEP_2)
	v_cmp_lt_u32_e32 vcc_lo, 0xffffff, v176
	v_sub_nc_u32_e32 v164, v177, v178
	v_cndmask_b32_e64 v177, 0, 1, vcc_lo
	v_add_co_ci_u32_e32 v164, vcc_lo, 0, v164, vcc_lo
	s_delay_alu instid0(VALU_DEP_2)
	v_lshrrev_b32_e32 v176, v177, v176
; %bb.5943:                             ;   in Loop: Header=BB2_5650 Depth=3
	s_and_not1_saveexec_b32 s14, s14
; %bb.5944:                             ;   in Loop: Header=BB2_5650 Depth=3
	s_delay_alu instid0(VALU_DEP_1)
	v_bfe_u32 v164, v176, 23, 1
; %bb.5945:                             ;   in Loop: Header=BB2_5650 Depth=3
	s_or_b32 exec_lo, exec_lo, s14
	v_lshrrev_b32_e32 v176, 21, v176
	s_delay_alu instid0(VALU_DEP_2) | instskip(SKIP_2) | instid1(VALU_DEP_2)
	v_cmp_gt_i32_e32 vcc_lo, 32, v164
	v_min_i32_e32 v177, 31, v164
	v_lshrrev_b32_e32 v167, 24, v167
	v_dual_cndmask_b32 v176, 3, v176 :: v_dual_lshlrev_b32 v177, 2, v177
	s_delay_alu instid0(VALU_DEP_2) | instskip(NEXT) | instid1(VALU_DEP_2)
	v_and_b32_e32 v167, 0x80, v167
	v_or_b32_e32 v164, v164, v176
	v_and_b32_e32 v178, 3, v176
	s_delay_alu instid0(VALU_DEP_2) | instskip(SKIP_1) | instid1(VALU_DEP_1)
	v_cmp_ne_u32_e32 vcc_lo, 0, v164
	v_and_b32_e32 v177, 0xfc, v177
	v_or3_b32 v167, v167, v177, v178
	s_delay_alu instid0(VALU_DEP_1) | instskip(NEXT) | instid1(VALU_DEP_1)
	v_lshlrev_b32_e32 v167, 8, v167
	v_cndmask_b32_e32 v164, 0, v167, vcc_lo
.LBB2_5946:                             ;   in Loop: Header=BB2_5650 Depth=3
	s_or_b32 exec_lo, exec_lo, s34
.LBB2_5947:                             ;   in Loop: Header=BB2_5650 Depth=3
	s_delay_alu instid0(SALU_CYCLE_1) | instskip(SKIP_3) | instid1(VALU_DEP_1)
	s_or_b32 exec_lo, exec_lo, s31
	v_or_b32_e32 v165, v165, v162
	s_mov_b32 s14, 0
	s_mov_b32 s34, exec_lo
                                        ; implicit-def: $sgpr31
	v_and_b32_e32 v167, 0xff, v165
	s_delay_alu instid0(VALU_DEP_1)
	v_cmpx_lt_i16_e64 0x7f, v167
	s_xor_b32 s34, exec_lo, s34
	s_cbranch_execnz .LBB2_6217
; %bb.5948:                             ;   in Loop: Header=BB2_5650 Depth=3
	s_or_saveexec_b32 s34, s34
	v_mov_b32_e32 v162, s31
	s_xor_b32 exec_lo, exec_lo, s34
	s_cbranch_execnz .LBB2_6220
.LBB2_5949:                             ;   in Loop: Header=BB2_5650 Depth=3
	s_or_b32 exec_lo, exec_lo, s34
	v_lshl_or_b32 v165, v165, 16, v166
	s_and_saveexec_b32 s31, s14
	s_cbranch_execz .LBB2_5951
.LBB2_5950:                             ;   in Loop: Header=BB2_5650 Depth=3
	s_delay_alu instid0(VALU_DEP_1) | instskip(SKIP_1) | instid1(VALU_DEP_2)
	v_bfe_u32 v162, v165, 16, 2
	v_lshrrev_b32_e32 v167, 16, v165
	v_clz_i32_u32_e32 v166, v162
	s_delay_alu instid0(VALU_DEP_1) | instskip(NEXT) | instid1(VALU_DEP_1)
	v_min_u32_e32 v166, 32, v166
	v_subrev_nc_u32_e32 v176, 29, v166
	v_sub_nc_u32_e32 v166, 30, v166
	s_delay_alu instid0(VALU_DEP_2) | instskip(SKIP_1) | instid1(VALU_DEP_1)
	v_lshlrev_b32_e32 v167, v176, v167
	v_bfe_u32 v176, v165, 18, 5
	v_cmp_eq_u32_e32 vcc_lo, 0, v176
	s_delay_alu instid0(VALU_DEP_3) | instskip(NEXT) | instid1(VALU_DEP_1)
	v_dual_cndmask_b32 v166, v176, v166 :: v_dual_and_b32 v167, 3, v167
	v_dual_cndmask_b32 v162, v162, v167 :: v_dual_lshlrev_b32 v177, 8, v165
	s_delay_alu instid0(VALU_DEP_2) | instskip(NEXT) | instid1(VALU_DEP_2)
	v_lshl_add_u32 v166, v166, 23, 0x37800000
	v_and_b32_e32 v167, 0x80000000, v177
	s_delay_alu instid0(VALU_DEP_3) | instskip(NEXT) | instid1(VALU_DEP_1)
	v_lshlrev_b32_e32 v162, 21, v162
	v_or3_b32 v162, v167, v166, v162
.LBB2_5951:                             ;   in Loop: Header=BB2_5650 Depth=3
	s_or_b32 exec_lo, exec_lo, s31
	v_lshrrev_b32_e32 v166, 16, v9
	s_mov_b32 s14, 0
	s_mov_b32 s34, exec_lo
                                        ; implicit-def: $sgpr31
	s_delay_alu instid0(VALU_DEP_1) | instskip(NEXT) | instid1(VALU_DEP_1)
	v_and_b32_e32 v176, 0xff, v166
	v_cmpx_lt_i16_e64 0x7f, v176
	s_xor_b32 s34, exec_lo, s34
	s_cbranch_execnz .LBB2_6221
; %bb.5952:                             ;   in Loop: Header=BB2_5650 Depth=3
	s_or_saveexec_b32 s34, s34
	v_mov_b32_e32 v167, s31
	s_xor_b32 exec_lo, exec_lo, s34
	s_cbranch_execnz .LBB2_6224
.LBB2_5953:                             ;   in Loop: Header=BB2_5650 Depth=3
	s_or_b32 exec_lo, exec_lo, s34
	s_and_saveexec_b32 s31, s14
	s_cbranch_execz .LBB2_5955
.LBB2_5954:                             ;   in Loop: Header=BB2_5650 Depth=3
	v_bfe_u32 v167, v9, 16, 2
	v_lshlrev_b32_e32 v178, 8, v9
	s_delay_alu instid0(VALU_DEP_2) | instskip(NEXT) | instid1(VALU_DEP_1)
	v_clz_i32_u32_e32 v176, v167
	v_min_u32_e32 v176, 32, v176
	s_delay_alu instid0(VALU_DEP_1) | instskip(SKIP_1) | instid1(VALU_DEP_2)
	v_subrev_nc_u32_e32 v177, 29, v176
	v_sub_nc_u32_e32 v176, 30, v176
	v_lshlrev_b32_e32 v166, v177, v166
	v_bfe_u32 v177, v9, 18, 5
	s_delay_alu instid0(VALU_DEP_2) | instskip(NEXT) | instid1(VALU_DEP_2)
	v_and_b32_e32 v166, 3, v166
	v_cmp_eq_u32_e32 vcc_lo, 0, v177
	v_cndmask_b32_e32 v176, v177, v176, vcc_lo
	s_delay_alu instid0(VALU_DEP_3) | instskip(SKIP_1) | instid1(VALU_DEP_3)
	v_cndmask_b32_e32 v166, v167, v166, vcc_lo
	v_and_b32_e32 v167, 0x80000000, v178
	v_lshl_add_u32 v176, v176, 23, 0x37800000
	s_delay_alu instid0(VALU_DEP_3) | instskip(NEXT) | instid1(VALU_DEP_1)
	v_lshlrev_b32_e32 v166, 21, v166
	v_or3_b32 v167, v167, v176, v166
.LBB2_5955:                             ;   in Loop: Header=BB2_5650 Depth=3
	s_or_b32 exec_lo, exec_lo, s31
	s_delay_alu instid0(VALU_DEP_1) | instskip(NEXT) | instid1(VALU_DEP_1)
	v_add_f32_e32 v166, v162, v167
	v_and_b32_e32 v162, 0x7f800000, v166
	s_delay_alu instid0(VALU_DEP_1)
	v_cmp_ne_u32_e32 vcc_lo, 0x7f800000, v162
	v_mov_b32_e32 v162, 0x80
	s_and_saveexec_b32 s31, vcc_lo
	s_cbranch_execz .LBB2_5963
; %bb.5956:                             ;   in Loop: Header=BB2_5650 Depth=3
	v_mov_b32_e32 v162, 0
	s_mov_b32 s34, exec_lo
	v_cmpx_ne_u32_e32 0, v166
	s_cbranch_execz .LBB2_5962
; %bb.5957:                             ;   in Loop: Header=BB2_5650 Depth=3
	v_bfe_u32 v162, v166, 23, 8
	s_delay_alu instid0(VALU_DEP_1) | instskip(SKIP_1) | instid1(VALU_DEP_2)
	v_sub_nc_u32_e32 v176, 0x70, v162
	v_cmp_gt_u32_e32 vcc_lo, 0x71, v162
	v_dual_cndmask_b32 v176, 0, v176 :: v_dual_and_b32 v167, 0x7fffff, v166
	s_delay_alu instid0(VALU_DEP_1) | instskip(SKIP_2) | instid1(VALU_DEP_4)
	v_or_b32_e32 v177, 0x800000, v167
	v_cmp_eq_u32_e32 vcc_lo, 0, v162
	v_add_nc_u32_e32 v162, 0xffffff91, v162
	v_cndmask_b32_e64 v176, v176, 0x6f, vcc_lo
	s_delay_alu instid0(VALU_DEP_4) | instskip(NEXT) | instid1(VALU_DEP_3)
	v_cndmask_b32_e32 v167, v177, v167, vcc_lo
	v_cndmask_b32_e64 v162, v162, 0xffffff92, vcc_lo
	s_delay_alu instid0(VALU_DEP_3) | instskip(NEXT) | instid1(VALU_DEP_3)
	v_lshl_add_u32 v177, 0x200000, v176, -1
	v_lshrrev_b32_e32 v178, v176, v167
	v_lshlrev_b32_e64 v180, v176, 0x100000
	s_delay_alu instid0(VALU_DEP_4) | instskip(NEXT) | instid1(VALU_DEP_4)
	v_add_nc_u32_e32 v176, v176, v162
	v_and_b32_e32 v167, v177, v167
	s_delay_alu instid0(VALU_DEP_4) | instskip(NEXT) | instid1(VALU_DEP_2)
	v_bfe_u32 v179, v178, 21, 1
	v_cmp_eq_u32_e64 s14, v167, v180
	s_delay_alu instid0(VALU_DEP_2) | instskip(NEXT) | instid1(VALU_DEP_1)
	v_add_nc_u32_e32 v177, -1, v179
	v_cndmask_b32_e64 v167, 0, v177, s14
	v_lshrrev_b32_e32 v177, 23, v178
	s_mov_b32 s14, exec_lo
	s_delay_alu instid0(VALU_DEP_2) | instskip(NEXT) | instid1(VALU_DEP_2)
	v_add_nc_u32_e32 v167, v167, v178
	v_xor_b32_e32 v177, 1, v177
	s_delay_alu instid0(VALU_DEP_2) | instskip(NEXT) | instid1(VALU_DEP_1)
	v_and_b32_e32 v162, 0x1fffff, v167
	v_add_nc_u32_e32 v167, v162, v178
                                        ; implicit-def: $vgpr162
	s_delay_alu instid0(VALU_DEP_3)
	v_cmpx_ne_u32_e64 v176, v177
	s_xor_b32 s14, exec_lo, s14
; %bb.5958:                             ;   in Loop: Header=BB2_5650 Depth=3
	s_delay_alu instid0(VALU_DEP_2) | instskip(SKIP_2) | instid1(VALU_DEP_2)
	v_cmp_lt_u32_e32 vcc_lo, 0xffffff, v167
	v_sub_nc_u32_e32 v162, v176, v177
	v_cndmask_b32_e64 v176, 0, 1, vcc_lo
	v_add_co_ci_u32_e32 v162, vcc_lo, 0, v162, vcc_lo
	s_delay_alu instid0(VALU_DEP_2)
	v_lshrrev_b32_e32 v167, v176, v167
; %bb.5959:                             ;   in Loop: Header=BB2_5650 Depth=3
	s_and_not1_saveexec_b32 s14, s14
; %bb.5960:                             ;   in Loop: Header=BB2_5650 Depth=3
	s_delay_alu instid0(VALU_DEP_1)
	v_bfe_u32 v162, v167, 23, 1
; %bb.5961:                             ;   in Loop: Header=BB2_5650 Depth=3
	s_or_b32 exec_lo, exec_lo, s14
	v_lshrrev_b32_e32 v167, 21, v167
	s_delay_alu instid0(VALU_DEP_2) | instskip(SKIP_2) | instid1(VALU_DEP_2)
	v_cmp_gt_i32_e32 vcc_lo, 32, v162
	v_min_i32_e32 v176, 31, v162
	v_lshrrev_b32_e32 v166, 24, v166
	v_dual_cndmask_b32 v167, 3, v167 :: v_dual_lshlrev_b32 v176, 2, v176
	s_delay_alu instid0(VALU_DEP_2) | instskip(NEXT) | instid1(VALU_DEP_2)
	v_and_b32_e32 v166, 0x80, v166
	v_or_b32_e32 v162, v162, v167
	s_delay_alu instid0(VALU_DEP_3) | instskip(NEXT) | instid1(VALU_DEP_2)
	v_and_b32_e32 v176, 0xfc, v176
	v_cmp_ne_u32_e32 vcc_lo, 0, v162
	v_and_b32_e32 v177, 3, v167
	s_delay_alu instid0(VALU_DEP_1) | instskip(NEXT) | instid1(VALU_DEP_1)
	v_or3_b32 v166, v176, v166, v177
	v_cndmask_b32_e32 v162, 0, v166, vcc_lo
.LBB2_5962:                             ;   in Loop: Header=BB2_5650 Depth=3
	s_or_b32 exec_lo, exec_lo, s34
.LBB2_5963:                             ;   in Loop: Header=BB2_5650 Depth=3
	s_delay_alu instid0(SALU_CYCLE_1) | instskip(SKIP_3) | instid1(VALU_DEP_1)
	s_or_b32 exec_lo, exec_lo, s31
	v_lshrrev_b32_e32 v167, 24, v165
	s_mov_b32 s14, 0
	s_mov_b32 s34, exec_lo
                                        ; implicit-def: $sgpr31
	v_cmpx_lt_i16_e64 0x7f, v167
	s_xor_b32 s34, exec_lo, s34
	s_cbranch_execnz .LBB2_6225
; %bb.5964:                             ;   in Loop: Header=BB2_5650 Depth=3
	s_or_saveexec_b32 s34, s34
	v_mov_b32_e32 v166, s31
	s_xor_b32 exec_lo, exec_lo, s34
	s_cbranch_execnz .LBB2_6228
.LBB2_5965:                             ;   in Loop: Header=BB2_5650 Depth=3
	s_or_b32 exec_lo, exec_lo, s34
	s_and_saveexec_b32 s31, s14
	s_cbranch_execz .LBB2_5967
.LBB2_5966:                             ;   in Loop: Header=BB2_5650 Depth=3
	v_bfe_u32 v166, v165, 24, 2
	s_delay_alu instid0(VALU_DEP_1) | instskip(NEXT) | instid1(VALU_DEP_1)
	v_clz_i32_u32_e32 v176, v166
	v_min_u32_e32 v176, 32, v176
	s_delay_alu instid0(VALU_DEP_1) | instskip(SKIP_1) | instid1(VALU_DEP_2)
	v_subrev_nc_u32_e32 v177, 29, v176
	v_sub_nc_u32_e32 v176, 30, v176
	v_lshlrev_b32_e32 v167, v177, v167
	v_bfe_u32 v177, v165, 26, 5
	v_and_b32_e32 v165, 0x80000000, v165
	s_delay_alu instid0(VALU_DEP_2) | instskip(NEXT) | instid1(VALU_DEP_4)
	v_cmp_eq_u32_e32 vcc_lo, 0, v177
	v_dual_cndmask_b32 v176, v177, v176 :: v_dual_and_b32 v167, 3, v167
	s_delay_alu instid0(VALU_DEP_1) | instskip(NEXT) | instid1(VALU_DEP_2)
	v_cndmask_b32_e32 v166, v166, v167, vcc_lo
	v_lshl_add_u32 v167, v176, 23, 0x37800000
	s_delay_alu instid0(VALU_DEP_2) | instskip(NEXT) | instid1(VALU_DEP_1)
	v_lshlrev_b32_e32 v166, 21, v166
	v_or3_b32 v166, v165, v167, v166
.LBB2_5967:                             ;   in Loop: Header=BB2_5650 Depth=3
	s_or_b32 exec_lo, exec_lo, s31
	v_lshrrev_b32_e32 v165, 24, v9
	s_mov_b32 s14, 0
	s_mov_b32 s34, exec_lo
                                        ; implicit-def: $sgpr31
	s_delay_alu instid0(VALU_DEP_1)
	v_cmpx_lt_i16_e64 0x7f, v165
	s_xor_b32 s34, exec_lo, s34
	s_cbranch_execnz .LBB2_6229
; %bb.5968:                             ;   in Loop: Header=BB2_5650 Depth=3
	s_or_saveexec_b32 s34, s34
	v_mov_b32_e32 v167, s31
	s_xor_b32 exec_lo, exec_lo, s34
	s_cbranch_execnz .LBB2_6232
.LBB2_5969:                             ;   in Loop: Header=BB2_5650 Depth=3
	s_or_b32 exec_lo, exec_lo, s34
	s_and_saveexec_b32 s31, s14
	s_cbranch_execz .LBB2_5971
.LBB2_5970:                             ;   in Loop: Header=BB2_5650 Depth=3
	v_bfe_u32 v167, v9, 24, 2
	s_delay_alu instid0(VALU_DEP_1) | instskip(NEXT) | instid1(VALU_DEP_1)
	v_clz_i32_u32_e32 v176, v167
	v_min_u32_e32 v176, 32, v176
	s_delay_alu instid0(VALU_DEP_1) | instskip(SKIP_1) | instid1(VALU_DEP_2)
	v_subrev_nc_u32_e32 v177, 29, v176
	v_sub_nc_u32_e32 v176, 30, v176
	v_lshlrev_b32_e32 v165, v177, v165
	v_bfe_u32 v177, v9, 26, 5
	v_and_b32_e32 v9, 0x80000000, v9
	s_delay_alu instid0(VALU_DEP_2) | instskip(NEXT) | instid1(VALU_DEP_4)
	v_cmp_eq_u32_e32 vcc_lo, 0, v177
	v_dual_cndmask_b32 v176, v177, v176 :: v_dual_and_b32 v165, 3, v165
	s_delay_alu instid0(VALU_DEP_1) | instskip(NEXT) | instid1(VALU_DEP_2)
	v_cndmask_b32_e32 v165, v167, v165, vcc_lo
	v_lshl_add_u32 v167, v176, 23, 0x37800000
	s_delay_alu instid0(VALU_DEP_2) | instskip(NEXT) | instid1(VALU_DEP_1)
	v_lshlrev_b32_e32 v165, 21, v165
	v_or3_b32 v167, v9, v167, v165
.LBB2_5971:                             ;   in Loop: Header=BB2_5650 Depth=3
	s_or_b32 exec_lo, exec_lo, s31
	s_delay_alu instid0(VALU_DEP_1) | instskip(NEXT) | instid1(VALU_DEP_1)
	v_add_f32_e32 v165, v166, v167
	v_and_b32_e32 v9, 0x7f800000, v165
	s_delay_alu instid0(VALU_DEP_1)
	v_cmp_ne_u32_e32 vcc_lo, 0x7f800000, v9
	v_mov_b32_e32 v9, 0x8000
	s_and_saveexec_b32 s31, vcc_lo
	s_cbranch_execz .LBB2_5979
; %bb.5972:                             ;   in Loop: Header=BB2_5650 Depth=3
	v_mov_b32_e32 v9, 0
	s_mov_b32 s34, exec_lo
	v_cmpx_ne_u32_e32 0, v165
	s_cbranch_execz .LBB2_5978
; %bb.5973:                             ;   in Loop: Header=BB2_5650 Depth=3
	v_bfe_u32 v9, v165, 23, 8
	s_delay_alu instid0(VALU_DEP_1) | instskip(SKIP_1) | instid1(VALU_DEP_2)
	v_sub_nc_u32_e32 v167, 0x70, v9
	v_cmp_gt_u32_e32 vcc_lo, 0x71, v9
	v_dual_cndmask_b32 v167, 0, v167 :: v_dual_and_b32 v166, 0x7fffff, v165
	s_delay_alu instid0(VALU_DEP_1) | instskip(SKIP_2) | instid1(VALU_DEP_4)
	v_or_b32_e32 v176, 0x800000, v166
	v_cmp_eq_u32_e32 vcc_lo, 0, v9
	v_add_nc_u32_e32 v9, 0xffffff91, v9
	v_cndmask_b32_e64 v167, v167, 0x6f, vcc_lo
	s_delay_alu instid0(VALU_DEP_4) | instskip(NEXT) | instid1(VALU_DEP_3)
	v_cndmask_b32_e32 v166, v176, v166, vcc_lo
	v_cndmask_b32_e64 v9, v9, 0xffffff92, vcc_lo
	s_delay_alu instid0(VALU_DEP_3) | instskip(NEXT) | instid1(VALU_DEP_3)
	v_lshl_add_u32 v176, 0x200000, v167, -1
	v_lshrrev_b32_e32 v177, v167, v166
	v_lshlrev_b32_e64 v179, v167, 0x100000
	s_delay_alu instid0(VALU_DEP_4) | instskip(NEXT) | instid1(VALU_DEP_4)
	v_add_nc_u32_e32 v167, v167, v9
	v_and_b32_e32 v166, v176, v166
	s_delay_alu instid0(VALU_DEP_4) | instskip(NEXT) | instid1(VALU_DEP_2)
	v_bfe_u32 v178, v177, 21, 1
	v_cmp_eq_u32_e64 s14, v166, v179
	s_delay_alu instid0(VALU_DEP_2) | instskip(NEXT) | instid1(VALU_DEP_1)
	v_add_nc_u32_e32 v176, -1, v178
	v_cndmask_b32_e64 v166, 0, v176, s14
	v_lshrrev_b32_e32 v176, 23, v177
	s_mov_b32 s14, exec_lo
	s_delay_alu instid0(VALU_DEP_2) | instskip(NEXT) | instid1(VALU_DEP_2)
	v_add_nc_u32_e32 v166, v166, v177
	v_xor_b32_e32 v176, 1, v176
	s_delay_alu instid0(VALU_DEP_2) | instskip(NEXT) | instid1(VALU_DEP_1)
	v_and_b32_e32 v9, 0x1fffff, v166
	v_add_nc_u32_e32 v166, v9, v177
                                        ; implicit-def: $vgpr9
	s_delay_alu instid0(VALU_DEP_3)
	v_cmpx_ne_u32_e64 v167, v176
	s_xor_b32 s14, exec_lo, s14
; %bb.5974:                             ;   in Loop: Header=BB2_5650 Depth=3
	s_delay_alu instid0(VALU_DEP_2) | instskip(SKIP_2) | instid1(VALU_DEP_2)
	v_cmp_lt_u32_e32 vcc_lo, 0xffffff, v166
	v_sub_nc_u32_e32 v9, v167, v176
	v_cndmask_b32_e64 v167, 0, 1, vcc_lo
	v_add_co_ci_u32_e32 v9, vcc_lo, 0, v9, vcc_lo
	s_delay_alu instid0(VALU_DEP_2)
	v_lshrrev_b32_e32 v166, v167, v166
; %bb.5975:                             ;   in Loop: Header=BB2_5650 Depth=3
	s_and_not1_saveexec_b32 s14, s14
; %bb.5976:                             ;   in Loop: Header=BB2_5650 Depth=3
	s_delay_alu instid0(VALU_DEP_1)
	v_bfe_u32 v9, v166, 23, 1
; %bb.5977:                             ;   in Loop: Header=BB2_5650 Depth=3
	s_or_b32 exec_lo, exec_lo, s14
	v_lshrrev_b32_e32 v166, 21, v166
	s_delay_alu instid0(VALU_DEP_2) | instskip(SKIP_2) | instid1(VALU_DEP_2)
	v_cmp_gt_i32_e32 vcc_lo, 32, v9
	v_min_i32_e32 v167, 31, v9
	v_lshrrev_b32_e32 v165, 24, v165
	v_dual_cndmask_b32 v166, 3, v166 :: v_dual_lshlrev_b32 v167, 2, v167
	s_delay_alu instid0(VALU_DEP_2) | instskip(NEXT) | instid1(VALU_DEP_2)
	v_and_b32_e32 v165, 0x80, v165
	v_or_b32_e32 v9, v9, v166
	s_delay_alu instid0(VALU_DEP_3) | instskip(NEXT) | instid1(VALU_DEP_2)
	v_and_b32_e32 v167, 0xfc, v167
	v_cmp_ne_u32_e32 vcc_lo, 0, v9
	v_and_b32_e32 v176, 3, v166
	s_delay_alu instid0(VALU_DEP_1) | instskip(NEXT) | instid1(VALU_DEP_1)
	v_or3_b32 v165, v165, v167, v176
	v_lshlrev_b32_e32 v165, 8, v165
	s_delay_alu instid0(VALU_DEP_1)
	v_cndmask_b32_e32 v9, 0, v165, vcc_lo
.LBB2_5978:                             ;   in Loop: Header=BB2_5650 Depth=3
	s_or_b32 exec_lo, exec_lo, s34
.LBB2_5979:                             ;   in Loop: Header=BB2_5650 Depth=3
	s_delay_alu instid0(SALU_CYCLE_1) | instskip(SKIP_3) | instid1(VALU_DEP_1)
	s_or_b32 exec_lo, exec_lo, s31
	v_and_b32_e32 v166, 0xff, v160
	s_mov_b32 s14, 0
	s_mov_b32 s34, exec_lo
                                        ; implicit-def: $sgpr31
	v_cmpx_lt_i16_e64 0x7f, v166
	s_xor_b32 s34, exec_lo, s34
	s_cbranch_execnz .LBB2_6233
; %bb.5980:                             ;   in Loop: Header=BB2_5650 Depth=3
	s_or_saveexec_b32 s34, s34
	v_mov_b32_e32 v165, s31
	s_xor_b32 exec_lo, exec_lo, s34
	s_cbranch_execnz .LBB2_6236
.LBB2_5981:                             ;   in Loop: Header=BB2_5650 Depth=3
	s_or_b32 exec_lo, exec_lo, s34
	s_and_saveexec_b32 s31, s14
	s_cbranch_execz .LBB2_5983
.LBB2_5982:                             ;   in Loop: Header=BB2_5650 Depth=3
	v_bfe_u32 v176, v160, 2, 5
	s_delay_alu instid0(VALU_DEP_1) | instskip(SKIP_1) | instid1(VALU_DEP_1)
	v_cmp_eq_u32_e32 vcc_lo, 0, v176
	v_and_b32_e32 v165, 3, v160
	v_clz_i32_u32_e32 v166, v165
	s_delay_alu instid0(VALU_DEP_1) | instskip(NEXT) | instid1(VALU_DEP_1)
	v_min_u32_e32 v166, 32, v166
	v_subrev_nc_u32_e32 v167, 29, v166
	v_sub_nc_u32_e32 v166, 30, v166
	s_delay_alu instid0(VALU_DEP_1) | instskip(NEXT) | instid1(VALU_DEP_1)
	v_dual_cndmask_b32 v166, v176, v166 :: v_dual_lshlrev_b32 v167, v167, v160
	v_and_b32_e32 v167, 3, v167
	v_lshlrev_b32_e32 v160, 24, v160
	s_delay_alu instid0(VALU_DEP_3) | instskip(NEXT) | instid1(VALU_DEP_2)
	v_lshl_add_u32 v166, v166, 23, 0x37800000
	v_dual_cndmask_b32 v165, v165, v167 :: v_dual_and_b32 v160, 0x80000000, v160
	s_delay_alu instid0(VALU_DEP_1) | instskip(NEXT) | instid1(VALU_DEP_1)
	v_lshlrev_b32_e32 v165, 21, v165
	v_or3_b32 v165, v160, v166, v165
.LBB2_5983:                             ;   in Loop: Header=BB2_5650 Depth=3
	s_or_b32 exec_lo, exec_lo, s31
	v_and_b32_e32 v166, 0xff, v10
	s_mov_b32 s14, 0
	s_mov_b32 s34, exec_lo
                                        ; implicit-def: $sgpr31
	s_delay_alu instid0(VALU_DEP_1)
	v_cmpx_lt_i16_e64 0x7f, v166
	s_xor_b32 s34, exec_lo, s34
	s_cbranch_execnz .LBB2_6237
; %bb.5984:                             ;   in Loop: Header=BB2_5650 Depth=3
	s_or_saveexec_b32 s34, s34
	v_mov_b32_e32 v160, s31
	s_xor_b32 exec_lo, exec_lo, s34
	s_cbranch_execnz .LBB2_6240
.LBB2_5985:                             ;   in Loop: Header=BB2_5650 Depth=3
	s_or_b32 exec_lo, exec_lo, s34
	s_and_saveexec_b32 s31, s14
	s_cbranch_execz .LBB2_5987
.LBB2_5986:                             ;   in Loop: Header=BB2_5650 Depth=3
	v_and_b32_e32 v160, 3, v10
	v_bfe_u32 v176, v10, 2, 5
	s_delay_alu instid0(VALU_DEP_2) | instskip(NEXT) | instid1(VALU_DEP_2)
	v_clz_i32_u32_e32 v166, v160
	v_cmp_eq_u32_e32 vcc_lo, 0, v176
	s_delay_alu instid0(VALU_DEP_2) | instskip(NEXT) | instid1(VALU_DEP_1)
	v_min_u32_e32 v166, 32, v166
	v_subrev_nc_u32_e32 v167, 29, v166
	v_sub_nc_u32_e32 v166, 30, v166
	s_delay_alu instid0(VALU_DEP_2) | instskip(NEXT) | instid1(VALU_DEP_1)
	v_lshlrev_b32_e32 v167, v167, v10
	v_dual_cndmask_b32 v166, v176, v166 :: v_dual_and_b32 v167, 3, v167
	v_lshlrev_b32_e32 v177, 24, v10
	s_delay_alu instid0(VALU_DEP_2) | instskip(NEXT) | instid1(VALU_DEP_2)
	v_lshl_add_u32 v166, v166, 23, 0x37800000
	v_dual_cndmask_b32 v160, v160, v167 :: v_dual_and_b32 v167, 0x80000000, v177
	s_delay_alu instid0(VALU_DEP_1) | instskip(NEXT) | instid1(VALU_DEP_1)
	v_lshlrev_b32_e32 v160, 21, v160
	v_or3_b32 v160, v167, v166, v160
.LBB2_5987:                             ;   in Loop: Header=BB2_5650 Depth=3
	s_or_b32 exec_lo, exec_lo, s31
	s_delay_alu instid0(VALU_DEP_1) | instskip(NEXT) | instid1(VALU_DEP_1)
	v_add_f32_e32 v165, v165, v160
	v_and_b32_e32 v160, 0x7f800000, v165
	s_delay_alu instid0(VALU_DEP_1)
	v_cmp_ne_u32_e32 vcc_lo, 0x7f800000, v160
	v_mov_b32_e32 v160, 0x80
	s_and_saveexec_b32 s31, vcc_lo
	s_cbranch_execz .LBB2_5995
; %bb.5988:                             ;   in Loop: Header=BB2_5650 Depth=3
	v_mov_b32_e32 v160, 0
	s_mov_b32 s34, exec_lo
	v_cmpx_ne_u32_e32 0, v165
	s_cbranch_execz .LBB2_5994
; %bb.5989:                             ;   in Loop: Header=BB2_5650 Depth=3
	v_bfe_u32 v160, v165, 23, 8
	s_delay_alu instid0(VALU_DEP_1) | instskip(SKIP_1) | instid1(VALU_DEP_2)
	v_sub_nc_u32_e32 v167, 0x70, v160
	v_cmp_gt_u32_e32 vcc_lo, 0x71, v160
	v_dual_cndmask_b32 v167, 0, v167 :: v_dual_and_b32 v166, 0x7fffff, v165
	s_delay_alu instid0(VALU_DEP_1) | instskip(SKIP_2) | instid1(VALU_DEP_4)
	v_or_b32_e32 v176, 0x800000, v166
	v_cmp_eq_u32_e32 vcc_lo, 0, v160
	v_add_nc_u32_e32 v160, 0xffffff91, v160
	v_cndmask_b32_e64 v167, v167, 0x6f, vcc_lo
	s_delay_alu instid0(VALU_DEP_2) | instskip(SKIP_1) | instid1(VALU_DEP_3)
	v_cndmask_b32_e64 v160, v160, 0xffffff92, vcc_lo
	v_cndmask_b32_e32 v166, v176, v166, vcc_lo
	v_lshl_add_u32 v176, 0x200000, v167, -1
	v_lshlrev_b32_e64 v179, v167, 0x100000
	s_delay_alu instid0(VALU_DEP_3) | instskip(SKIP_1) | instid1(VALU_DEP_4)
	v_lshrrev_b32_e32 v177, v167, v166
	v_add_nc_u32_e32 v167, v167, v160
	v_and_b32_e32 v166, v176, v166
	s_delay_alu instid0(VALU_DEP_3) | instskip(NEXT) | instid1(VALU_DEP_2)
	v_bfe_u32 v178, v177, 21, 1
	v_cmp_eq_u32_e64 s14, v166, v179
	s_delay_alu instid0(VALU_DEP_2) | instskip(NEXT) | instid1(VALU_DEP_1)
	v_add_nc_u32_e32 v176, -1, v178
	v_cndmask_b32_e64 v166, 0, v176, s14
	v_lshrrev_b32_e32 v176, 23, v177
	s_mov_b32 s14, exec_lo
	s_delay_alu instid0(VALU_DEP_2) | instskip(NEXT) | instid1(VALU_DEP_2)
	v_add_nc_u32_e32 v166, v166, v177
	v_xor_b32_e32 v176, 1, v176
	s_delay_alu instid0(VALU_DEP_2) | instskip(NEXT) | instid1(VALU_DEP_1)
	v_and_b32_e32 v160, 0x1fffff, v166
	v_add_nc_u32_e32 v166, v160, v177
                                        ; implicit-def: $vgpr160
	s_delay_alu instid0(VALU_DEP_3)
	v_cmpx_ne_u32_e64 v167, v176
	s_xor_b32 s14, exec_lo, s14
; %bb.5990:                             ;   in Loop: Header=BB2_5650 Depth=3
	s_delay_alu instid0(VALU_DEP_2) | instskip(SKIP_2) | instid1(VALU_DEP_2)
	v_cmp_lt_u32_e32 vcc_lo, 0xffffff, v166
	v_sub_nc_u32_e32 v160, v167, v176
	v_cndmask_b32_e64 v167, 0, 1, vcc_lo
	v_add_co_ci_u32_e32 v160, vcc_lo, 0, v160, vcc_lo
	s_delay_alu instid0(VALU_DEP_2)
	v_lshrrev_b32_e32 v166, v167, v166
; %bb.5991:                             ;   in Loop: Header=BB2_5650 Depth=3
	s_and_not1_saveexec_b32 s14, s14
; %bb.5992:                             ;   in Loop: Header=BB2_5650 Depth=3
	s_delay_alu instid0(VALU_DEP_1)
	v_bfe_u32 v160, v166, 23, 1
; %bb.5993:                             ;   in Loop: Header=BB2_5650 Depth=3
	s_or_b32 exec_lo, exec_lo, s14
	v_lshrrev_b32_e32 v166, 21, v166
	s_delay_alu instid0(VALU_DEP_2) | instskip(SKIP_2) | instid1(VALU_DEP_2)
	v_cmp_gt_i32_e32 vcc_lo, 32, v160
	v_lshrrev_b32_e32 v165, 24, v165
	v_min_i32_e32 v167, 31, v160
	v_dual_cndmask_b32 v166, 3, v166 :: v_dual_and_b32 v165, 0x80, v165
	s_delay_alu instid0(VALU_DEP_1) | instskip(SKIP_1) | instid1(VALU_DEP_2)
	v_or_b32_e32 v160, v160, v166
	v_and_b32_e32 v176, 3, v166
	v_cmp_ne_u32_e32 vcc_lo, 0, v160
	v_lshlrev_b32_e32 v167, 2, v167
	s_delay_alu instid0(VALU_DEP_1) | instskip(NEXT) | instid1(VALU_DEP_1)
	v_or3_b32 v165, v167, v165, v176
	v_cndmask_b32_e32 v160, 0, v165, vcc_lo
.LBB2_5994:                             ;   in Loop: Header=BB2_5650 Depth=3
	s_or_b32 exec_lo, exec_lo, s34
.LBB2_5995:                             ;   in Loop: Header=BB2_5650 Depth=3
	s_delay_alu instid0(SALU_CYCLE_1) | instskip(SKIP_3) | instid1(VALU_DEP_1)
	s_or_b32 exec_lo, exec_lo, s31
	v_and_b32_e32 v166, 0xff, v150
	s_mov_b32 s14, 0
	s_mov_b32 s34, exec_lo
                                        ; implicit-def: $sgpr31
	v_cmpx_lt_i16_e64 0x7f, v166
	s_xor_b32 s34, exec_lo, s34
	s_cbranch_execnz .LBB2_6241
; %bb.5996:                             ;   in Loop: Header=BB2_5650 Depth=3
	s_or_saveexec_b32 s34, s34
	v_mov_b32_e32 v165, s31
	s_xor_b32 exec_lo, exec_lo, s34
	s_cbranch_execnz .LBB2_6244
.LBB2_5997:                             ;   in Loop: Header=BB2_5650 Depth=3
	s_or_b32 exec_lo, exec_lo, s34
	s_and_saveexec_b32 s31, s14
	s_cbranch_execz .LBB2_5999
.LBB2_5998:                             ;   in Loop: Header=BB2_5650 Depth=3
	v_and_b32_e32 v165, 3, v150
	v_bfe_u32 v176, v150, 2, 5
	s_delay_alu instid0(VALU_DEP_2) | instskip(NEXT) | instid1(VALU_DEP_2)
	v_clz_i32_u32_e32 v166, v165
	v_cmp_eq_u32_e32 vcc_lo, 0, v176
	s_delay_alu instid0(VALU_DEP_2) | instskip(NEXT) | instid1(VALU_DEP_1)
	v_min_u32_e32 v166, 32, v166
	v_subrev_nc_u32_e32 v167, 29, v166
	v_sub_nc_u32_e32 v166, 30, v166
	s_delay_alu instid0(VALU_DEP_2) | instskip(NEXT) | instid1(VALU_DEP_1)
	v_lshlrev_b32_e32 v167, v167, v150
	v_dual_cndmask_b32 v166, v176, v166 :: v_dual_and_b32 v167, 3, v167
	v_lshlrev_b32_e32 v150, 24, v150
	s_delay_alu instid0(VALU_DEP_2) | instskip(NEXT) | instid1(VALU_DEP_2)
	v_lshl_add_u32 v166, v166, 23, 0x37800000
	v_dual_cndmask_b32 v165, v165, v167 :: v_dual_and_b32 v150, 0x80000000, v150
	s_delay_alu instid0(VALU_DEP_1) | instskip(NEXT) | instid1(VALU_DEP_1)
	v_lshlrev_b32_e32 v165, 21, v165
	v_or3_b32 v165, v150, v166, v165
.LBB2_5999:                             ;   in Loop: Header=BB2_5650 Depth=3
	s_or_b32 exec_lo, exec_lo, s31
	v_lshrrev_b16 v150, 8, v10
	s_mov_b32 s14, 0
	s_mov_b32 s34, exec_lo
                                        ; implicit-def: $sgpr31
	s_delay_alu instid0(VALU_DEP_1)
	v_cmpx_lt_i16_e64 0x7f, v150
	s_xor_b32 s34, exec_lo, s34
	s_cbranch_execnz .LBB2_6245
; %bb.6000:                             ;   in Loop: Header=BB2_5650 Depth=3
	s_or_saveexec_b32 s34, s34
	v_mov_b32_e32 v166, s31
	s_xor_b32 exec_lo, exec_lo, s34
	s_cbranch_execnz .LBB2_6248
.LBB2_6001:                             ;   in Loop: Header=BB2_5650 Depth=3
	s_or_b32 exec_lo, exec_lo, s34
	s_and_saveexec_b32 s31, s14
	s_cbranch_execz .LBB2_6003
.LBB2_6002:                             ;   in Loop: Header=BB2_5650 Depth=3
	v_and_b32_e32 v166, 0xffff, v150
	v_lshlrev_b32_e32 v150, 24, v150
	s_delay_alu instid0(VALU_DEP_2) | instskip(NEXT) | instid1(VALU_DEP_2)
	v_and_b32_e32 v167, 3, v166
	v_and_b32_e32 v150, 0x80000000, v150
	s_delay_alu instid0(VALU_DEP_2) | instskip(NEXT) | instid1(VALU_DEP_1)
	v_clz_i32_u32_e32 v176, v167
	v_min_u32_e32 v176, 32, v176
	s_delay_alu instid0(VALU_DEP_1) | instskip(SKIP_1) | instid1(VALU_DEP_2)
	v_subrev_nc_u32_e32 v177, 29, v176
	v_sub_nc_u32_e32 v176, 30, v176
	v_lshlrev_b32_e32 v177, v177, v166
	v_bfe_u32 v166, v166, 2, 5
	s_delay_alu instid0(VALU_DEP_2) | instskip(NEXT) | instid1(VALU_DEP_2)
	v_and_b32_e32 v177, 3, v177
	v_cmp_eq_u32_e32 vcc_lo, 0, v166
	s_delay_alu instid0(VALU_DEP_2) | instskip(NEXT) | instid1(VALU_DEP_1)
	v_dual_cndmask_b32 v166, v166, v176 :: v_dual_cndmask_b32 v167, v167, v177
	v_lshl_add_u32 v166, v166, 23, 0x37800000
	s_delay_alu instid0(VALU_DEP_2) | instskip(NEXT) | instid1(VALU_DEP_1)
	v_lshlrev_b32_e32 v167, 21, v167
	v_or3_b32 v166, v150, v166, v167
.LBB2_6003:                             ;   in Loop: Header=BB2_5650 Depth=3
	s_or_b32 exec_lo, exec_lo, s31
	s_delay_alu instid0(VALU_DEP_1) | instskip(NEXT) | instid1(VALU_DEP_1)
	v_add_f32_e32 v165, v165, v166
	v_and_b32_e32 v150, 0x7f800000, v165
	s_delay_alu instid0(VALU_DEP_1)
	v_cmp_ne_u32_e32 vcc_lo, 0x7f800000, v150
	v_mov_b32_e32 v150, 0x80
	s_and_saveexec_b32 s31, vcc_lo
	s_cbranch_execz .LBB2_6011
; %bb.6004:                             ;   in Loop: Header=BB2_5650 Depth=3
	v_mov_b32_e32 v150, 0
	s_mov_b32 s34, exec_lo
	v_cmpx_ne_u32_e32 0, v165
	s_cbranch_execz .LBB2_6010
; %bb.6005:                             ;   in Loop: Header=BB2_5650 Depth=3
	v_bfe_u32 v150, v165, 23, 8
	s_delay_alu instid0(VALU_DEP_1) | instskip(SKIP_1) | instid1(VALU_DEP_2)
	v_sub_nc_u32_e32 v167, 0x70, v150
	v_cmp_gt_u32_e32 vcc_lo, 0x71, v150
	v_dual_cndmask_b32 v167, 0, v167 :: v_dual_and_b32 v166, 0x7fffff, v165
	s_delay_alu instid0(VALU_DEP_1) | instskip(SKIP_2) | instid1(VALU_DEP_4)
	v_or_b32_e32 v176, 0x800000, v166
	v_cmp_eq_u32_e32 vcc_lo, 0, v150
	v_add_nc_u32_e32 v150, 0xffffff91, v150
	v_cndmask_b32_e64 v167, v167, 0x6f, vcc_lo
	s_delay_alu instid0(VALU_DEP_4) | instskip(NEXT) | instid1(VALU_DEP_3)
	v_cndmask_b32_e32 v166, v176, v166, vcc_lo
	v_cndmask_b32_e64 v150, v150, 0xffffff92, vcc_lo
	s_delay_alu instid0(VALU_DEP_3) | instskip(NEXT) | instid1(VALU_DEP_3)
	v_lshl_add_u32 v176, 0x200000, v167, -1
	v_lshrrev_b32_e32 v177, v167, v166
	v_lshlrev_b32_e64 v179, v167, 0x100000
	s_delay_alu instid0(VALU_DEP_4) | instskip(NEXT) | instid1(VALU_DEP_4)
	v_add_nc_u32_e32 v167, v167, v150
	v_and_b32_e32 v166, v176, v166
	s_delay_alu instid0(VALU_DEP_4) | instskip(NEXT) | instid1(VALU_DEP_2)
	v_bfe_u32 v178, v177, 21, 1
	v_cmp_eq_u32_e64 s14, v166, v179
	s_delay_alu instid0(VALU_DEP_2) | instskip(NEXT) | instid1(VALU_DEP_1)
	v_add_nc_u32_e32 v176, -1, v178
	v_cndmask_b32_e64 v166, 0, v176, s14
	v_lshrrev_b32_e32 v176, 23, v177
	s_mov_b32 s14, exec_lo
	s_delay_alu instid0(VALU_DEP_2) | instskip(NEXT) | instid1(VALU_DEP_2)
	v_add_nc_u32_e32 v166, v166, v177
	v_xor_b32_e32 v176, 1, v176
	s_delay_alu instid0(VALU_DEP_2) | instskip(NEXT) | instid1(VALU_DEP_1)
	v_and_b32_e32 v150, 0x1fffff, v166
	v_add_nc_u32_e32 v166, v150, v177
                                        ; implicit-def: $vgpr150
	s_delay_alu instid0(VALU_DEP_3)
	v_cmpx_ne_u32_e64 v167, v176
	s_xor_b32 s14, exec_lo, s14
; %bb.6006:                             ;   in Loop: Header=BB2_5650 Depth=3
	s_delay_alu instid0(VALU_DEP_2) | instskip(SKIP_2) | instid1(VALU_DEP_2)
	v_cmp_lt_u32_e32 vcc_lo, 0xffffff, v166
	v_sub_nc_u32_e32 v150, v167, v176
	v_cndmask_b32_e64 v167, 0, 1, vcc_lo
	v_add_co_ci_u32_e32 v150, vcc_lo, 0, v150, vcc_lo
	s_delay_alu instid0(VALU_DEP_2)
	v_lshrrev_b32_e32 v166, v167, v166
; %bb.6007:                             ;   in Loop: Header=BB2_5650 Depth=3
	s_and_not1_saveexec_b32 s14, s14
; %bb.6008:                             ;   in Loop: Header=BB2_5650 Depth=3
	s_delay_alu instid0(VALU_DEP_1)
	v_bfe_u32 v150, v166, 23, 1
; %bb.6009:                             ;   in Loop: Header=BB2_5650 Depth=3
	s_or_b32 exec_lo, exec_lo, s14
	v_lshrrev_b32_e32 v166, 21, v166
	s_delay_alu instid0(VALU_DEP_2) | instskip(SKIP_2) | instid1(VALU_DEP_2)
	v_cmp_gt_i32_e32 vcc_lo, 32, v150
	v_lshrrev_b32_e32 v165, 24, v165
	v_min_i32_e32 v167, 31, v150
	v_dual_cndmask_b32 v166, 3, v166 :: v_dual_and_b32 v165, 0x80, v165
	s_delay_alu instid0(VALU_DEP_1) | instskip(SKIP_1) | instid1(VALU_DEP_2)
	v_or_b32_e32 v150, v150, v166
	v_and_b32_e32 v176, 3, v166
	v_cmp_ne_u32_e32 vcc_lo, 0, v150
	v_lshlrev_b32_e32 v167, 2, v167
	s_delay_alu instid0(VALU_DEP_1) | instskip(NEXT) | instid1(VALU_DEP_1)
	v_or3_b32 v165, v167, v165, v176
	v_cndmask_b32_e32 v150, 0, v165, vcc_lo
.LBB2_6010:                             ;   in Loop: Header=BB2_5650 Depth=3
	s_or_b32 exec_lo, exec_lo, s34
.LBB2_6011:                             ;   in Loop: Header=BB2_5650 Depth=3
	s_delay_alu instid0(SALU_CYCLE_1) | instskip(SKIP_3) | instid1(VALU_DEP_1)
	s_or_b32 exec_lo, exec_lo, s31
	v_and_b32_e32 v166, 0xff, v149
	s_mov_b32 s14, 0
	s_mov_b32 s34, exec_lo
                                        ; implicit-def: $sgpr31
	v_cmpx_lt_i16_e64 0x7f, v166
	s_xor_b32 s34, exec_lo, s34
	s_cbranch_execnz .LBB2_6249
; %bb.6012:                             ;   in Loop: Header=BB2_5650 Depth=3
	s_or_saveexec_b32 s34, s34
	v_mov_b32_e32 v165, s31
	s_xor_b32 exec_lo, exec_lo, s34
	s_cbranch_execnz .LBB2_6252
.LBB2_6013:                             ;   in Loop: Header=BB2_5650 Depth=3
	s_or_b32 exec_lo, exec_lo, s34
	s_and_saveexec_b32 s31, s14
	s_cbranch_execz .LBB2_6015
.LBB2_6014:                             ;   in Loop: Header=BB2_5650 Depth=3
	v_bfe_u32 v176, v149, 2, 5
	s_delay_alu instid0(VALU_DEP_1) | instskip(SKIP_1) | instid1(VALU_DEP_1)
	v_cmp_eq_u32_e32 vcc_lo, 0, v176
	v_and_b32_e32 v165, 3, v149
	v_clz_i32_u32_e32 v166, v165
	s_delay_alu instid0(VALU_DEP_1) | instskip(NEXT) | instid1(VALU_DEP_1)
	v_min_u32_e32 v166, 32, v166
	v_subrev_nc_u32_e32 v167, 29, v166
	v_sub_nc_u32_e32 v166, 30, v166
	s_delay_alu instid0(VALU_DEP_1) | instskip(SKIP_1) | instid1(VALU_DEP_2)
	v_dual_cndmask_b32 v166, v176, v166 :: v_dual_lshlrev_b32 v167, v167, v149
	v_lshlrev_b32_e32 v149, 24, v149
	v_and_b32_e32 v167, 3, v167
	s_delay_alu instid0(VALU_DEP_3) | instskip(NEXT) | instid1(VALU_DEP_3)
	v_lshl_add_u32 v166, v166, 23, 0x37800000
	v_and_b32_e32 v149, 0x80000000, v149
	s_delay_alu instid0(VALU_DEP_3) | instskip(NEXT) | instid1(VALU_DEP_1)
	v_cndmask_b32_e32 v165, v165, v167, vcc_lo
	v_lshlrev_b32_e32 v165, 21, v165
	s_delay_alu instid0(VALU_DEP_1)
	v_or3_b32 v165, v149, v166, v165
.LBB2_6015:                             ;   in Loop: Header=BB2_5650 Depth=3
	s_or_b32 exec_lo, exec_lo, s31
	v_lshrrev_b32_e32 v149, 16, v10
	s_mov_b32 s14, 0
	s_mov_b32 s34, exec_lo
                                        ; implicit-def: $sgpr31
	s_delay_alu instid0(VALU_DEP_1) | instskip(NEXT) | instid1(VALU_DEP_1)
	v_and_b32_e32 v167, 0xff, v149
	v_cmpx_lt_i16_e64 0x7f, v167
	s_xor_b32 s34, exec_lo, s34
	s_cbranch_execnz .LBB2_6253
; %bb.6016:                             ;   in Loop: Header=BB2_5650 Depth=3
	s_or_saveexec_b32 s34, s34
	v_mov_b32_e32 v166, s31
	s_xor_b32 exec_lo, exec_lo, s34
	s_cbranch_execnz .LBB2_6256
.LBB2_6017:                             ;   in Loop: Header=BB2_5650 Depth=3
	s_or_b32 exec_lo, exec_lo, s34
	s_and_saveexec_b32 s31, s14
	s_cbranch_execz .LBB2_6019
.LBB2_6018:                             ;   in Loop: Header=BB2_5650 Depth=3
	v_bfe_u32 v166, v10, 16, 2
	v_lshlrev_b32_e32 v177, 8, v10
	s_delay_alu instid0(VALU_DEP_2) | instskip(NEXT) | instid1(VALU_DEP_1)
	v_clz_i32_u32_e32 v167, v166
	v_min_u32_e32 v167, 32, v167
	s_delay_alu instid0(VALU_DEP_1) | instskip(SKIP_1) | instid1(VALU_DEP_2)
	v_subrev_nc_u32_e32 v176, 29, v167
	v_sub_nc_u32_e32 v167, 30, v167
	v_lshlrev_b32_e32 v149, v176, v149
	v_bfe_u32 v176, v10, 18, 5
	s_delay_alu instid0(VALU_DEP_2) | instskip(NEXT) | instid1(VALU_DEP_2)
	v_and_b32_e32 v149, 3, v149
	v_cmp_eq_u32_e32 vcc_lo, 0, v176
	v_cndmask_b32_e32 v167, v176, v167, vcc_lo
	s_delay_alu instid0(VALU_DEP_3) | instskip(SKIP_1) | instid1(VALU_DEP_3)
	v_cndmask_b32_e32 v149, v166, v149, vcc_lo
	v_and_b32_e32 v166, 0x80000000, v177
	v_lshl_add_u32 v167, v167, 23, 0x37800000
	s_delay_alu instid0(VALU_DEP_3) | instskip(NEXT) | instid1(VALU_DEP_1)
	v_lshlrev_b32_e32 v149, 21, v149
	v_or3_b32 v166, v166, v167, v149
.LBB2_6019:                             ;   in Loop: Header=BB2_5650 Depth=3
	s_or_b32 exec_lo, exec_lo, s31
	s_delay_alu instid0(VALU_DEP_1) | instskip(NEXT) | instid1(VALU_DEP_1)
	v_add_f32_e32 v165, v165, v166
	v_and_b32_e32 v149, 0x7f800000, v165
	s_delay_alu instid0(VALU_DEP_1)
	v_cmp_ne_u32_e32 vcc_lo, 0x7f800000, v149
	v_mov_b32_e32 v149, 0x80
	s_and_saveexec_b32 s31, vcc_lo
	s_cbranch_execz .LBB2_6027
; %bb.6020:                             ;   in Loop: Header=BB2_5650 Depth=3
	v_mov_b32_e32 v149, 0
	s_mov_b32 s34, exec_lo
	v_cmpx_ne_u32_e32 0, v165
	s_cbranch_execz .LBB2_6026
; %bb.6021:                             ;   in Loop: Header=BB2_5650 Depth=3
	v_bfe_u32 v149, v165, 23, 8
	s_delay_alu instid0(VALU_DEP_1) | instskip(SKIP_1) | instid1(VALU_DEP_2)
	v_sub_nc_u32_e32 v167, 0x70, v149
	v_cmp_gt_u32_e32 vcc_lo, 0x71, v149
	v_dual_cndmask_b32 v167, 0, v167 :: v_dual_and_b32 v166, 0x7fffff, v165
	s_delay_alu instid0(VALU_DEP_1) | instskip(SKIP_2) | instid1(VALU_DEP_4)
	v_or_b32_e32 v176, 0x800000, v166
	v_cmp_eq_u32_e32 vcc_lo, 0, v149
	v_add_nc_u32_e32 v149, 0xffffff91, v149
	v_cndmask_b32_e64 v167, v167, 0x6f, vcc_lo
	s_delay_alu instid0(VALU_DEP_4) | instskip(NEXT) | instid1(VALU_DEP_3)
	v_cndmask_b32_e32 v166, v176, v166, vcc_lo
	v_cndmask_b32_e64 v149, v149, 0xffffff92, vcc_lo
	s_delay_alu instid0(VALU_DEP_3) | instskip(NEXT) | instid1(VALU_DEP_3)
	v_lshl_add_u32 v176, 0x200000, v167, -1
	v_lshrrev_b32_e32 v177, v167, v166
	v_lshlrev_b32_e64 v179, v167, 0x100000
	s_delay_alu instid0(VALU_DEP_4) | instskip(NEXT) | instid1(VALU_DEP_4)
	v_add_nc_u32_e32 v167, v167, v149
	v_and_b32_e32 v166, v176, v166
	s_delay_alu instid0(VALU_DEP_4) | instskip(NEXT) | instid1(VALU_DEP_2)
	v_bfe_u32 v178, v177, 21, 1
	v_cmp_eq_u32_e64 s14, v166, v179
	s_delay_alu instid0(VALU_DEP_2) | instskip(NEXT) | instid1(VALU_DEP_1)
	v_add_nc_u32_e32 v176, -1, v178
	v_cndmask_b32_e64 v166, 0, v176, s14
	v_lshrrev_b32_e32 v176, 23, v177
	s_mov_b32 s14, exec_lo
	s_delay_alu instid0(VALU_DEP_2) | instskip(NEXT) | instid1(VALU_DEP_2)
	v_add_nc_u32_e32 v166, v166, v177
	v_xor_b32_e32 v176, 1, v176
	s_delay_alu instid0(VALU_DEP_2) | instskip(NEXT) | instid1(VALU_DEP_1)
	v_and_b32_e32 v149, 0x1fffff, v166
	v_add_nc_u32_e32 v166, v149, v177
                                        ; implicit-def: $vgpr149
	s_delay_alu instid0(VALU_DEP_3)
	v_cmpx_ne_u32_e64 v167, v176
	s_xor_b32 s14, exec_lo, s14
; %bb.6022:                             ;   in Loop: Header=BB2_5650 Depth=3
	s_delay_alu instid0(VALU_DEP_2) | instskip(SKIP_2) | instid1(VALU_DEP_2)
	v_cmp_lt_u32_e32 vcc_lo, 0xffffff, v166
	v_sub_nc_u32_e32 v149, v167, v176
	v_cndmask_b32_e64 v167, 0, 1, vcc_lo
	v_add_co_ci_u32_e32 v149, vcc_lo, 0, v149, vcc_lo
	s_delay_alu instid0(VALU_DEP_2)
	v_lshrrev_b32_e32 v166, v167, v166
; %bb.6023:                             ;   in Loop: Header=BB2_5650 Depth=3
	s_and_not1_saveexec_b32 s14, s14
; %bb.6024:                             ;   in Loop: Header=BB2_5650 Depth=3
	s_delay_alu instid0(VALU_DEP_1)
	v_bfe_u32 v149, v166, 23, 1
; %bb.6025:                             ;   in Loop: Header=BB2_5650 Depth=3
	s_or_b32 exec_lo, exec_lo, s14
	v_lshrrev_b32_e32 v166, 21, v166
	s_delay_alu instid0(VALU_DEP_2) | instskip(SKIP_2) | instid1(VALU_DEP_2)
	v_cmp_gt_i32_e32 vcc_lo, 32, v149
	v_lshrrev_b32_e32 v165, 24, v165
	v_min_i32_e32 v167, 31, v149
	v_dual_cndmask_b32 v166, 3, v166 :: v_dual_and_b32 v165, 0x80, v165
	s_delay_alu instid0(VALU_DEP_2) | instskip(NEXT) | instid1(VALU_DEP_2)
	v_lshlrev_b32_e32 v167, 2, v167
	v_or_b32_e32 v149, v149, v166
	s_delay_alu instid0(VALU_DEP_1) | instskip(SKIP_1) | instid1(VALU_DEP_1)
	v_cmp_ne_u32_e32 vcc_lo, 0, v149
	v_and_b32_e32 v176, 3, v166
	v_or3_b32 v165, v167, v165, v176
	s_delay_alu instid0(VALU_DEP_1)
	v_cndmask_b32_e32 v149, 0, v165, vcc_lo
.LBB2_6026:                             ;   in Loop: Header=BB2_5650 Depth=3
	s_or_b32 exec_lo, exec_lo, s34
.LBB2_6027:                             ;   in Loop: Header=BB2_5650 Depth=3
	s_delay_alu instid0(SALU_CYCLE_1) | instskip(SKIP_3) | instid1(VALU_DEP_1)
	s_or_b32 exec_lo, exec_lo, s31
	v_and_b32_e32 v166, 0xff, v146
	s_mov_b32 s14, 0
	s_mov_b32 s34, exec_lo
                                        ; implicit-def: $sgpr31
	v_cmpx_lt_i16_e64 0x7f, v166
	s_xor_b32 s34, exec_lo, s34
	s_cbranch_execnz .LBB2_6257
; %bb.6028:                             ;   in Loop: Header=BB2_5650 Depth=3
	s_or_saveexec_b32 s34, s34
	v_mov_b32_e32 v165, s31
	s_xor_b32 exec_lo, exec_lo, s34
	s_cbranch_execnz .LBB2_6260
.LBB2_6029:                             ;   in Loop: Header=BB2_5650 Depth=3
	s_or_b32 exec_lo, exec_lo, s34
	s_and_saveexec_b32 s31, s14
	s_cbranch_execz .LBB2_6031
.LBB2_6030:                             ;   in Loop: Header=BB2_5650 Depth=3
	v_lshlrev_b32_e32 v146, 8, v146
	s_delay_alu instid0(VALU_DEP_1) | instskip(SKIP_1) | instid1(VALU_DEP_2)
	v_and_b32_e32 v165, 0xff00, v146
	v_bfe_u32 v146, v146, 10, 5
	v_bfe_u32 v167, v165, 8, 2
	s_delay_alu instid0(VALU_DEP_2) | instskip(NEXT) | instid1(VALU_DEP_2)
	v_cmp_eq_u32_e32 vcc_lo, 0, v146
	v_clz_i32_u32_e32 v176, v167
	s_delay_alu instid0(VALU_DEP_1) | instskip(NEXT) | instid1(VALU_DEP_1)
	v_min_u32_e32 v176, 32, v176
	v_subrev_nc_u32_e32 v177, 29, v176
	v_sub_nc_u32_e32 v176, 30, v176
	s_delay_alu instid0(VALU_DEP_2) | instskip(NEXT) | instid1(VALU_DEP_2)
	v_lshlrev_b32_e32 v166, v177, v166
	v_cndmask_b32_e32 v146, v146, v176, vcc_lo
	s_delay_alu instid0(VALU_DEP_2) | instskip(SKIP_1) | instid1(VALU_DEP_3)
	v_and_b32_e32 v166, 3, v166
	v_lshlrev_b32_e32 v165, 16, v165
	v_lshl_add_u32 v146, v146, 23, 0x37800000
	s_delay_alu instid0(VALU_DEP_2) | instskip(NEXT) | instid1(VALU_DEP_1)
	v_dual_cndmask_b32 v166, v167, v166 :: v_dual_and_b32 v165, 0x80000000, v165
	v_lshlrev_b32_e32 v166, 21, v166
	s_delay_alu instid0(VALU_DEP_1)
	v_or3_b32 v165, v165, v146, v166
.LBB2_6031:                             ;   in Loop: Header=BB2_5650 Depth=3
	s_or_b32 exec_lo, exec_lo, s31
	v_lshrrev_b32_e32 v146, 24, v10
	s_mov_b32 s14, 0
	s_mov_b32 s34, exec_lo
                                        ; implicit-def: $sgpr31
	s_delay_alu instid0(VALU_DEP_1)
	v_cmpx_lt_i16_e64 0x7f, v146
	s_xor_b32 s34, exec_lo, s34
	s_cbranch_execnz .LBB2_6261
; %bb.6032:                             ;   in Loop: Header=BB2_5650 Depth=3
	s_or_saveexec_b32 s34, s34
	v_mov_b32_e32 v166, s31
	s_xor_b32 exec_lo, exec_lo, s34
	s_cbranch_execnz .LBB2_6264
.LBB2_6033:                             ;   in Loop: Header=BB2_5650 Depth=3
	s_or_b32 exec_lo, exec_lo, s34
	s_and_saveexec_b32 s31, s14
	s_cbranch_execz .LBB2_6035
.LBB2_6034:                             ;   in Loop: Header=BB2_5650 Depth=3
	v_bfe_u32 v166, v10, 24, 2
	s_delay_alu instid0(VALU_DEP_1) | instskip(NEXT) | instid1(VALU_DEP_1)
	v_clz_i32_u32_e32 v167, v166
	v_min_u32_e32 v167, 32, v167
	s_delay_alu instid0(VALU_DEP_1) | instskip(SKIP_1) | instid1(VALU_DEP_2)
	v_subrev_nc_u32_e32 v176, 29, v167
	v_sub_nc_u32_e32 v167, 30, v167
	v_lshlrev_b32_e32 v146, v176, v146
	v_bfe_u32 v176, v10, 26, 5
	v_and_b32_e32 v10, 0x80000000, v10
	s_delay_alu instid0(VALU_DEP_2) | instskip(NEXT) | instid1(VALU_DEP_4)
	v_cmp_eq_u32_e32 vcc_lo, 0, v176
	v_dual_cndmask_b32 v167, v176, v167 :: v_dual_and_b32 v146, 3, v146
	s_delay_alu instid0(VALU_DEP_1) | instskip(NEXT) | instid1(VALU_DEP_2)
	v_cndmask_b32_e32 v146, v166, v146, vcc_lo
	v_lshl_add_u32 v166, v167, 23, 0x37800000
	s_delay_alu instid0(VALU_DEP_2) | instskip(NEXT) | instid1(VALU_DEP_1)
	v_lshlrev_b32_e32 v146, 21, v146
	v_or3_b32 v166, v10, v166, v146
.LBB2_6035:                             ;   in Loop: Header=BB2_5650 Depth=3
	s_or_b32 exec_lo, exec_lo, s31
	s_delay_alu instid0(VALU_DEP_1) | instskip(NEXT) | instid1(VALU_DEP_1)
	v_add_f32_e32 v146, v165, v166
	v_and_b32_e32 v10, 0x7f800000, v146
	s_delay_alu instid0(VALU_DEP_1)
	v_cmp_ne_u32_e32 vcc_lo, 0x7f800000, v10
	v_mov_b32_e32 v10, 0x80
	s_and_saveexec_b32 s31, vcc_lo
	s_cbranch_execz .LBB2_6043
; %bb.6036:                             ;   in Loop: Header=BB2_5650 Depth=3
	v_mov_b32_e32 v10, 0
	s_mov_b32 s34, exec_lo
	v_cmpx_ne_u32_e32 0, v146
	s_cbranch_execz .LBB2_6042
; %bb.6037:                             ;   in Loop: Header=BB2_5650 Depth=3
	v_bfe_u32 v10, v146, 23, 8
	v_and_b32_e32 v165, 0x7fffff, v146
	s_delay_alu instid0(VALU_DEP_2) | instskip(SKIP_1) | instid1(VALU_DEP_3)
	v_sub_nc_u32_e32 v166, 0x70, v10
	v_cmp_gt_u32_e32 vcc_lo, 0x71, v10
	v_or_b32_e32 v167, 0x800000, v165
	s_delay_alu instid0(VALU_DEP_3) | instskip(SKIP_1) | instid1(VALU_DEP_3)
	v_cndmask_b32_e32 v166, 0, v166, vcc_lo
	v_cmp_eq_u32_e32 vcc_lo, 0, v10
	v_dual_cndmask_b32 v165, v167, v165 :: v_dual_add_nc_u32 v10, 0xffffff91, v10
	s_delay_alu instid0(VALU_DEP_3) | instskip(NEXT) | instid1(VALU_DEP_2)
	v_cndmask_b32_e64 v166, v166, 0x6f, vcc_lo
	v_cndmask_b32_e64 v10, v10, 0xffffff92, vcc_lo
	s_delay_alu instid0(VALU_DEP_2) | instskip(SKIP_2) | instid1(VALU_DEP_4)
	v_lshrrev_b32_e32 v176, v166, v165
	v_lshl_add_u32 v167, 0x200000, v166, -1
	v_lshlrev_b32_e64 v178, v166, 0x100000
	v_add_nc_u32_e32 v166, v166, v10
	s_delay_alu instid0(VALU_DEP_4) | instskip(NEXT) | instid1(VALU_DEP_4)
	v_bfe_u32 v177, v176, 21, 1
	v_and_b32_e32 v165, v167, v165
	s_delay_alu instid0(VALU_DEP_2) | instskip(NEXT) | instid1(VALU_DEP_2)
	v_add_nc_u32_e32 v167, -1, v177
	v_cmp_eq_u32_e64 s14, v165, v178
	s_delay_alu instid0(VALU_DEP_1) | instskip(SKIP_2) | instid1(VALU_DEP_2)
	v_cndmask_b32_e64 v165, 0, v167, s14
	v_lshrrev_b32_e32 v167, 23, v176
	s_mov_b32 s14, exec_lo
	v_add_nc_u32_e32 v165, v165, v176
	s_delay_alu instid0(VALU_DEP_2) | instskip(NEXT) | instid1(VALU_DEP_2)
	v_xor_b32_e32 v167, 1, v167
	v_and_b32_e32 v10, 0x1fffff, v165
	s_delay_alu instid0(VALU_DEP_1) | instskip(NEXT) | instid1(VALU_DEP_3)
	v_add_nc_u32_e32 v165, v10, v176
                                        ; implicit-def: $vgpr10
	v_cmpx_ne_u32_e64 v166, v167
	s_xor_b32 s14, exec_lo, s14
; %bb.6038:                             ;   in Loop: Header=BB2_5650 Depth=3
	s_delay_alu instid0(VALU_DEP_2) | instskip(SKIP_2) | instid1(VALU_DEP_2)
	v_cmp_lt_u32_e32 vcc_lo, 0xffffff, v165
	v_sub_nc_u32_e32 v10, v166, v167
	v_cndmask_b32_e64 v166, 0, 1, vcc_lo
	v_add_co_ci_u32_e32 v10, vcc_lo, 0, v10, vcc_lo
	s_delay_alu instid0(VALU_DEP_2)
	v_lshrrev_b32_e32 v165, v166, v165
; %bb.6039:                             ;   in Loop: Header=BB2_5650 Depth=3
	s_and_not1_saveexec_b32 s14, s14
; %bb.6040:                             ;   in Loop: Header=BB2_5650 Depth=3
	s_delay_alu instid0(VALU_DEP_1)
	v_bfe_u32 v10, v165, 23, 1
; %bb.6041:                             ;   in Loop: Header=BB2_5650 Depth=3
	s_or_b32 exec_lo, exec_lo, s14
	v_lshrrev_b32_e32 v165, 21, v165
	s_delay_alu instid0(VALU_DEP_2) | instskip(SKIP_2) | instid1(VALU_DEP_2)
	v_cmp_gt_i32_e32 vcc_lo, 32, v10
	v_lshrrev_b32_e32 v146, 24, v146
	v_min_i32_e32 v166, 31, v10
	v_dual_cndmask_b32 v165, 3, v165 :: v_dual_and_b32 v146, 0x80, v146
	s_delay_alu instid0(VALU_DEP_2) | instskip(NEXT) | instid1(VALU_DEP_2)
	v_lshlrev_b32_e32 v166, 2, v166
	v_or_b32_e32 v10, v10, v165
	s_delay_alu instid0(VALU_DEP_1) | instskip(SKIP_1) | instid1(VALU_DEP_1)
	v_cmp_ne_u32_e32 vcc_lo, 0, v10
	v_and_b32_e32 v167, 3, v165
	v_or3_b32 v146, v166, v146, v167
	s_delay_alu instid0(VALU_DEP_1)
	v_cndmask_b32_e32 v10, 0, v146, vcc_lo
.LBB2_6042:                             ;   in Loop: Header=BB2_5650 Depth=3
	s_or_b32 exec_lo, exec_lo, s34
.LBB2_6043:                             ;   in Loop: Header=BB2_5650 Depth=3
	s_delay_alu instid0(SALU_CYCLE_1) | instskip(SKIP_3) | instid1(VALU_DEP_1)
	s_or_b32 exec_lo, exec_lo, s31
	v_or_b32_e32 v146, v151, v145
	s_mov_b32 s14, 0
	s_mov_b32 s34, exec_lo
                                        ; implicit-def: $sgpr31
	v_and_b32_e32 v151, 0xff, v146
	s_delay_alu instid0(VALU_DEP_1)
	v_cmpx_lt_i16_e64 0x7f, v151
	s_xor_b32 s34, exec_lo, s34
	s_cbranch_execnz .LBB2_6265
; %bb.6044:                             ;   in Loop: Header=BB2_5650 Depth=3
	s_or_saveexec_b32 s34, s34
	v_mov_b32_e32 v145, s31
	s_xor_b32 exec_lo, exec_lo, s34
	s_cbranch_execnz .LBB2_6268
.LBB2_6045:                             ;   in Loop: Header=BB2_5650 Depth=3
	s_or_b32 exec_lo, exec_lo, s34
	s_and_saveexec_b32 s31, s14
	s_cbranch_execz .LBB2_6047
.LBB2_6046:                             ;   in Loop: Header=BB2_5650 Depth=3
	v_and_b32_e32 v145, 3, v146
	v_bfe_u32 v166, v146, 2, 5
	v_lshlrev_b32_e32 v167, 24, v146
	s_delay_alu instid0(VALU_DEP_3) | instskip(NEXT) | instid1(VALU_DEP_3)
	v_clz_i32_u32_e32 v151, v145
	v_cmp_eq_u32_e32 vcc_lo, 0, v166
	s_delay_alu instid0(VALU_DEP_2) | instskip(NEXT) | instid1(VALU_DEP_1)
	v_min_u32_e32 v151, 32, v151
	v_subrev_nc_u32_e32 v165, 29, v151
	v_sub_nc_u32_e32 v151, 30, v151
	s_delay_alu instid0(VALU_DEP_2) | instskip(NEXT) | instid1(VALU_DEP_2)
	v_lshlrev_b32_e32 v165, v165, v146
	v_cndmask_b32_e32 v151, v166, v151, vcc_lo
	s_delay_alu instid0(VALU_DEP_2) | instskip(NEXT) | instid1(VALU_DEP_2)
	v_and_b32_e32 v165, 3, v165
	v_lshl_add_u32 v151, v151, 23, 0x37800000
	s_delay_alu instid0(VALU_DEP_2) | instskip(SKIP_1) | instid1(VALU_DEP_2)
	v_cndmask_b32_e32 v145, v145, v165, vcc_lo
	v_and_b32_e32 v165, 0x80000000, v167
	v_lshlrev_b32_e32 v145, 21, v145
	s_delay_alu instid0(VALU_DEP_1)
	v_or3_b32 v145, v165, v151, v145
.LBB2_6047:                             ;   in Loop: Header=BB2_5650 Depth=3
	s_or_b32 exec_lo, exec_lo, s31
	v_and_b32_e32 v165, 0xff, v11
	s_mov_b32 s14, 0
	s_mov_b32 s34, exec_lo
                                        ; implicit-def: $sgpr31
	s_delay_alu instid0(VALU_DEP_1)
	v_cmpx_lt_i16_e64 0x7f, v165
	s_xor_b32 s34, exec_lo, s34
	s_cbranch_execnz .LBB2_6269
; %bb.6048:                             ;   in Loop: Header=BB2_5650 Depth=3
	s_or_saveexec_b32 s34, s34
	v_mov_b32_e32 v151, s31
	s_xor_b32 exec_lo, exec_lo, s34
	s_cbranch_execnz .LBB2_6272
.LBB2_6049:                             ;   in Loop: Header=BB2_5650 Depth=3
	s_or_b32 exec_lo, exec_lo, s34
	s_and_saveexec_b32 s31, s14
	s_cbranch_execz .LBB2_6051
.LBB2_6050:                             ;   in Loop: Header=BB2_5650 Depth=3
	v_and_b32_e32 v151, 3, v11
	v_bfe_u32 v167, v11, 2, 5
	s_delay_alu instid0(VALU_DEP_2) | instskip(NEXT) | instid1(VALU_DEP_2)
	v_clz_i32_u32_e32 v165, v151
	v_cmp_eq_u32_e32 vcc_lo, 0, v167
	s_delay_alu instid0(VALU_DEP_2) | instskip(NEXT) | instid1(VALU_DEP_1)
	v_min_u32_e32 v165, 32, v165
	v_subrev_nc_u32_e32 v166, 29, v165
	v_sub_nc_u32_e32 v165, 30, v165
	s_delay_alu instid0(VALU_DEP_1) | instskip(NEXT) | instid1(VALU_DEP_1)
	v_dual_cndmask_b32 v165, v167, v165 :: v_dual_lshlrev_b32 v166, v166, v11
	v_and_b32_e32 v166, 3, v166
	v_lshlrev_b32_e32 v176, 24, v11
	s_delay_alu instid0(VALU_DEP_3) | instskip(NEXT) | instid1(VALU_DEP_2)
	v_lshl_add_u32 v165, v165, 23, 0x37800000
	v_dual_cndmask_b32 v151, v151, v166 :: v_dual_and_b32 v166, 0x80000000, v176
	s_delay_alu instid0(VALU_DEP_1) | instskip(NEXT) | instid1(VALU_DEP_1)
	v_lshlrev_b32_e32 v151, 21, v151
	v_or3_b32 v151, v166, v165, v151
.LBB2_6051:                             ;   in Loop: Header=BB2_5650 Depth=3
	s_or_b32 exec_lo, exec_lo, s31
	s_delay_alu instid0(VALU_DEP_1) | instskip(NEXT) | instid1(VALU_DEP_1)
	v_add_f32_e32 v151, v145, v151
	v_and_b32_e32 v145, 0x7f800000, v151
	s_delay_alu instid0(VALU_DEP_1)
	v_cmp_ne_u32_e32 vcc_lo, 0x7f800000, v145
	v_mov_b32_e32 v145, 0x80
	s_and_saveexec_b32 s31, vcc_lo
	s_cbranch_execz .LBB2_6059
; %bb.6052:                             ;   in Loop: Header=BB2_5650 Depth=3
	v_mov_b32_e32 v145, 0
	s_mov_b32 s34, exec_lo
	v_cmpx_ne_u32_e32 0, v151
	s_cbranch_execz .LBB2_6058
; %bb.6053:                             ;   in Loop: Header=BB2_5650 Depth=3
	v_bfe_u32 v145, v151, 23, 8
	s_delay_alu instid0(VALU_DEP_1) | instskip(SKIP_1) | instid1(VALU_DEP_2)
	v_sub_nc_u32_e32 v166, 0x70, v145
	v_cmp_gt_u32_e32 vcc_lo, 0x71, v145
	v_dual_cndmask_b32 v166, 0, v166 :: v_dual_and_b32 v165, 0x7fffff, v151
	s_delay_alu instid0(VALU_DEP_1) | instskip(SKIP_2) | instid1(VALU_DEP_4)
	v_or_b32_e32 v167, 0x800000, v165
	v_cmp_eq_u32_e32 vcc_lo, 0, v145
	v_add_nc_u32_e32 v145, 0xffffff91, v145
	v_cndmask_b32_e64 v166, v166, 0x6f, vcc_lo
	s_delay_alu instid0(VALU_DEP_4) | instskip(NEXT) | instid1(VALU_DEP_3)
	v_cndmask_b32_e32 v165, v167, v165, vcc_lo
	v_cndmask_b32_e64 v145, v145, 0xffffff92, vcc_lo
	s_delay_alu instid0(VALU_DEP_3) | instskip(NEXT) | instid1(VALU_DEP_3)
	v_lshl_add_u32 v167, 0x200000, v166, -1
	v_lshrrev_b32_e32 v176, v166, v165
	v_lshlrev_b32_e64 v178, v166, 0x100000
	s_delay_alu instid0(VALU_DEP_4) | instskip(NEXT) | instid1(VALU_DEP_4)
	v_add_nc_u32_e32 v166, v166, v145
	v_and_b32_e32 v165, v167, v165
	s_delay_alu instid0(VALU_DEP_4) | instskip(NEXT) | instid1(VALU_DEP_2)
	v_bfe_u32 v177, v176, 21, 1
	v_cmp_eq_u32_e64 s14, v165, v178
	s_delay_alu instid0(VALU_DEP_2) | instskip(NEXT) | instid1(VALU_DEP_1)
	v_add_nc_u32_e32 v167, -1, v177
	v_cndmask_b32_e64 v165, 0, v167, s14
	v_lshrrev_b32_e32 v167, 23, v176
	s_mov_b32 s14, exec_lo
	s_delay_alu instid0(VALU_DEP_2) | instskip(NEXT) | instid1(VALU_DEP_2)
	v_add_nc_u32_e32 v165, v165, v176
	v_xor_b32_e32 v167, 1, v167
	s_delay_alu instid0(VALU_DEP_2) | instskip(NEXT) | instid1(VALU_DEP_1)
	v_and_b32_e32 v145, 0x1fffff, v165
	v_add_nc_u32_e32 v165, v145, v176
                                        ; implicit-def: $vgpr145
	s_delay_alu instid0(VALU_DEP_3)
	v_cmpx_ne_u32_e64 v166, v167
	s_xor_b32 s14, exec_lo, s14
; %bb.6054:                             ;   in Loop: Header=BB2_5650 Depth=3
	s_delay_alu instid0(VALU_DEP_2) | instskip(SKIP_2) | instid1(VALU_DEP_2)
	v_cmp_lt_u32_e32 vcc_lo, 0xffffff, v165
	v_sub_nc_u32_e32 v145, v166, v167
	v_cndmask_b32_e64 v166, 0, 1, vcc_lo
	v_add_co_ci_u32_e32 v145, vcc_lo, 0, v145, vcc_lo
	s_delay_alu instid0(VALU_DEP_2)
	v_lshrrev_b32_e32 v165, v166, v165
; %bb.6055:                             ;   in Loop: Header=BB2_5650 Depth=3
	s_and_not1_saveexec_b32 s14, s14
; %bb.6056:                             ;   in Loop: Header=BB2_5650 Depth=3
	s_delay_alu instid0(VALU_DEP_1)
	v_bfe_u32 v145, v165, 23, 1
; %bb.6057:                             ;   in Loop: Header=BB2_5650 Depth=3
	s_or_b32 exec_lo, exec_lo, s14
	v_lshrrev_b32_e32 v165, 21, v165
	s_delay_alu instid0(VALU_DEP_2) | instskip(SKIP_2) | instid1(VALU_DEP_4)
	v_cmp_gt_i32_e32 vcc_lo, 32, v145
	v_lshrrev_b32_e32 v151, 24, v151
	v_min_i32_e32 v166, 31, v145
	v_cndmask_b32_e32 v165, 3, v165, vcc_lo
	s_delay_alu instid0(VALU_DEP_3) | instskip(NEXT) | instid1(VALU_DEP_3)
	v_and_b32_e32 v151, 0x80, v151
	v_lshlrev_b32_e32 v166, 2, v166
	s_delay_alu instid0(VALU_DEP_3) | instskip(SKIP_1) | instid1(VALU_DEP_2)
	v_and_b32_e32 v167, 3, v165
	v_or_b32_e32 v145, v145, v165
	v_or3_b32 v151, v166, v151, v167
	s_delay_alu instid0(VALU_DEP_2) | instskip(NEXT) | instid1(VALU_DEP_2)
	v_cmp_ne_u32_e32 vcc_lo, 0, v145
	v_cndmask_b32_e32 v145, 0, v151, vcc_lo
.LBB2_6058:                             ;   in Loop: Header=BB2_5650 Depth=3
	s_or_b32 exec_lo, exec_lo, s34
.LBB2_6059:                             ;   in Loop: Header=BB2_5650 Depth=3
	s_delay_alu instid0(SALU_CYCLE_1) | instskip(SKIP_3) | instid1(VALU_DEP_1)
	s_or_b32 exec_lo, exec_lo, s31
	v_lshrrev_b16 v165, 8, v146
	s_mov_b32 s14, 0
	s_mov_b32 s34, exec_lo
                                        ; implicit-def: $sgpr31
	v_cmpx_lt_i16_e64 0x7f, v165
	s_xor_b32 s34, exec_lo, s34
	s_cbranch_execnz .LBB2_6273
; %bb.6060:                             ;   in Loop: Header=BB2_5650 Depth=3
	s_or_saveexec_b32 s34, s34
	v_mov_b32_e32 v151, s31
	s_xor_b32 exec_lo, exec_lo, s34
	s_cbranch_execnz .LBB2_6276
.LBB2_6061:                             ;   in Loop: Header=BB2_5650 Depth=3
	s_or_b32 exec_lo, exec_lo, s34
	s_and_saveexec_b32 s31, s14
	s_cbranch_execz .LBB2_6063
.LBB2_6062:                             ;   in Loop: Header=BB2_5650 Depth=3
	v_and_b32_e32 v151, 0xffff, v165
	v_lshlrev_b32_e32 v165, 24, v165
	s_delay_alu instid0(VALU_DEP_2) | instskip(NEXT) | instid1(VALU_DEP_2)
	v_and_b32_e32 v166, 3, v151
	v_and_b32_e32 v165, 0x80000000, v165
	s_delay_alu instid0(VALU_DEP_2) | instskip(NEXT) | instid1(VALU_DEP_1)
	v_clz_i32_u32_e32 v167, v166
	v_min_u32_e32 v167, 32, v167
	s_delay_alu instid0(VALU_DEP_1) | instskip(SKIP_1) | instid1(VALU_DEP_2)
	v_subrev_nc_u32_e32 v176, 29, v167
	v_sub_nc_u32_e32 v167, 30, v167
	v_lshlrev_b32_e32 v176, v176, v151
	v_bfe_u32 v151, v151, 2, 5
	s_delay_alu instid0(VALU_DEP_1) | instskip(NEXT) | instid1(VALU_DEP_3)
	v_cmp_eq_u32_e32 vcc_lo, 0, v151
	v_dual_cndmask_b32 v151, v151, v167 :: v_dual_and_b32 v176, 3, v176
	s_delay_alu instid0(VALU_DEP_1) | instskip(NEXT) | instid1(VALU_DEP_2)
	v_cndmask_b32_e32 v166, v166, v176, vcc_lo
	v_lshl_add_u32 v151, v151, 23, 0x37800000
	s_delay_alu instid0(VALU_DEP_2) | instskip(NEXT) | instid1(VALU_DEP_1)
	v_lshlrev_b32_e32 v166, 21, v166
	v_or3_b32 v151, v165, v151, v166
.LBB2_6063:                             ;   in Loop: Header=BB2_5650 Depth=3
	s_or_b32 exec_lo, exec_lo, s31
	v_lshrrev_b16 v165, 8, v11
	s_mov_b32 s14, 0
	s_mov_b32 s34, exec_lo
                                        ; implicit-def: $sgpr31
	s_delay_alu instid0(VALU_DEP_1)
	v_cmpx_lt_i16_e64 0x7f, v165
	s_xor_b32 s34, exec_lo, s34
	s_cbranch_execnz .LBB2_6277
; %bb.6064:                             ;   in Loop: Header=BB2_5650 Depth=3
	s_or_saveexec_b32 s34, s34
	v_mov_b32_e32 v166, s31
	s_xor_b32 exec_lo, exec_lo, s34
	s_cbranch_execnz .LBB2_6280
.LBB2_6065:                             ;   in Loop: Header=BB2_5650 Depth=3
	s_or_b32 exec_lo, exec_lo, s34
	s_and_saveexec_b32 s31, s14
	s_cbranch_execz .LBB2_6067
.LBB2_6066:                             ;   in Loop: Header=BB2_5650 Depth=3
	v_and_b32_e32 v166, 0xffff, v165
	v_lshlrev_b32_e32 v165, 24, v165
	s_delay_alu instid0(VALU_DEP_2) | instskip(NEXT) | instid1(VALU_DEP_2)
	v_and_b32_e32 v167, 3, v166
	v_and_b32_e32 v165, 0x80000000, v165
	s_delay_alu instid0(VALU_DEP_2) | instskip(NEXT) | instid1(VALU_DEP_1)
	v_clz_i32_u32_e32 v176, v167
	v_min_u32_e32 v176, 32, v176
	s_delay_alu instid0(VALU_DEP_1) | instskip(SKIP_1) | instid1(VALU_DEP_2)
	v_subrev_nc_u32_e32 v177, 29, v176
	v_sub_nc_u32_e32 v176, 30, v176
	v_lshlrev_b32_e32 v177, v177, v166
	v_bfe_u32 v166, v166, 2, 5
	s_delay_alu instid0(VALU_DEP_2) | instskip(NEXT) | instid1(VALU_DEP_2)
	v_and_b32_e32 v177, 3, v177
	v_cmp_eq_u32_e32 vcc_lo, 0, v166
	s_delay_alu instid0(VALU_DEP_2) | instskip(NEXT) | instid1(VALU_DEP_1)
	v_dual_cndmask_b32 v166, v166, v176 :: v_dual_cndmask_b32 v167, v167, v177
	v_lshl_add_u32 v166, v166, 23, 0x37800000
	s_delay_alu instid0(VALU_DEP_2) | instskip(NEXT) | instid1(VALU_DEP_1)
	v_lshlrev_b32_e32 v167, 21, v167
	v_or3_b32 v166, v165, v166, v167
.LBB2_6067:                             ;   in Loop: Header=BB2_5650 Depth=3
	s_or_b32 exec_lo, exec_lo, s31
	s_delay_alu instid0(VALU_DEP_1) | instskip(NEXT) | instid1(VALU_DEP_1)
	v_add_f32_e32 v165, v151, v166
	v_and_b32_e32 v151, 0x7f800000, v165
	s_delay_alu instid0(VALU_DEP_1)
	v_cmp_ne_u32_e32 vcc_lo, 0x7f800000, v151
	v_mov_b32_e32 v151, 0x8000
	s_and_saveexec_b32 s31, vcc_lo
	s_cbranch_execz .LBB2_6075
; %bb.6068:                             ;   in Loop: Header=BB2_5650 Depth=3
	v_mov_b32_e32 v151, 0
	s_mov_b32 s34, exec_lo
	v_cmpx_ne_u32_e32 0, v165
	s_cbranch_execz .LBB2_6074
; %bb.6069:                             ;   in Loop: Header=BB2_5650 Depth=3
	v_bfe_u32 v151, v165, 23, 8
	s_delay_alu instid0(VALU_DEP_1) | instskip(SKIP_1) | instid1(VALU_DEP_2)
	v_sub_nc_u32_e32 v167, 0x70, v151
	v_cmp_gt_u32_e32 vcc_lo, 0x71, v151
	v_dual_cndmask_b32 v167, 0, v167 :: v_dual_and_b32 v166, 0x7fffff, v165
	s_delay_alu instid0(VALU_DEP_1) | instskip(SKIP_2) | instid1(VALU_DEP_4)
	v_or_b32_e32 v176, 0x800000, v166
	v_cmp_eq_u32_e32 vcc_lo, 0, v151
	v_add_nc_u32_e32 v151, 0xffffff91, v151
	v_cndmask_b32_e64 v167, v167, 0x6f, vcc_lo
	s_delay_alu instid0(VALU_DEP_4) | instskip(NEXT) | instid1(VALU_DEP_3)
	v_cndmask_b32_e32 v166, v176, v166, vcc_lo
	v_cndmask_b32_e64 v151, v151, 0xffffff92, vcc_lo
	s_delay_alu instid0(VALU_DEP_3) | instskip(NEXT) | instid1(VALU_DEP_3)
	v_lshl_add_u32 v176, 0x200000, v167, -1
	v_lshrrev_b32_e32 v177, v167, v166
	v_lshlrev_b32_e64 v179, v167, 0x100000
	s_delay_alu instid0(VALU_DEP_4) | instskip(NEXT) | instid1(VALU_DEP_4)
	v_add_nc_u32_e32 v167, v167, v151
	v_and_b32_e32 v166, v176, v166
	s_delay_alu instid0(VALU_DEP_4) | instskip(NEXT) | instid1(VALU_DEP_2)
	v_bfe_u32 v178, v177, 21, 1
	v_cmp_eq_u32_e64 s14, v166, v179
	s_delay_alu instid0(VALU_DEP_2) | instskip(NEXT) | instid1(VALU_DEP_1)
	v_add_nc_u32_e32 v176, -1, v178
	v_cndmask_b32_e64 v166, 0, v176, s14
	v_lshrrev_b32_e32 v176, 23, v177
	s_mov_b32 s14, exec_lo
	s_delay_alu instid0(VALU_DEP_2) | instskip(NEXT) | instid1(VALU_DEP_2)
	v_add_nc_u32_e32 v166, v166, v177
	v_xor_b32_e32 v176, 1, v176
	s_delay_alu instid0(VALU_DEP_2) | instskip(NEXT) | instid1(VALU_DEP_1)
	v_and_b32_e32 v151, 0x1fffff, v166
	v_add_nc_u32_e32 v166, v151, v177
                                        ; implicit-def: $vgpr151
	s_delay_alu instid0(VALU_DEP_3)
	v_cmpx_ne_u32_e64 v167, v176
	s_xor_b32 s14, exec_lo, s14
; %bb.6070:                             ;   in Loop: Header=BB2_5650 Depth=3
	s_delay_alu instid0(VALU_DEP_2) | instskip(SKIP_2) | instid1(VALU_DEP_2)
	v_cmp_lt_u32_e32 vcc_lo, 0xffffff, v166
	v_sub_nc_u32_e32 v151, v167, v176
	v_cndmask_b32_e64 v167, 0, 1, vcc_lo
	v_add_co_ci_u32_e32 v151, vcc_lo, 0, v151, vcc_lo
	s_delay_alu instid0(VALU_DEP_2)
	v_lshrrev_b32_e32 v166, v167, v166
; %bb.6071:                             ;   in Loop: Header=BB2_5650 Depth=3
	s_and_not1_saveexec_b32 s14, s14
; %bb.6072:                             ;   in Loop: Header=BB2_5650 Depth=3
	s_delay_alu instid0(VALU_DEP_1)
	v_bfe_u32 v151, v166, 23, 1
; %bb.6073:                             ;   in Loop: Header=BB2_5650 Depth=3
	s_or_b32 exec_lo, exec_lo, s14
	v_lshrrev_b32_e32 v166, 21, v166
	s_delay_alu instid0(VALU_DEP_2) | instskip(SKIP_2) | instid1(VALU_DEP_2)
	v_cmp_gt_i32_e32 vcc_lo, 32, v151
	v_min_i32_e32 v167, 31, v151
	v_lshrrev_b32_e32 v165, 24, v165
	v_dual_cndmask_b32 v166, 3, v166 :: v_dual_lshlrev_b32 v167, 2, v167
	s_delay_alu instid0(VALU_DEP_2) | instskip(NEXT) | instid1(VALU_DEP_2)
	v_and_b32_e32 v165, 0x80, v165
	v_or_b32_e32 v151, v151, v166
	s_delay_alu instid0(VALU_DEP_3) | instskip(NEXT) | instid1(VALU_DEP_2)
	v_and_b32_e32 v167, 0xfc, v167
	v_cmp_ne_u32_e32 vcc_lo, 0, v151
	v_and_b32_e32 v176, 3, v166
	s_delay_alu instid0(VALU_DEP_1) | instskip(NEXT) | instid1(VALU_DEP_1)
	v_or3_b32 v165, v165, v167, v176
	v_lshlrev_b32_e32 v165, 8, v165
	s_delay_alu instid0(VALU_DEP_1)
	v_cndmask_b32_e32 v151, 0, v165, vcc_lo
.LBB2_6074:                             ;   in Loop: Header=BB2_5650 Depth=3
	s_or_b32 exec_lo, exec_lo, s34
.LBB2_6075:                             ;   in Loop: Header=BB2_5650 Depth=3
	s_delay_alu instid0(SALU_CYCLE_1) | instskip(SKIP_3) | instid1(VALU_DEP_1)
	s_or_b32 exec_lo, exec_lo, s31
	v_or_b32_e32 v148, v148, v144
	s_mov_b32 s14, 0
	s_mov_b32 s34, exec_lo
                                        ; implicit-def: $sgpr31
	v_and_b32_e32 v165, 0xff, v148
	s_delay_alu instid0(VALU_DEP_1)
	v_cmpx_lt_i16_e64 0x7f, v165
	s_xor_b32 s34, exec_lo, s34
	s_cbranch_execnz .LBB2_6281
; %bb.6076:                             ;   in Loop: Header=BB2_5650 Depth=3
	s_or_saveexec_b32 s34, s34
	v_mov_b32_e32 v144, s31
	s_xor_b32 exec_lo, exec_lo, s34
	s_cbranch_execnz .LBB2_6284
.LBB2_6077:                             ;   in Loop: Header=BB2_5650 Depth=3
	s_or_b32 exec_lo, exec_lo, s34
	v_lshl_or_b32 v146, v148, 16, v146
	s_and_saveexec_b32 s31, s14
	s_cbranch_execz .LBB2_6079
.LBB2_6078:                             ;   in Loop: Header=BB2_5650 Depth=3
	s_delay_alu instid0(VALU_DEP_1) | instskip(SKIP_1) | instid1(VALU_DEP_2)
	v_bfe_u32 v144, v146, 16, 2
	v_lshrrev_b32_e32 v165, 16, v146
	v_clz_i32_u32_e32 v148, v144
	s_delay_alu instid0(VALU_DEP_1) | instskip(NEXT) | instid1(VALU_DEP_1)
	v_min_u32_e32 v148, 32, v148
	v_subrev_nc_u32_e32 v166, 29, v148
	v_sub_nc_u32_e32 v148, 30, v148
	s_delay_alu instid0(VALU_DEP_2) | instskip(SKIP_1) | instid1(VALU_DEP_1)
	v_lshlrev_b32_e32 v165, v166, v165
	v_bfe_u32 v166, v146, 18, 5
	v_cmp_eq_u32_e32 vcc_lo, 0, v166
	s_delay_alu instid0(VALU_DEP_3) | instskip(NEXT) | instid1(VALU_DEP_1)
	v_dual_cndmask_b32 v148, v166, v148 :: v_dual_and_b32 v165, 3, v165
	v_dual_cndmask_b32 v144, v144, v165 :: v_dual_lshlrev_b32 v167, 8, v146
	s_delay_alu instid0(VALU_DEP_2) | instskip(NEXT) | instid1(VALU_DEP_2)
	v_lshl_add_u32 v148, v148, 23, 0x37800000
	v_and_b32_e32 v165, 0x80000000, v167
	s_delay_alu instid0(VALU_DEP_3) | instskip(NEXT) | instid1(VALU_DEP_1)
	v_lshlrev_b32_e32 v144, 21, v144
	v_or3_b32 v144, v165, v148, v144
.LBB2_6079:                             ;   in Loop: Header=BB2_5650 Depth=3
	s_or_b32 exec_lo, exec_lo, s31
	v_lshrrev_b32_e32 v148, 16, v11
	s_mov_b32 s14, 0
	s_mov_b32 s34, exec_lo
                                        ; implicit-def: $sgpr31
	s_delay_alu instid0(VALU_DEP_1) | instskip(NEXT) | instid1(VALU_DEP_1)
	v_and_b32_e32 v166, 0xff, v148
	v_cmpx_lt_i16_e64 0x7f, v166
	s_xor_b32 s34, exec_lo, s34
	s_cbranch_execnz .LBB2_6285
; %bb.6080:                             ;   in Loop: Header=BB2_5650 Depth=3
	s_or_saveexec_b32 s34, s34
	v_mov_b32_e32 v165, s31
	s_xor_b32 exec_lo, exec_lo, s34
	s_cbranch_execnz .LBB2_6288
.LBB2_6081:                             ;   in Loop: Header=BB2_5650 Depth=3
	s_or_b32 exec_lo, exec_lo, s34
	s_and_saveexec_b32 s31, s14
	s_cbranch_execz .LBB2_6083
.LBB2_6082:                             ;   in Loop: Header=BB2_5650 Depth=3
	v_bfe_u32 v165, v11, 16, 2
	v_lshlrev_b32_e32 v176, 8, v11
	s_delay_alu instid0(VALU_DEP_2) | instskip(NEXT) | instid1(VALU_DEP_1)
	v_clz_i32_u32_e32 v166, v165
	v_min_u32_e32 v166, 32, v166
	s_delay_alu instid0(VALU_DEP_1) | instskip(SKIP_1) | instid1(VALU_DEP_2)
	v_subrev_nc_u32_e32 v167, 29, v166
	v_sub_nc_u32_e32 v166, 30, v166
	v_lshlrev_b32_e32 v148, v167, v148
	v_bfe_u32 v167, v11, 18, 5
	s_delay_alu instid0(VALU_DEP_2) | instskip(NEXT) | instid1(VALU_DEP_2)
	v_and_b32_e32 v148, 3, v148
	v_cmp_eq_u32_e32 vcc_lo, 0, v167
	v_cndmask_b32_e32 v166, v167, v166, vcc_lo
	s_delay_alu instid0(VALU_DEP_3) | instskip(SKIP_1) | instid1(VALU_DEP_3)
	v_cndmask_b32_e32 v148, v165, v148, vcc_lo
	v_and_b32_e32 v165, 0x80000000, v176
	v_lshl_add_u32 v166, v166, 23, 0x37800000
	s_delay_alu instid0(VALU_DEP_3) | instskip(NEXT) | instid1(VALU_DEP_1)
	v_lshlrev_b32_e32 v148, 21, v148
	v_or3_b32 v165, v165, v166, v148
.LBB2_6083:                             ;   in Loop: Header=BB2_5650 Depth=3
	s_or_b32 exec_lo, exec_lo, s31
	s_delay_alu instid0(VALU_DEP_1) | instskip(NEXT) | instid1(VALU_DEP_1)
	v_add_f32_e32 v148, v144, v165
	v_and_b32_e32 v144, 0x7f800000, v148
	s_delay_alu instid0(VALU_DEP_1)
	v_cmp_ne_u32_e32 vcc_lo, 0x7f800000, v144
	v_mov_b32_e32 v144, 0x80
	s_and_saveexec_b32 s31, vcc_lo
	s_cbranch_execz .LBB2_6091
; %bb.6084:                             ;   in Loop: Header=BB2_5650 Depth=3
	v_mov_b32_e32 v144, 0
	s_mov_b32 s34, exec_lo
	v_cmpx_ne_u32_e32 0, v148
	s_cbranch_execz .LBB2_6090
; %bb.6085:                             ;   in Loop: Header=BB2_5650 Depth=3
	v_bfe_u32 v144, v148, 23, 8
	s_delay_alu instid0(VALU_DEP_1) | instskip(SKIP_1) | instid1(VALU_DEP_2)
	v_sub_nc_u32_e32 v166, 0x70, v144
	v_cmp_gt_u32_e32 vcc_lo, 0x71, v144
	v_dual_cndmask_b32 v166, 0, v166 :: v_dual_and_b32 v165, 0x7fffff, v148
	s_delay_alu instid0(VALU_DEP_1) | instskip(SKIP_2) | instid1(VALU_DEP_4)
	v_or_b32_e32 v167, 0x800000, v165
	v_cmp_eq_u32_e32 vcc_lo, 0, v144
	v_add_nc_u32_e32 v144, 0xffffff91, v144
	v_cndmask_b32_e64 v166, v166, 0x6f, vcc_lo
	s_delay_alu instid0(VALU_DEP_4) | instskip(NEXT) | instid1(VALU_DEP_3)
	v_cndmask_b32_e32 v165, v167, v165, vcc_lo
	v_cndmask_b32_e64 v144, v144, 0xffffff92, vcc_lo
	s_delay_alu instid0(VALU_DEP_3) | instskip(NEXT) | instid1(VALU_DEP_3)
	v_lshl_add_u32 v167, 0x200000, v166, -1
	v_lshrrev_b32_e32 v176, v166, v165
	v_lshlrev_b32_e64 v178, v166, 0x100000
	s_delay_alu instid0(VALU_DEP_4) | instskip(NEXT) | instid1(VALU_DEP_4)
	v_add_nc_u32_e32 v166, v166, v144
	v_and_b32_e32 v165, v167, v165
	s_delay_alu instid0(VALU_DEP_4) | instskip(NEXT) | instid1(VALU_DEP_2)
	v_bfe_u32 v177, v176, 21, 1
	v_cmp_eq_u32_e64 s14, v165, v178
	s_delay_alu instid0(VALU_DEP_2) | instskip(NEXT) | instid1(VALU_DEP_1)
	v_add_nc_u32_e32 v167, -1, v177
	v_cndmask_b32_e64 v165, 0, v167, s14
	v_lshrrev_b32_e32 v167, 23, v176
	s_mov_b32 s14, exec_lo
	s_delay_alu instid0(VALU_DEP_2) | instskip(NEXT) | instid1(VALU_DEP_2)
	v_add_nc_u32_e32 v165, v165, v176
	v_xor_b32_e32 v167, 1, v167
	s_delay_alu instid0(VALU_DEP_2) | instskip(NEXT) | instid1(VALU_DEP_1)
	v_and_b32_e32 v144, 0x1fffff, v165
	v_add_nc_u32_e32 v165, v144, v176
                                        ; implicit-def: $vgpr144
	s_delay_alu instid0(VALU_DEP_3)
	v_cmpx_ne_u32_e64 v166, v167
	s_xor_b32 s14, exec_lo, s14
; %bb.6086:                             ;   in Loop: Header=BB2_5650 Depth=3
	s_delay_alu instid0(VALU_DEP_2) | instskip(SKIP_2) | instid1(VALU_DEP_2)
	v_cmp_lt_u32_e32 vcc_lo, 0xffffff, v165
	v_sub_nc_u32_e32 v144, v166, v167
	v_cndmask_b32_e64 v166, 0, 1, vcc_lo
	v_add_co_ci_u32_e32 v144, vcc_lo, 0, v144, vcc_lo
	s_delay_alu instid0(VALU_DEP_2)
	v_lshrrev_b32_e32 v165, v166, v165
; %bb.6087:                             ;   in Loop: Header=BB2_5650 Depth=3
	s_and_not1_saveexec_b32 s14, s14
; %bb.6088:                             ;   in Loop: Header=BB2_5650 Depth=3
	s_delay_alu instid0(VALU_DEP_1)
	v_bfe_u32 v144, v165, 23, 1
; %bb.6089:                             ;   in Loop: Header=BB2_5650 Depth=3
	s_or_b32 exec_lo, exec_lo, s14
	v_lshrrev_b32_e32 v165, 21, v165
	s_delay_alu instid0(VALU_DEP_2) | instskip(SKIP_2) | instid1(VALU_DEP_2)
	v_cmp_gt_i32_e32 vcc_lo, 32, v144
	v_min_i32_e32 v166, 31, v144
	v_lshrrev_b32_e32 v148, 24, v148
	v_dual_cndmask_b32 v165, 3, v165 :: v_dual_lshlrev_b32 v166, 2, v166
	s_delay_alu instid0(VALU_DEP_2) | instskip(NEXT) | instid1(VALU_DEP_2)
	v_and_b32_e32 v148, 0x80, v148
	v_or_b32_e32 v144, v144, v165
	s_delay_alu instid0(VALU_DEP_3) | instskip(NEXT) | instid1(VALU_DEP_2)
	v_and_b32_e32 v166, 0xfc, v166
	v_cmp_ne_u32_e32 vcc_lo, 0, v144
	v_and_b32_e32 v167, 3, v165
	s_delay_alu instid0(VALU_DEP_1) | instskip(NEXT) | instid1(VALU_DEP_1)
	v_or3_b32 v148, v166, v148, v167
	v_cndmask_b32_e32 v144, 0, v148, vcc_lo
.LBB2_6090:                             ;   in Loop: Header=BB2_5650 Depth=3
	s_or_b32 exec_lo, exec_lo, s34
.LBB2_6091:                             ;   in Loop: Header=BB2_5650 Depth=3
	s_delay_alu instid0(SALU_CYCLE_1) | instskip(SKIP_3) | instid1(VALU_DEP_1)
	s_or_b32 exec_lo, exec_lo, s31
	v_lshrrev_b32_e32 v165, 24, v146
	s_mov_b32 s14, 0
	s_mov_b32 s34, exec_lo
                                        ; implicit-def: $sgpr31
	v_cmpx_lt_i16_e64 0x7f, v165
	s_xor_b32 s34, exec_lo, s34
	s_cbranch_execnz .LBB2_6289
; %bb.6092:                             ;   in Loop: Header=BB2_5650 Depth=3
	s_or_saveexec_b32 s34, s34
	v_mov_b32_e32 v148, s31
	s_xor_b32 exec_lo, exec_lo, s34
	s_cbranch_execnz .LBB2_6292
.LBB2_6093:                             ;   in Loop: Header=BB2_5650 Depth=3
	s_or_b32 exec_lo, exec_lo, s34
	s_and_saveexec_b32 s31, s14
	s_cbranch_execz .LBB2_6095
.LBB2_6094:                             ;   in Loop: Header=BB2_5650 Depth=3
	v_bfe_u32 v148, v146, 24, 2
	s_delay_alu instid0(VALU_DEP_1) | instskip(NEXT) | instid1(VALU_DEP_1)
	v_clz_i32_u32_e32 v166, v148
	v_min_u32_e32 v166, 32, v166
	s_delay_alu instid0(VALU_DEP_1) | instskip(SKIP_1) | instid1(VALU_DEP_2)
	v_subrev_nc_u32_e32 v167, 29, v166
	v_sub_nc_u32_e32 v166, 30, v166
	v_lshlrev_b32_e32 v165, v167, v165
	v_bfe_u32 v167, v146, 26, 5
	v_and_b32_e32 v146, 0x80000000, v146
	s_delay_alu instid0(VALU_DEP_2) | instskip(NEXT) | instid1(VALU_DEP_4)
	v_cmp_eq_u32_e32 vcc_lo, 0, v167
	v_dual_cndmask_b32 v166, v167, v166 :: v_dual_and_b32 v165, 3, v165
	s_delay_alu instid0(VALU_DEP_1) | instskip(NEXT) | instid1(VALU_DEP_2)
	v_cndmask_b32_e32 v148, v148, v165, vcc_lo
	v_lshl_add_u32 v165, v166, 23, 0x37800000
	s_delay_alu instid0(VALU_DEP_2) | instskip(NEXT) | instid1(VALU_DEP_1)
	v_lshlrev_b32_e32 v148, 21, v148
	v_or3_b32 v148, v146, v165, v148
.LBB2_6095:                             ;   in Loop: Header=BB2_5650 Depth=3
	s_or_b32 exec_lo, exec_lo, s31
	v_lshrrev_b32_e32 v146, 24, v11
	s_mov_b32 s14, 0
	s_mov_b32 s34, exec_lo
                                        ; implicit-def: $sgpr31
	s_delay_alu instid0(VALU_DEP_1)
	v_cmpx_lt_i16_e64 0x7f, v146
	s_xor_b32 s34, exec_lo, s34
	s_cbranch_execnz .LBB2_6293
; %bb.6096:                             ;   in Loop: Header=BB2_5650 Depth=3
	s_or_saveexec_b32 s34, s34
	v_mov_b32_e32 v165, s31
	s_xor_b32 exec_lo, exec_lo, s34
	s_cbranch_execnz .LBB2_6296
.LBB2_6097:                             ;   in Loop: Header=BB2_5650 Depth=3
	s_or_b32 exec_lo, exec_lo, s34
	s_and_saveexec_b32 s31, s14
	s_cbranch_execz .LBB2_6099
.LBB2_6098:                             ;   in Loop: Header=BB2_5650 Depth=3
	v_bfe_u32 v165, v11, 24, 2
	s_delay_alu instid0(VALU_DEP_1) | instskip(NEXT) | instid1(VALU_DEP_1)
	v_clz_i32_u32_e32 v166, v165
	v_min_u32_e32 v166, 32, v166
	s_delay_alu instid0(VALU_DEP_1) | instskip(SKIP_1) | instid1(VALU_DEP_2)
	v_subrev_nc_u32_e32 v167, 29, v166
	v_sub_nc_u32_e32 v166, 30, v166
	v_lshlrev_b32_e32 v146, v167, v146
	v_bfe_u32 v167, v11, 26, 5
	v_and_b32_e32 v11, 0x80000000, v11
	s_delay_alu instid0(VALU_DEP_3) | instskip(NEXT) | instid1(VALU_DEP_3)
	v_and_b32_e32 v146, 3, v146
	v_cmp_eq_u32_e32 vcc_lo, 0, v167
	v_cndmask_b32_e32 v166, v167, v166, vcc_lo
	s_delay_alu instid0(VALU_DEP_3) | instskip(NEXT) | instid1(VALU_DEP_2)
	v_cndmask_b32_e32 v146, v165, v146, vcc_lo
	v_lshl_add_u32 v165, v166, 23, 0x37800000
	s_delay_alu instid0(VALU_DEP_2) | instskip(NEXT) | instid1(VALU_DEP_1)
	v_lshlrev_b32_e32 v146, 21, v146
	v_or3_b32 v165, v11, v165, v146
.LBB2_6099:                             ;   in Loop: Header=BB2_5650 Depth=3
	s_or_b32 exec_lo, exec_lo, s31
	s_delay_alu instid0(VALU_DEP_1) | instskip(NEXT) | instid1(VALU_DEP_1)
	v_add_f32_e32 v11, v148, v165
	v_and_b32_e32 v146, 0x7f800000, v11
	s_delay_alu instid0(VALU_DEP_1)
	v_cmp_ne_u32_e32 vcc_lo, 0x7f800000, v146
	v_mov_b32_e32 v146, 0x8000
	s_and_saveexec_b32 s31, vcc_lo
	s_cbranch_execz .LBB2_5649
; %bb.6100:                             ;   in Loop: Header=BB2_5650 Depth=3
	v_mov_b32_e32 v146, 0
	s_mov_b32 s34, exec_lo
	v_cmpx_ne_u32_e32 0, v11
	s_cbranch_execz .LBB2_5648
; %bb.6101:                             ;   in Loop: Header=BB2_5650 Depth=3
	v_bfe_u32 v146, v11, 23, 8
	s_delay_alu instid0(VALU_DEP_1) | instskip(SKIP_1) | instid1(VALU_DEP_2)
	v_sub_nc_u32_e32 v165, 0x70, v146
	v_cmp_gt_u32_e32 vcc_lo, 0x71, v146
	v_dual_cndmask_b32 v165, 0, v165 :: v_dual_and_b32 v148, 0x7fffff, v11
	s_delay_alu instid0(VALU_DEP_1) | instskip(SKIP_2) | instid1(VALU_DEP_4)
	v_or_b32_e32 v166, 0x800000, v148
	v_cmp_eq_u32_e32 vcc_lo, 0, v146
	v_add_nc_u32_e32 v146, 0xffffff91, v146
	v_cndmask_b32_e64 v165, v165, 0x6f, vcc_lo
	s_delay_alu instid0(VALU_DEP_2) | instskip(SKIP_1) | instid1(VALU_DEP_3)
	v_cndmask_b32_e64 v146, v146, 0xffffff92, vcc_lo
	v_cndmask_b32_e32 v148, v166, v148, vcc_lo
	v_lshl_add_u32 v166, 0x200000, v165, -1
	v_lshlrev_b32_e64 v177, v165, 0x100000
	s_delay_alu instid0(VALU_DEP_3) | instskip(SKIP_1) | instid1(VALU_DEP_4)
	v_lshrrev_b32_e32 v167, v165, v148
	v_add_nc_u32_e32 v165, v165, v146
	v_and_b32_e32 v148, v166, v148
	s_delay_alu instid0(VALU_DEP_3) | instskip(NEXT) | instid1(VALU_DEP_2)
	v_bfe_u32 v176, v167, 21, 1
	v_cmp_eq_u32_e64 s14, v148, v177
	s_delay_alu instid0(VALU_DEP_2) | instskip(NEXT) | instid1(VALU_DEP_1)
	v_add_nc_u32_e32 v166, -1, v176
	v_cndmask_b32_e64 v148, 0, v166, s14
	v_lshrrev_b32_e32 v166, 23, v167
	s_mov_b32 s14, exec_lo
	s_delay_alu instid0(VALU_DEP_2) | instskip(NEXT) | instid1(VALU_DEP_2)
	v_add_nc_u32_e32 v148, v148, v167
	v_xor_b32_e32 v166, 1, v166
	s_delay_alu instid0(VALU_DEP_2) | instskip(NEXT) | instid1(VALU_DEP_1)
	v_and_b32_e32 v146, 0x1fffff, v148
	v_add_nc_u32_e32 v148, v146, v167
                                        ; implicit-def: $vgpr146
	s_delay_alu instid0(VALU_DEP_3)
	v_cmpx_ne_u32_e64 v165, v166
	s_xor_b32 s14, exec_lo, s14
; %bb.6102:                             ;   in Loop: Header=BB2_5650 Depth=3
	s_delay_alu instid0(VALU_DEP_2) | instskip(SKIP_2) | instid1(VALU_DEP_2)
	v_cmp_lt_u32_e32 vcc_lo, 0xffffff, v148
	v_sub_nc_u32_e32 v146, v165, v166
	v_cndmask_b32_e64 v165, 0, 1, vcc_lo
	v_add_co_ci_u32_e32 v146, vcc_lo, 0, v146, vcc_lo
	s_delay_alu instid0(VALU_DEP_2)
	v_lshrrev_b32_e32 v148, v165, v148
; %bb.6103:                             ;   in Loop: Header=BB2_5650 Depth=3
	s_and_not1_saveexec_b32 s14, s14
	s_cbranch_execz .LBB2_5647
; %bb.6104:                             ;   in Loop: Header=BB2_5650 Depth=3
	s_delay_alu instid0(VALU_DEP_1)
	v_bfe_u32 v146, v148, 23, 1
	s_branch .LBB2_5647
.LBB2_6105:                             ;   in Loop: Header=BB2_5650 Depth=3
	s_mov_b32 s14, -1
	s_mov_b32 s36, exec_lo
                                        ; implicit-def: $sgpr34
	v_cmpx_eq_u16_e64 0x80, v144
; %bb.6106:                             ;   in Loop: Header=BB2_5650 Depth=3
	s_mov_b32 s34, 0x7f800001
	s_xor_b32 s14, exec_lo, -1
; %bb.6107:                             ;   in Loop: Header=BB2_5650 Depth=3
	s_or_b32 exec_lo, exec_lo, s36
	s_delay_alu instid0(SALU_CYCLE_1)
	s_and_b32 s14, s14, exec_lo
                                        ; implicit-def: $vgpr144
	s_or_saveexec_b32 s35, s35
	v_mov_b32_e32 v135, s34
	s_xor_b32 exec_lo, exec_lo, s35
	s_cbranch_execz .LBB2_5661
.LBB2_6108:                             ;   in Loop: Header=BB2_5650 Depth=3
	v_cmp_ne_u16_e64 vcc_lo, 0, v144
	v_mov_b32_e32 v135, 0
	s_and_not1_b32 s14, s14, exec_lo
	s_delay_alu instid0(VALU_DEP_2) | instskip(NEXT) | instid1(SALU_CYCLE_1)
	s_and_b32 vcc_lo, vcc_lo, exec_lo
	s_or_b32 s14, s14, vcc_lo
	s_or_b32 exec_lo, exec_lo, s35
	s_and_saveexec_b32 s34, s14
	s_cbranch_execnz .LBB2_5662
	s_branch .LBB2_5663
.LBB2_6109:                             ;   in Loop: Header=BB2_5650 Depth=3
	s_mov_b32 s14, -1
	s_mov_b32 s36, exec_lo
                                        ; implicit-def: $sgpr34
	v_cmpx_eq_u16_e64 0x80, v144
; %bb.6110:                             ;   in Loop: Header=BB2_5650 Depth=3
	s_mov_b32 s34, 0x7f800001
	s_xor_b32 s14, exec_lo, -1
; %bb.6111:                             ;   in Loop: Header=BB2_5650 Depth=3
	s_or_b32 exec_lo, exec_lo, s36
	s_delay_alu instid0(SALU_CYCLE_1)
	s_and_b32 s14, s14, exec_lo
	s_or_saveexec_b32 s35, s35
	v_mov_b32_e32 v145, s34
	s_xor_b32 exec_lo, exec_lo, s35
	s_cbranch_execz .LBB2_5673
.LBB2_6112:                             ;   in Loop: Header=BB2_5650 Depth=3
	v_cmp_ne_u16_e64 vcc_lo, 0, v144
	v_mov_b32_e32 v145, 0
	s_and_not1_b32 s14, s14, exec_lo
	s_delay_alu instid0(VALU_DEP_2) | instskip(NEXT) | instid1(SALU_CYCLE_1)
	s_and_b32 vcc_lo, vcc_lo, exec_lo
	s_or_b32 s14, s14, vcc_lo
	s_or_b32 exec_lo, exec_lo, s35
	s_and_saveexec_b32 s34, s14
	s_cbranch_execnz .LBB2_5674
	s_branch .LBB2_5675
.LBB2_6113:                             ;   in Loop: Header=BB2_5650 Depth=3
	s_mov_b32 s14, -1
	s_mov_b32 s36, exec_lo
                                        ; implicit-def: $sgpr34
	v_cmpx_eq_u16_e64 0x80, v146
; %bb.6114:                             ;   in Loop: Header=BB2_5650 Depth=3
	s_mov_b32 s34, 0x7f800001
	s_xor_b32 s14, exec_lo, -1
; %bb.6115:                             ;   in Loop: Header=BB2_5650 Depth=3
	s_or_b32 exec_lo, exec_lo, s36
	s_delay_alu instid0(SALU_CYCLE_1)
	s_and_b32 s14, s14, exec_lo
                                        ; implicit-def: $vgpr146
	s_or_saveexec_b32 s35, s35
	v_mov_b32_e32 v145, s34
	s_xor_b32 exec_lo, exec_lo, s35
	s_cbranch_execz .LBB2_5685
.LBB2_6116:                             ;   in Loop: Header=BB2_5650 Depth=3
	v_cmp_ne_u16_e64 vcc_lo, 0, v146
	v_mov_b32_e32 v145, 0
	s_and_not1_b32 s14, s14, exec_lo
	s_delay_alu instid0(VALU_DEP_2) | instskip(NEXT) | instid1(SALU_CYCLE_1)
	s_and_b32 vcc_lo, vcc_lo, exec_lo
	s_or_b32 s14, s14, vcc_lo
	s_or_b32 exec_lo, exec_lo, s35
	s_and_saveexec_b32 s34, s14
	s_cbranch_execnz .LBB2_5686
	s_branch .LBB2_5687
.LBB2_6117:                             ;   in Loop: Header=BB2_5650 Depth=3
	s_mov_b32 s14, -1
	s_mov_b32 s36, exec_lo
                                        ; implicit-def: $sgpr34
	v_cmpx_eq_u16_e64 0x80, v144
; %bb.6118:                             ;   in Loop: Header=BB2_5650 Depth=3
	s_mov_b32 s34, 0x7f800001
	s_xor_b32 s14, exec_lo, -1
; %bb.6119:                             ;   in Loop: Header=BB2_5650 Depth=3
	s_or_b32 exec_lo, exec_lo, s36
	s_delay_alu instid0(SALU_CYCLE_1)
	s_and_b32 s14, s14, exec_lo
	s_or_saveexec_b32 s35, s35
	v_mov_b32_e32 v145, s34
	s_xor_b32 exec_lo, exec_lo, s35
	s_cbranch_execz .LBB2_5697
.LBB2_6120:                             ;   in Loop: Header=BB2_5650 Depth=3
	v_cmp_ne_u16_e64 vcc_lo, 0, v144
	v_mov_b32_e32 v145, 0
	s_and_not1_b32 s14, s14, exec_lo
	s_delay_alu instid0(VALU_DEP_2) | instskip(NEXT) | instid1(SALU_CYCLE_1)
	s_and_b32 vcc_lo, vcc_lo, exec_lo
	s_or_b32 s14, s14, vcc_lo
	s_or_b32 exec_lo, exec_lo, s35
	s_and_saveexec_b32 s34, s14
	s_cbranch_execnz .LBB2_5698
	s_branch .LBB2_5699
.LBB2_6121:                             ;   in Loop: Header=BB2_5650 Depth=3
	s_mov_b32 s14, -1
	s_mov_b32 s36, exec_lo
                                        ; implicit-def: $sgpr34
	v_cmpx_eq_u16_e64 0x80, v144
; %bb.6122:                             ;   in Loop: Header=BB2_5650 Depth=3
	s_mov_b32 s34, 0x7f800001
	s_xor_b32 s14, exec_lo, -1
; %bb.6123:                             ;   in Loop: Header=BB2_5650 Depth=3
	s_or_b32 exec_lo, exec_lo, s36
	s_delay_alu instid0(SALU_CYCLE_1)
	s_and_b32 s14, s14, exec_lo
                                        ; implicit-def: $vgpr144
	s_or_saveexec_b32 s35, s35
	v_mov_b32_e32 v8, s34
	s_xor_b32 exec_lo, exec_lo, s35
	s_cbranch_execz .LBB2_5709
.LBB2_6124:                             ;   in Loop: Header=BB2_5650 Depth=3
	v_cmp_ne_u16_e64 vcc_lo, 0, v144
	v_mov_b32_e32 v8, 0
	s_and_not1_b32 s14, s14, exec_lo
	s_delay_alu instid0(VALU_DEP_2) | instskip(NEXT) | instid1(SALU_CYCLE_1)
	s_and_b32 vcc_lo, vcc_lo, exec_lo
	s_or_b32 s14, s14, vcc_lo
	s_or_b32 exec_lo, exec_lo, s35
	s_and_saveexec_b32 s34, s14
	s_cbranch_execnz .LBB2_5710
	s_branch .LBB2_5711
.LBB2_6125:                             ;   in Loop: Header=BB2_5650 Depth=3
	s_mov_b32 s14, -1
	s_mov_b32 s36, exec_lo
                                        ; implicit-def: $sgpr34
	v_cmpx_eq_u16_e32 0x80, v8
; %bb.6126:                             ;   in Loop: Header=BB2_5650 Depth=3
	s_mov_b32 s34, 0x7f800001
	s_xor_b32 s14, exec_lo, -1
; %bb.6127:                             ;   in Loop: Header=BB2_5650 Depth=3
	s_or_b32 exec_lo, exec_lo, s36
	s_delay_alu instid0(SALU_CYCLE_1)
	s_and_b32 s14, s14, exec_lo
	s_or_saveexec_b32 s35, s35
	v_mov_b32_e32 v144, s34
	s_xor_b32 exec_lo, exec_lo, s35
	s_cbranch_execz .LBB2_5721
.LBB2_6128:                             ;   in Loop: Header=BB2_5650 Depth=3
	v_cmp_ne_u16_e32 vcc_lo, 0, v8
	v_mov_b32_e32 v144, 0
	s_and_not1_b32 s14, s14, exec_lo
	s_and_b32 vcc_lo, vcc_lo, exec_lo
	s_delay_alu instid0(SALU_CYCLE_1)
	s_or_b32 s14, s14, vcc_lo
	s_or_b32 exec_lo, exec_lo, s35
	s_and_saveexec_b32 s34, s14
	s_cbranch_execnz .LBB2_5722
	s_branch .LBB2_5723
.LBB2_6129:                             ;   in Loop: Header=BB2_5650 Depth=3
	s_mov_b32 s14, -1
	s_mov_b32 s36, exec_lo
                                        ; implicit-def: $sgpr34
	v_cmpx_eq_u16_e64 0x80, v145
; %bb.6130:                             ;   in Loop: Header=BB2_5650 Depth=3
	s_mov_b32 s34, 0x7f800001
	s_xor_b32 s14, exec_lo, -1
; %bb.6131:                             ;   in Loop: Header=BB2_5650 Depth=3
	s_or_b32 exec_lo, exec_lo, s36
	s_delay_alu instid0(SALU_CYCLE_1)
	s_and_b32 s14, s14, exec_lo
                                        ; implicit-def: $vgpr145
	s_or_saveexec_b32 s35, s35
	v_mov_b32_e32 v144, s34
	s_xor_b32 exec_lo, exec_lo, s35
	s_cbranch_execz .LBB2_5733
.LBB2_6132:                             ;   in Loop: Header=BB2_5650 Depth=3
	v_cmp_ne_u16_e64 vcc_lo, 0, v145
	v_mov_b32_e32 v144, 0
	s_and_not1_b32 s14, s14, exec_lo
	s_delay_alu instid0(VALU_DEP_2) | instskip(NEXT) | instid1(SALU_CYCLE_1)
	s_and_b32 vcc_lo, vcc_lo, exec_lo
	s_or_b32 s14, s14, vcc_lo
	s_or_b32 exec_lo, exec_lo, s35
	s_and_saveexec_b32 s34, s14
	s_cbranch_execnz .LBB2_5734
	s_branch .LBB2_5735
.LBB2_6133:                             ;   in Loop: Header=BB2_5650 Depth=3
	s_mov_b32 s14, -1
	s_mov_b32 s36, exec_lo
                                        ; implicit-def: $sgpr34
	v_cmpx_eq_u16_e32 0x80, v8
; %bb.6134:                             ;   in Loop: Header=BB2_5650 Depth=3
	s_mov_b32 s34, 0x7f800001
	s_xor_b32 s14, exec_lo, -1
; %bb.6135:                             ;   in Loop: Header=BB2_5650 Depth=3
	s_or_b32 exec_lo, exec_lo, s36
	s_delay_alu instid0(SALU_CYCLE_1)
	s_and_b32 s14, s14, exec_lo
	s_or_saveexec_b32 s35, s35
	v_mov_b32_e32 v144, s34
	s_xor_b32 exec_lo, exec_lo, s35
	s_cbranch_execz .LBB2_5745
.LBB2_6136:                             ;   in Loop: Header=BB2_5650 Depth=3
	v_cmp_ne_u16_e32 vcc_lo, 0, v8
	v_mov_b32_e32 v144, 0
	s_and_not1_b32 s14, s14, exec_lo
	s_and_b32 vcc_lo, vcc_lo, exec_lo
	s_delay_alu instid0(SALU_CYCLE_1)
	s_or_b32 s14, s14, vcc_lo
	s_or_b32 exec_lo, exec_lo, s35
	s_and_saveexec_b32 s34, s14
	s_cbranch_execnz .LBB2_5746
	s_branch .LBB2_5747
.LBB2_6137:                             ;   in Loop: Header=BB2_5650 Depth=3
	s_mov_b32 s14, -1
	s_mov_b32 s36, exec_lo
                                        ; implicit-def: $sgpr34
	v_cmpx_eq_u16_e32 0x80, v9
; %bb.6138:                             ;   in Loop: Header=BB2_5650 Depth=3
	s_mov_b32 s34, 0x7f800001
	s_xor_b32 s14, exec_lo, -1
; %bb.6139:                             ;   in Loop: Header=BB2_5650 Depth=3
	s_or_b32 exec_lo, exec_lo, s36
	s_delay_alu instid0(SALU_CYCLE_1)
	s_and_b32 s14, s14, exec_lo
                                        ; implicit-def: $vgpr9
	s_or_saveexec_b32 s35, s35
	v_mov_b32_e32 v8, s34
	s_xor_b32 exec_lo, exec_lo, s35
	s_cbranch_execz .LBB2_5757
.LBB2_6140:                             ;   in Loop: Header=BB2_5650 Depth=3
	v_cmp_ne_u16_e32 vcc_lo, 0, v9
	v_mov_b32_e32 v8, 0
	s_and_not1_b32 s14, s14, exec_lo
	s_and_b32 vcc_lo, vcc_lo, exec_lo
	s_delay_alu instid0(SALU_CYCLE_1)
	s_or_b32 s14, s14, vcc_lo
	s_or_b32 exec_lo, exec_lo, s35
	s_and_saveexec_b32 s34, s14
	s_cbranch_execnz .LBB2_5758
	s_branch .LBB2_5759
.LBB2_6141:                             ;   in Loop: Header=BB2_5650 Depth=3
	s_mov_b32 s14, -1
	s_mov_b32 s36, exec_lo
                                        ; implicit-def: $sgpr34
	v_cmpx_eq_u16_e32 0x80, v8
; %bb.6142:                             ;   in Loop: Header=BB2_5650 Depth=3
	s_mov_b32 s34, 0x7f800001
	s_xor_b32 s14, exec_lo, -1
; %bb.6143:                             ;   in Loop: Header=BB2_5650 Depth=3
	s_or_b32 exec_lo, exec_lo, s36
	s_delay_alu instid0(SALU_CYCLE_1)
	s_and_b32 s14, s14, exec_lo
	s_or_saveexec_b32 s35, s35
	v_mov_b32_e32 v9, s34
	s_xor_b32 exec_lo, exec_lo, s35
	s_cbranch_execz .LBB2_5769
.LBB2_6144:                             ;   in Loop: Header=BB2_5650 Depth=3
	v_cmp_ne_u16_e32 vcc_lo, 0, v8
	v_mov_b32_e32 v9, 0
	s_and_not1_b32 s14, s14, exec_lo
	s_and_b32 vcc_lo, vcc_lo, exec_lo
	s_delay_alu instid0(SALU_CYCLE_1)
	s_or_b32 s14, s14, vcc_lo
	s_or_b32 exec_lo, exec_lo, s35
	s_and_saveexec_b32 s34, s14
	s_cbranch_execnz .LBB2_5770
	s_branch .LBB2_5771
.LBB2_6145:                             ;   in Loop: Header=BB2_5650 Depth=3
	s_mov_b32 s14, -1
	s_mov_b32 s36, exec_lo
                                        ; implicit-def: $sgpr34
	v_cmpx_eq_u16_e64 0x80, v144
; %bb.6146:                             ;   in Loop: Header=BB2_5650 Depth=3
	s_mov_b32 s34, 0x7f800001
	s_xor_b32 s14, exec_lo, -1
; %bb.6147:                             ;   in Loop: Header=BB2_5650 Depth=3
	s_or_b32 exec_lo, exec_lo, s36
	s_delay_alu instid0(SALU_CYCLE_1)
	s_and_b32 s14, s14, exec_lo
                                        ; implicit-def: $vgpr144
	s_or_saveexec_b32 s35, s35
	v_mov_b32_e32 v9, s34
	s_xor_b32 exec_lo, exec_lo, s35
	s_cbranch_execz .LBB2_5781
.LBB2_6148:                             ;   in Loop: Header=BB2_5650 Depth=3
	v_cmp_ne_u16_e64 vcc_lo, 0, v144
	v_mov_b32_e32 v9, 0
	s_and_not1_b32 s14, s14, exec_lo
	s_delay_alu instid0(VALU_DEP_2) | instskip(NEXT) | instid1(SALU_CYCLE_1)
	s_and_b32 vcc_lo, vcc_lo, exec_lo
	s_or_b32 s14, s14, vcc_lo
	s_or_b32 exec_lo, exec_lo, s35
	s_and_saveexec_b32 s34, s14
	s_cbranch_execnz .LBB2_5782
	s_branch .LBB2_5783
.LBB2_6149:                             ;   in Loop: Header=BB2_5650 Depth=3
	s_mov_b32 s14, -1
	s_mov_b32 s36, exec_lo
                                        ; implicit-def: $sgpr34
	v_cmpx_eq_u16_e32 0x80, v8
; %bb.6150:                             ;   in Loop: Header=BB2_5650 Depth=3
	s_mov_b32 s34, 0x7f800001
	s_xor_b32 s14, exec_lo, -1
; %bb.6151:                             ;   in Loop: Header=BB2_5650 Depth=3
	s_or_b32 exec_lo, exec_lo, s36
	s_delay_alu instid0(SALU_CYCLE_1)
	s_and_b32 s14, s14, exec_lo
	s_or_saveexec_b32 s35, s35
	v_mov_b32_e32 v9, s34
	s_xor_b32 exec_lo, exec_lo, s35
	s_cbranch_execz .LBB2_5793
.LBB2_6152:                             ;   in Loop: Header=BB2_5650 Depth=3
	v_cmp_ne_u16_e32 vcc_lo, 0, v8
	v_mov_b32_e32 v9, 0
	s_and_not1_b32 s14, s14, exec_lo
	s_and_b32 vcc_lo, vcc_lo, exec_lo
	s_delay_alu instid0(SALU_CYCLE_1)
	s_or_b32 s14, s14, vcc_lo
	s_or_b32 exec_lo, exec_lo, s35
	s_and_saveexec_b32 s34, s14
	s_cbranch_execnz .LBB2_5794
	s_branch .LBB2_5795
.LBB2_6153:                             ;   in Loop: Header=BB2_5650 Depth=3
	s_mov_b32 s14, -1
	s_mov_b32 s36, exec_lo
                                        ; implicit-def: $sgpr34
	v_cmpx_eq_u16_e32 0x80, v9
; %bb.6154:                             ;   in Loop: Header=BB2_5650 Depth=3
	s_mov_b32 s34, 0x7f800001
	s_xor_b32 s14, exec_lo, -1
; %bb.6155:                             ;   in Loop: Header=BB2_5650 Depth=3
	s_or_b32 exec_lo, exec_lo, s36
	s_delay_alu instid0(SALU_CYCLE_1)
	s_and_b32 s14, s14, exec_lo
                                        ; implicit-def: $vgpr9
	s_or_saveexec_b32 s35, s35
	v_mov_b32_e32 v8, s34
	s_xor_b32 exec_lo, exec_lo, s35
	s_cbranch_execz .LBB2_5805
.LBB2_6156:                             ;   in Loop: Header=BB2_5650 Depth=3
	v_cmp_ne_u16_e32 vcc_lo, 0, v9
	v_mov_b32_e32 v8, 0
	s_and_not1_b32 s14, s14, exec_lo
	s_and_b32 vcc_lo, vcc_lo, exec_lo
	s_delay_alu instid0(SALU_CYCLE_1)
	s_or_b32 s14, s14, vcc_lo
	s_or_b32 exec_lo, exec_lo, s35
	s_and_saveexec_b32 s34, s14
	s_cbranch_execnz .LBB2_5806
	s_branch .LBB2_5807
.LBB2_6157:                             ;   in Loop: Header=BB2_5650 Depth=3
	s_mov_b32 s14, -1
	s_mov_b32 s36, exec_lo
                                        ; implicit-def: $sgpr34
	v_cmpx_eq_u16_e32 0x80, v8
; %bb.6158:                             ;   in Loop: Header=BB2_5650 Depth=3
	s_mov_b32 s34, 0x7f800001
	s_xor_b32 s14, exec_lo, -1
; %bb.6159:                             ;   in Loop: Header=BB2_5650 Depth=3
	s_or_b32 exec_lo, exec_lo, s36
	s_delay_alu instid0(SALU_CYCLE_1)
	s_and_b32 s14, s14, exec_lo
	s_or_saveexec_b32 s35, s35
	v_mov_b32_e32 v9, s34
	s_xor_b32 exec_lo, exec_lo, s35
	s_cbranch_execz .LBB2_5817
.LBB2_6160:                             ;   in Loop: Header=BB2_5650 Depth=3
	v_cmp_ne_u16_e32 vcc_lo, 0, v8
	v_mov_b32_e32 v9, 0
	s_and_not1_b32 s14, s14, exec_lo
	s_and_b32 vcc_lo, vcc_lo, exec_lo
	s_delay_alu instid0(SALU_CYCLE_1)
	s_or_b32 s14, s14, vcc_lo
	s_or_b32 exec_lo, exec_lo, s35
	s_and_saveexec_b32 s34, s14
	s_cbranch_execnz .LBB2_5818
	s_branch .LBB2_5819
.LBB2_6161:                             ;   in Loop: Header=BB2_5650 Depth=3
	s_mov_b32 s14, -1
	s_mov_b32 s36, exec_lo
                                        ; implicit-def: $sgpr34
	v_cmpx_eq_u16_e32 0x80, v10
; %bb.6162:                             ;   in Loop: Header=BB2_5650 Depth=3
	s_mov_b32 s34, 0x7f800001
	s_xor_b32 s14, exec_lo, -1
; %bb.6163:                             ;   in Loop: Header=BB2_5650 Depth=3
	s_or_b32 exec_lo, exec_lo, s36
	s_delay_alu instid0(SALU_CYCLE_1)
	s_and_b32 s14, s14, exec_lo
                                        ; implicit-def: $vgpr10
	s_or_saveexec_b32 s35, s35
	v_mov_b32_e32 v9, s34
	s_xor_b32 exec_lo, exec_lo, s35
	s_cbranch_execz .LBB2_5829
.LBB2_6164:                             ;   in Loop: Header=BB2_5650 Depth=3
	v_cmp_ne_u16_e32 vcc_lo, 0, v10
	v_mov_b32_e32 v9, 0
	s_and_not1_b32 s14, s14, exec_lo
	s_and_b32 vcc_lo, vcc_lo, exec_lo
	s_delay_alu instid0(SALU_CYCLE_1)
	s_or_b32 s14, s14, vcc_lo
	s_or_b32 exec_lo, exec_lo, s35
	s_and_saveexec_b32 s34, s14
	s_cbranch_execnz .LBB2_5830
	s_branch .LBB2_5831
.LBB2_6165:                             ;   in Loop: Header=BB2_5650 Depth=3
	s_mov_b32 s14, -1
	s_mov_b32 s36, exec_lo
                                        ; implicit-def: $sgpr34
	v_cmpx_eq_u16_e32 0x80, v8
; %bb.6166:                             ;   in Loop: Header=BB2_5650 Depth=3
	s_mov_b32 s34, 0x7f800001
	s_xor_b32 s14, exec_lo, -1
; %bb.6167:                             ;   in Loop: Header=BB2_5650 Depth=3
	s_or_b32 exec_lo, exec_lo, s36
	s_delay_alu instid0(SALU_CYCLE_1)
	s_and_b32 s14, s14, exec_lo
	s_or_saveexec_b32 s35, s35
	v_mov_b32_e32 v9, s34
	s_xor_b32 exec_lo, exec_lo, s35
	s_cbranch_execz .LBB2_5841
.LBB2_6168:                             ;   in Loop: Header=BB2_5650 Depth=3
	v_cmp_ne_u16_e32 vcc_lo, 0, v8
	v_mov_b32_e32 v9, 0
	s_and_not1_b32 s14, s14, exec_lo
	s_and_b32 vcc_lo, vcc_lo, exec_lo
	s_delay_alu instid0(SALU_CYCLE_1)
	s_or_b32 s14, s14, vcc_lo
	s_or_b32 exec_lo, exec_lo, s35
	s_and_saveexec_b32 s34, s14
	s_cbranch_execnz .LBB2_5842
	s_branch .LBB2_5843
.LBB2_6169:                             ;   in Loop: Header=BB2_5650 Depth=3
	s_mov_b32 s14, -1
	s_mov_b32 s35, exec_lo
                                        ; implicit-def: $sgpr31
	v_cmpx_eq_u16_e64 0x80, v176
; %bb.6170:                             ;   in Loop: Header=BB2_5650 Depth=3
	s_mov_b32 s31, 0x7f800001
	s_xor_b32 s14, exec_lo, -1
; %bb.6171:                             ;   in Loop: Header=BB2_5650 Depth=3
	s_or_b32 exec_lo, exec_lo, s35
	s_delay_alu instid0(SALU_CYCLE_1)
	s_and_b32 s14, s14, exec_lo
                                        ; implicit-def: $vgpr176
	s_or_saveexec_b32 s34, s34
	v_mov_b32_e32 v167, s31
	s_xor_b32 exec_lo, exec_lo, s34
	s_cbranch_execz .LBB2_5853
.LBB2_6172:                             ;   in Loop: Header=BB2_5650 Depth=3
	v_cmp_ne_u16_e64 vcc_lo, 0, v176
	v_mov_b32_e32 v167, 0
	s_and_not1_b32 s14, s14, exec_lo
	s_delay_alu instid0(VALU_DEP_2) | instskip(NEXT) | instid1(SALU_CYCLE_1)
	s_and_b32 vcc_lo, vcc_lo, exec_lo
	s_or_b32 s14, s14, vcc_lo
	s_or_b32 exec_lo, exec_lo, s34
	s_and_saveexec_b32 s31, s14
	s_cbranch_execnz .LBB2_5854
	s_branch .LBB2_5855
.LBB2_6173:                             ;   in Loop: Header=BB2_5650 Depth=3
	s_mov_b32 s14, -1
	s_mov_b32 s35, exec_lo
                                        ; implicit-def: $sgpr31
	v_cmpx_eq_u16_e64 0x80, v176
; %bb.6174:                             ;   in Loop: Header=BB2_5650 Depth=3
	s_mov_b32 s31, 0x7f800001
	s_xor_b32 s14, exec_lo, -1
; %bb.6175:                             ;   in Loop: Header=BB2_5650 Depth=3
	s_or_b32 exec_lo, exec_lo, s35
	s_delay_alu instid0(SALU_CYCLE_1)
	s_and_b32 s14, s14, exec_lo
                                        ; implicit-def: $vgpr176
	s_or_saveexec_b32 s34, s34
	v_mov_b32_e32 v135, s31
	s_xor_b32 exec_lo, exec_lo, s34
	s_cbranch_execz .LBB2_5857
.LBB2_6176:                             ;   in Loop: Header=BB2_5650 Depth=3
	v_cmp_ne_u16_e64 vcc_lo, 0, v176
	v_mov_b32_e32 v135, 0
	s_and_not1_b32 s14, s14, exec_lo
	s_delay_alu instid0(VALU_DEP_2) | instskip(NEXT) | instid1(SALU_CYCLE_1)
	s_and_b32 vcc_lo, vcc_lo, exec_lo
	s_or_b32 s14, s14, vcc_lo
	s_or_b32 exec_lo, exec_lo, s34
	s_and_saveexec_b32 s31, s14
	s_cbranch_execnz .LBB2_5858
	s_branch .LBB2_5859
.LBB2_6177:                             ;   in Loop: Header=BB2_5650 Depth=3
	s_mov_b32 s14, -1
	s_mov_b32 s35, exec_lo
                                        ; implicit-def: $sgpr31
	v_cmpx_eq_u16_e64 0x80, v176
; %bb.6178:                             ;   in Loop: Header=BB2_5650 Depth=3
	s_mov_b32 s31, 0x7f800001
	s_xor_b32 s14, exec_lo, -1
; %bb.6179:                             ;   in Loop: Header=BB2_5650 Depth=3
	s_or_b32 exec_lo, exec_lo, s35
	s_delay_alu instid0(SALU_CYCLE_1)
	s_and_b32 s14, s14, exec_lo
                                        ; implicit-def: $vgpr176
	s_or_saveexec_b32 s34, s34
	v_mov_b32_e32 v167, s31
	s_xor_b32 exec_lo, exec_lo, s34
	s_cbranch_execz .LBB2_5869
.LBB2_6180:                             ;   in Loop: Header=BB2_5650 Depth=3
	v_cmp_ne_u16_e64 vcc_lo, 0, v176
	v_mov_b32_e32 v167, 0
	s_and_not1_b32 s14, s14, exec_lo
	s_delay_alu instid0(VALU_DEP_2) | instskip(NEXT) | instid1(SALU_CYCLE_1)
	s_and_b32 vcc_lo, vcc_lo, exec_lo
	s_or_b32 s14, s14, vcc_lo
	s_or_b32 exec_lo, exec_lo, s34
	s_and_saveexec_b32 s31, s14
	s_cbranch_execnz .LBB2_5870
	s_branch .LBB2_5871
.LBB2_6181:                             ;   in Loop: Header=BB2_5650 Depth=3
	s_mov_b32 s14, -1
	s_mov_b32 s35, exec_lo
                                        ; implicit-def: $sgpr31
	v_cmpx_eq_u16_e64 0x80, v147
; %bb.6182:                             ;   in Loop: Header=BB2_5650 Depth=3
	s_mov_b32 s31, 0x7f800001
	s_xor_b32 s14, exec_lo, -1
; %bb.6183:                             ;   in Loop: Header=BB2_5650 Depth=3
	s_or_b32 exec_lo, exec_lo, s35
	s_delay_alu instid0(SALU_CYCLE_1)
	s_and_b32 s14, s14, exec_lo
	s_or_saveexec_b32 s34, s34
	v_mov_b32_e32 v176, s31
	s_xor_b32 exec_lo, exec_lo, s34
	s_cbranch_execz .LBB2_5873
.LBB2_6184:                             ;   in Loop: Header=BB2_5650 Depth=3
	v_cmp_ne_u16_e64 vcc_lo, 0, v147
	v_mov_b32_e32 v176, 0
	s_and_not1_b32 s14, s14, exec_lo
	s_delay_alu instid0(VALU_DEP_2) | instskip(NEXT) | instid1(SALU_CYCLE_1)
	s_and_b32 vcc_lo, vcc_lo, exec_lo
	s_or_b32 s14, s14, vcc_lo
	s_or_b32 exec_lo, exec_lo, s34
	s_and_saveexec_b32 s31, s14
	s_cbranch_execnz .LBB2_5874
	s_branch .LBB2_5875
.LBB2_6185:                             ;   in Loop: Header=BB2_5650 Depth=3
	s_mov_b32 s14, -1
	s_mov_b32 s35, exec_lo
                                        ; implicit-def: $sgpr31
	v_cmpx_eq_u16_e64 0x80, v176
; %bb.6186:                             ;   in Loop: Header=BB2_5650 Depth=3
	s_mov_b32 s31, 0x7f800001
	s_xor_b32 s14, exec_lo, -1
; %bb.6187:                             ;   in Loop: Header=BB2_5650 Depth=3
	s_or_b32 exec_lo, exec_lo, s35
	s_delay_alu instid0(SALU_CYCLE_1)
	s_and_b32 s14, s14, exec_lo
                                        ; implicit-def: $vgpr176
	s_or_saveexec_b32 s34, s34
	v_mov_b32_e32 v167, s31
	s_xor_b32 exec_lo, exec_lo, s34
	s_cbranch_execz .LBB2_5885
.LBB2_6188:                             ;   in Loop: Header=BB2_5650 Depth=3
	v_cmp_ne_u16_e64 vcc_lo, 0, v176
	v_mov_b32_e32 v167, 0
	s_and_not1_b32 s14, s14, exec_lo
	s_delay_alu instid0(VALU_DEP_2) | instskip(NEXT) | instid1(SALU_CYCLE_1)
	s_and_b32 vcc_lo, vcc_lo, exec_lo
	s_or_b32 s14, s14, vcc_lo
	s_or_b32 exec_lo, exec_lo, s34
	s_and_saveexec_b32 s31, s14
	s_cbranch_execnz .LBB2_5886
	s_branch .LBB2_5887
.LBB2_6189:                             ;   in Loop: Header=BB2_5650 Depth=3
	s_mov_b32 s14, -1
	s_mov_b32 s35, exec_lo
                                        ; implicit-def: $sgpr31
	v_cmpx_eq_u16_e64 0x80, v177
; %bb.6190:                             ;   in Loop: Header=BB2_5650 Depth=3
	s_mov_b32 s31, 0x7f800001
	s_xor_b32 s14, exec_lo, -1
; %bb.6191:                             ;   in Loop: Header=BB2_5650 Depth=3
	s_or_b32 exec_lo, exec_lo, s35
	s_delay_alu instid0(SALU_CYCLE_1)
	s_and_b32 s14, s14, exec_lo
                                        ; implicit-def: $vgpr177
	s_or_saveexec_b32 s34, s34
	v_mov_b32_e32 v176, s31
	s_xor_b32 exec_lo, exec_lo, s34
	s_cbranch_execz .LBB2_5889
.LBB2_6192:                             ;   in Loop: Header=BB2_5650 Depth=3
	v_cmp_ne_u16_e64 vcc_lo, 0, v177
	v_mov_b32_e32 v176, 0
	s_and_not1_b32 s14, s14, exec_lo
	s_delay_alu instid0(VALU_DEP_2) | instskip(NEXT) | instid1(SALU_CYCLE_1)
	s_and_b32 vcc_lo, vcc_lo, exec_lo
	s_or_b32 s14, s14, vcc_lo
	s_or_b32 exec_lo, exec_lo, s34
	s_and_saveexec_b32 s31, s14
	s_cbranch_execnz .LBB2_5890
	s_branch .LBB2_5891
.LBB2_6193:                             ;   in Loop: Header=BB2_5650 Depth=3
	s_mov_b32 s14, -1
	s_mov_b32 s35, exec_lo
                                        ; implicit-def: $sgpr31
	v_cmpx_eq_u16_e64 0x80, v176
; %bb.6194:                             ;   in Loop: Header=BB2_5650 Depth=3
	s_mov_b32 s31, 0x7f800001
	s_xor_b32 s14, exec_lo, -1
; %bb.6195:                             ;   in Loop: Header=BB2_5650 Depth=3
	s_or_b32 exec_lo, exec_lo, s35
	s_delay_alu instid0(SALU_CYCLE_1)
	s_and_b32 s14, s14, exec_lo
	s_or_saveexec_b32 s34, s34
	v_mov_b32_e32 v167, s31
	s_xor_b32 exec_lo, exec_lo, s34
	s_cbranch_execz .LBB2_5901
.LBB2_6196:                             ;   in Loop: Header=BB2_5650 Depth=3
	v_cmp_ne_u16_e64 vcc_lo, 0, v176
	v_mov_b32_e32 v167, 0
	s_and_not1_b32 s14, s14, exec_lo
	s_delay_alu instid0(VALU_DEP_2) | instskip(NEXT) | instid1(SALU_CYCLE_1)
	s_and_b32 vcc_lo, vcc_lo, exec_lo
	s_or_b32 s14, s14, vcc_lo
	s_or_b32 exec_lo, exec_lo, s34
	s_and_saveexec_b32 s31, s14
	s_cbranch_execnz .LBB2_5902
	s_branch .LBB2_5903
.LBB2_6197:                             ;   in Loop: Header=BB2_5650 Depth=3
	s_mov_b32 s14, -1
	s_mov_b32 s35, exec_lo
                                        ; implicit-def: $sgpr31
	v_cmpx_eq_u16_e64 0x80, v164
; %bb.6198:                             ;   in Loop: Header=BB2_5650 Depth=3
	s_mov_b32 s31, 0x7f800001
	s_xor_b32 s14, exec_lo, -1
; %bb.6199:                             ;   in Loop: Header=BB2_5650 Depth=3
	s_or_b32 exec_lo, exec_lo, s35
	s_delay_alu instid0(SALU_CYCLE_1)
	s_and_b32 s14, s14, exec_lo
	s_or_saveexec_b32 s34, s34
	v_mov_b32_e32 v176, s31
	s_xor_b32 exec_lo, exec_lo, s34
	s_cbranch_execz .LBB2_5905
.LBB2_6200:                             ;   in Loop: Header=BB2_5650 Depth=3
	v_cmp_ne_u16_e64 vcc_lo, 0, v164
	v_mov_b32_e32 v176, 0
	s_and_not1_b32 s14, s14, exec_lo
	s_delay_alu instid0(VALU_DEP_2) | instskip(NEXT) | instid1(SALU_CYCLE_1)
	s_and_b32 vcc_lo, vcc_lo, exec_lo
	s_or_b32 s14, s14, vcc_lo
	s_or_b32 exec_lo, exec_lo, s34
	s_and_saveexec_b32 s31, s14
	s_cbranch_execnz .LBB2_5906
	s_branch .LBB2_5907
.LBB2_6201:                             ;   in Loop: Header=BB2_5650 Depth=3
	s_mov_b32 s14, -1
	s_mov_b32 s35, exec_lo
                                        ; implicit-def: $sgpr31
	v_cmpx_eq_u16_e64 0x80, v164
; %bb.6202:                             ;   in Loop: Header=BB2_5650 Depth=3
	s_mov_b32 s31, 0x7f800001
	s_xor_b32 s14, exec_lo, -1
; %bb.6203:                             ;   in Loop: Header=BB2_5650 Depth=3
	s_or_b32 exec_lo, exec_lo, s35
	s_delay_alu instid0(SALU_CYCLE_1)
	s_and_b32 s14, s14, exec_lo
                                        ; implicit-def: $vgpr164
	s_or_saveexec_b32 s34, s34
	v_mov_b32_e32 v163, s31
	s_xor_b32 exec_lo, exec_lo, s34
	s_cbranch_execz .LBB2_5917
.LBB2_6204:                             ;   in Loop: Header=BB2_5650 Depth=3
	v_cmp_ne_u16_e64 vcc_lo, 0, v164
	v_mov_b32_e32 v163, 0
	s_and_not1_b32 s14, s14, exec_lo
	s_delay_alu instid0(VALU_DEP_2) | instskip(NEXT) | instid1(SALU_CYCLE_1)
	s_and_b32 vcc_lo, vcc_lo, exec_lo
	s_or_b32 s14, s14, vcc_lo
	s_or_b32 exec_lo, exec_lo, s34
	s_and_saveexec_b32 s31, s14
	s_cbranch_execnz .LBB2_5918
	s_branch .LBB2_5919
.LBB2_6205:                             ;   in Loop: Header=BB2_5650 Depth=3
	s_mov_b32 s14, -1
	s_mov_b32 s35, exec_lo
                                        ; implicit-def: $sgpr31
	v_cmpx_eq_u16_e64 0x80, v167
; %bb.6206:                             ;   in Loop: Header=BB2_5650 Depth=3
	s_mov_b32 s31, 0x7f800001
	s_xor_b32 s14, exec_lo, -1
; %bb.6207:                             ;   in Loop: Header=BB2_5650 Depth=3
	s_or_b32 exec_lo, exec_lo, s35
	s_delay_alu instid0(SALU_CYCLE_1)
	s_and_b32 s14, s14, exec_lo
                                        ; implicit-def: $vgpr167
	s_or_saveexec_b32 s34, s34
	v_mov_b32_e32 v164, s31
	s_xor_b32 exec_lo, exec_lo, s34
	s_cbranch_execz .LBB2_5921
.LBB2_6208:                             ;   in Loop: Header=BB2_5650 Depth=3
	v_cmp_ne_u16_e64 vcc_lo, 0, v167
	v_mov_b32_e32 v164, 0
	s_and_not1_b32 s14, s14, exec_lo
	s_delay_alu instid0(VALU_DEP_2) | instskip(NEXT) | instid1(SALU_CYCLE_1)
	s_and_b32 vcc_lo, vcc_lo, exec_lo
	s_or_b32 s14, s14, vcc_lo
	s_or_b32 exec_lo, exec_lo, s34
	s_and_saveexec_b32 s31, s14
	s_cbranch_execnz .LBB2_5922
	s_branch .LBB2_5923
.LBB2_6209:                             ;   in Loop: Header=BB2_5650 Depth=3
	s_mov_b32 s14, -1
	s_mov_b32 s35, exec_lo
                                        ; implicit-def: $sgpr31
	v_cmpx_eq_u16_e64 0x80, v167
; %bb.6210:                             ;   in Loop: Header=BB2_5650 Depth=3
	s_mov_b32 s31, 0x7f800001
	s_xor_b32 s14, exec_lo, -1
; %bb.6211:                             ;   in Loop: Header=BB2_5650 Depth=3
	s_or_b32 exec_lo, exec_lo, s35
	s_delay_alu instid0(SALU_CYCLE_1)
	s_and_b32 s14, s14, exec_lo
	s_or_saveexec_b32 s34, s34
	v_mov_b32_e32 v164, s31
	s_xor_b32 exec_lo, exec_lo, s34
	s_cbranch_execz .LBB2_5933
.LBB2_6212:                             ;   in Loop: Header=BB2_5650 Depth=3
	v_cmp_ne_u16_e64 vcc_lo, 0, v167
	v_mov_b32_e32 v164, 0
	s_and_not1_b32 s14, s14, exec_lo
	s_delay_alu instid0(VALU_DEP_2) | instskip(NEXT) | instid1(SALU_CYCLE_1)
	s_and_b32 vcc_lo, vcc_lo, exec_lo
	s_or_b32 s14, s14, vcc_lo
	s_or_b32 exec_lo, exec_lo, s34
	s_and_saveexec_b32 s31, s14
	s_cbranch_execnz .LBB2_5934
	s_branch .LBB2_5935
.LBB2_6213:                             ;   in Loop: Header=BB2_5650 Depth=3
	s_mov_b32 s14, -1
	s_mov_b32 s35, exec_lo
                                        ; implicit-def: $sgpr31
	v_cmpx_eq_u16_e64 0x80, v167
; %bb.6214:                             ;   in Loop: Header=BB2_5650 Depth=3
	s_mov_b32 s31, 0x7f800001
	s_xor_b32 s14, exec_lo, -1
; %bb.6215:                             ;   in Loop: Header=BB2_5650 Depth=3
	s_or_b32 exec_lo, exec_lo, s35
	s_delay_alu instid0(SALU_CYCLE_1)
	s_and_b32 s14, s14, exec_lo
	s_or_saveexec_b32 s34, s34
	v_mov_b32_e32 v176, s31
	s_xor_b32 exec_lo, exec_lo, s34
	s_cbranch_execz .LBB2_5937
.LBB2_6216:                             ;   in Loop: Header=BB2_5650 Depth=3
	v_cmp_ne_u16_e64 vcc_lo, 0, v167
	v_mov_b32_e32 v176, 0
	s_and_not1_b32 s14, s14, exec_lo
	s_delay_alu instid0(VALU_DEP_2) | instskip(NEXT) | instid1(SALU_CYCLE_1)
	s_and_b32 vcc_lo, vcc_lo, exec_lo
	s_or_b32 s14, s14, vcc_lo
	s_or_b32 exec_lo, exec_lo, s34
	s_and_saveexec_b32 s31, s14
	s_cbranch_execnz .LBB2_5938
	s_branch .LBB2_5939
.LBB2_6217:                             ;   in Loop: Header=BB2_5650 Depth=3
	s_mov_b32 s14, -1
	s_mov_b32 s35, exec_lo
                                        ; implicit-def: $sgpr31
	v_cmpx_eq_u16_e64 0x80, v167
; %bb.6218:                             ;   in Loop: Header=BB2_5650 Depth=3
	s_mov_b32 s31, 0x7f800001
	s_xor_b32 s14, exec_lo, -1
; %bb.6219:                             ;   in Loop: Header=BB2_5650 Depth=3
	s_or_b32 exec_lo, exec_lo, s35
	s_delay_alu instid0(SALU_CYCLE_1)
	s_and_b32 s14, s14, exec_lo
                                        ; implicit-def: $vgpr167
	s_or_saveexec_b32 s34, s34
	v_mov_b32_e32 v162, s31
	s_xor_b32 exec_lo, exec_lo, s34
	s_cbranch_execz .LBB2_5949
.LBB2_6220:                             ;   in Loop: Header=BB2_5650 Depth=3
	v_cmp_ne_u16_e64 vcc_lo, 0, v167
	v_mov_b32_e32 v162, 0
	s_and_not1_b32 s14, s14, exec_lo
	s_delay_alu instid0(VALU_DEP_2) | instskip(NEXT) | instid1(SALU_CYCLE_1)
	s_and_b32 vcc_lo, vcc_lo, exec_lo
	s_or_b32 s14, s14, vcc_lo
	s_or_b32 exec_lo, exec_lo, s34
	v_lshl_or_b32 v165, v165, 16, v166
	s_and_saveexec_b32 s31, s14
	s_cbranch_execnz .LBB2_5950
	s_branch .LBB2_5951
.LBB2_6221:                             ;   in Loop: Header=BB2_5650 Depth=3
	s_mov_b32 s14, -1
	s_mov_b32 s35, exec_lo
                                        ; implicit-def: $sgpr31
	v_cmpx_eq_u16_e64 0x80, v176
; %bb.6222:                             ;   in Loop: Header=BB2_5650 Depth=3
	s_mov_b32 s31, 0x7f800001
	s_xor_b32 s14, exec_lo, -1
; %bb.6223:                             ;   in Loop: Header=BB2_5650 Depth=3
	s_or_b32 exec_lo, exec_lo, s35
	s_delay_alu instid0(SALU_CYCLE_1)
	s_and_b32 s14, s14, exec_lo
                                        ; implicit-def: $vgpr176
	s_or_saveexec_b32 s34, s34
	v_mov_b32_e32 v167, s31
	s_xor_b32 exec_lo, exec_lo, s34
	s_cbranch_execz .LBB2_5953
.LBB2_6224:                             ;   in Loop: Header=BB2_5650 Depth=3
	v_cmp_ne_u16_e64 vcc_lo, 0, v176
	v_mov_b32_e32 v167, 0
	s_and_not1_b32 s14, s14, exec_lo
	s_delay_alu instid0(VALU_DEP_2) | instskip(NEXT) | instid1(SALU_CYCLE_1)
	s_and_b32 vcc_lo, vcc_lo, exec_lo
	s_or_b32 s14, s14, vcc_lo
	s_or_b32 exec_lo, exec_lo, s34
	s_and_saveexec_b32 s31, s14
	s_cbranch_execnz .LBB2_5954
	s_branch .LBB2_5955
.LBB2_6225:                             ;   in Loop: Header=BB2_5650 Depth=3
	s_mov_b32 s14, -1
	s_mov_b32 s35, exec_lo
                                        ; implicit-def: $sgpr31
	v_cmpx_eq_u16_e64 0x80, v167
; %bb.6226:                             ;   in Loop: Header=BB2_5650 Depth=3
	s_mov_b32 s31, 0x7f800001
	s_xor_b32 s14, exec_lo, -1
; %bb.6227:                             ;   in Loop: Header=BB2_5650 Depth=3
	s_or_b32 exec_lo, exec_lo, s35
	s_delay_alu instid0(SALU_CYCLE_1)
	s_and_b32 s14, s14, exec_lo
	s_or_saveexec_b32 s34, s34
	v_mov_b32_e32 v166, s31
	s_xor_b32 exec_lo, exec_lo, s34
	s_cbranch_execz .LBB2_5965
.LBB2_6228:                             ;   in Loop: Header=BB2_5650 Depth=3
	v_cmp_ne_u16_e64 vcc_lo, 0, v167
	v_mov_b32_e32 v166, 0
	s_and_not1_b32 s14, s14, exec_lo
	s_delay_alu instid0(VALU_DEP_2) | instskip(NEXT) | instid1(SALU_CYCLE_1)
	s_and_b32 vcc_lo, vcc_lo, exec_lo
	s_or_b32 s14, s14, vcc_lo
	s_or_b32 exec_lo, exec_lo, s34
	s_and_saveexec_b32 s31, s14
	s_cbranch_execnz .LBB2_5966
	s_branch .LBB2_5967
.LBB2_6229:                             ;   in Loop: Header=BB2_5650 Depth=3
	s_mov_b32 s14, -1
	s_mov_b32 s35, exec_lo
                                        ; implicit-def: $sgpr31
	v_cmpx_eq_u16_e64 0x80, v165
; %bb.6230:                             ;   in Loop: Header=BB2_5650 Depth=3
	s_mov_b32 s31, 0x7f800001
	s_xor_b32 s14, exec_lo, -1
; %bb.6231:                             ;   in Loop: Header=BB2_5650 Depth=3
	s_or_b32 exec_lo, exec_lo, s35
	s_delay_alu instid0(SALU_CYCLE_1)
	s_and_b32 s14, s14, exec_lo
	s_or_saveexec_b32 s34, s34
	v_mov_b32_e32 v167, s31
	s_xor_b32 exec_lo, exec_lo, s34
	s_cbranch_execz .LBB2_5969
.LBB2_6232:                             ;   in Loop: Header=BB2_5650 Depth=3
	v_cmp_ne_u16_e64 vcc_lo, 0, v165
	v_mov_b32_e32 v167, 0
	s_and_not1_b32 s14, s14, exec_lo
	s_delay_alu instid0(VALU_DEP_2) | instskip(NEXT) | instid1(SALU_CYCLE_1)
	s_and_b32 vcc_lo, vcc_lo, exec_lo
	s_or_b32 s14, s14, vcc_lo
	s_or_b32 exec_lo, exec_lo, s34
	s_and_saveexec_b32 s31, s14
	s_cbranch_execnz .LBB2_5970
	s_branch .LBB2_5971
.LBB2_6233:                             ;   in Loop: Header=BB2_5650 Depth=3
	s_mov_b32 s14, -1
	s_mov_b32 s35, exec_lo
                                        ; implicit-def: $sgpr31
	v_cmpx_eq_u16_e64 0x80, v166
; %bb.6234:                             ;   in Loop: Header=BB2_5650 Depth=3
	s_mov_b32 s31, 0x7f800001
	s_xor_b32 s14, exec_lo, -1
; %bb.6235:                             ;   in Loop: Header=BB2_5650 Depth=3
	s_or_b32 exec_lo, exec_lo, s35
	s_delay_alu instid0(SALU_CYCLE_1)
	s_and_b32 s14, s14, exec_lo
                                        ; implicit-def: $vgpr166
	s_or_saveexec_b32 s34, s34
	v_mov_b32_e32 v165, s31
	s_xor_b32 exec_lo, exec_lo, s34
	s_cbranch_execz .LBB2_5981
.LBB2_6236:                             ;   in Loop: Header=BB2_5650 Depth=3
	v_cmp_ne_u16_e64 vcc_lo, 0, v166
	v_mov_b32_e32 v165, 0
	s_and_not1_b32 s14, s14, exec_lo
	s_delay_alu instid0(VALU_DEP_2) | instskip(NEXT) | instid1(SALU_CYCLE_1)
	s_and_b32 vcc_lo, vcc_lo, exec_lo
	s_or_b32 s14, s14, vcc_lo
	s_or_b32 exec_lo, exec_lo, s34
	s_and_saveexec_b32 s31, s14
	s_cbranch_execnz .LBB2_5982
	s_branch .LBB2_5983
.LBB2_6237:                             ;   in Loop: Header=BB2_5650 Depth=3
	s_mov_b32 s14, -1
	s_mov_b32 s35, exec_lo
                                        ; implicit-def: $sgpr31
	v_cmpx_eq_u16_e64 0x80, v166
; %bb.6238:                             ;   in Loop: Header=BB2_5650 Depth=3
	s_mov_b32 s31, 0x7f800001
	s_xor_b32 s14, exec_lo, -1
; %bb.6239:                             ;   in Loop: Header=BB2_5650 Depth=3
	s_or_b32 exec_lo, exec_lo, s35
	s_delay_alu instid0(SALU_CYCLE_1)
	s_and_b32 s14, s14, exec_lo
                                        ; implicit-def: $vgpr166
	s_or_saveexec_b32 s34, s34
	v_mov_b32_e32 v160, s31
	s_xor_b32 exec_lo, exec_lo, s34
	s_cbranch_execz .LBB2_5985
.LBB2_6240:                             ;   in Loop: Header=BB2_5650 Depth=3
	v_cmp_ne_u16_e64 vcc_lo, 0, v166
	v_mov_b32_e32 v160, 0
	s_and_not1_b32 s14, s14, exec_lo
	s_delay_alu instid0(VALU_DEP_2) | instskip(NEXT) | instid1(SALU_CYCLE_1)
	s_and_b32 vcc_lo, vcc_lo, exec_lo
	s_or_b32 s14, s14, vcc_lo
	s_or_b32 exec_lo, exec_lo, s34
	s_and_saveexec_b32 s31, s14
	s_cbranch_execnz .LBB2_5986
	s_branch .LBB2_5987
.LBB2_6241:                             ;   in Loop: Header=BB2_5650 Depth=3
	s_mov_b32 s14, -1
	s_mov_b32 s35, exec_lo
                                        ; implicit-def: $sgpr31
	v_cmpx_eq_u16_e64 0x80, v166
; %bb.6242:                             ;   in Loop: Header=BB2_5650 Depth=3
	s_mov_b32 s31, 0x7f800001
	s_xor_b32 s14, exec_lo, -1
; %bb.6243:                             ;   in Loop: Header=BB2_5650 Depth=3
	s_or_b32 exec_lo, exec_lo, s35
	s_delay_alu instid0(SALU_CYCLE_1)
	s_and_b32 s14, s14, exec_lo
                                        ; implicit-def: $vgpr166
	s_or_saveexec_b32 s34, s34
	v_mov_b32_e32 v165, s31
	s_xor_b32 exec_lo, exec_lo, s34
	s_cbranch_execz .LBB2_5997
.LBB2_6244:                             ;   in Loop: Header=BB2_5650 Depth=3
	v_cmp_ne_u16_e64 vcc_lo, 0, v166
	v_mov_b32_e32 v165, 0
	s_and_not1_b32 s14, s14, exec_lo
	s_delay_alu instid0(VALU_DEP_2) | instskip(NEXT) | instid1(SALU_CYCLE_1)
	s_and_b32 vcc_lo, vcc_lo, exec_lo
	s_or_b32 s14, s14, vcc_lo
	s_or_b32 exec_lo, exec_lo, s34
	s_and_saveexec_b32 s31, s14
	s_cbranch_execnz .LBB2_5998
	s_branch .LBB2_5999
.LBB2_6245:                             ;   in Loop: Header=BB2_5650 Depth=3
	s_mov_b32 s14, -1
	s_mov_b32 s35, exec_lo
                                        ; implicit-def: $sgpr31
	v_cmpx_eq_u16_e64 0x80, v150
; %bb.6246:                             ;   in Loop: Header=BB2_5650 Depth=3
	s_mov_b32 s31, 0x7f800001
	s_xor_b32 s14, exec_lo, -1
; %bb.6247:                             ;   in Loop: Header=BB2_5650 Depth=3
	s_or_b32 exec_lo, exec_lo, s35
	s_delay_alu instid0(SALU_CYCLE_1)
	s_and_b32 s14, s14, exec_lo
	s_or_saveexec_b32 s34, s34
	v_mov_b32_e32 v166, s31
	s_xor_b32 exec_lo, exec_lo, s34
	s_cbranch_execz .LBB2_6001
.LBB2_6248:                             ;   in Loop: Header=BB2_5650 Depth=3
	v_cmp_ne_u16_e64 vcc_lo, 0, v150
	v_mov_b32_e32 v166, 0
	s_and_not1_b32 s14, s14, exec_lo
	s_delay_alu instid0(VALU_DEP_2) | instskip(NEXT) | instid1(SALU_CYCLE_1)
	s_and_b32 vcc_lo, vcc_lo, exec_lo
	s_or_b32 s14, s14, vcc_lo
	s_or_b32 exec_lo, exec_lo, s34
	s_and_saveexec_b32 s31, s14
	s_cbranch_execnz .LBB2_6002
	s_branch .LBB2_6003
.LBB2_6249:                             ;   in Loop: Header=BB2_5650 Depth=3
	s_mov_b32 s14, -1
	s_mov_b32 s35, exec_lo
                                        ; implicit-def: $sgpr31
	v_cmpx_eq_u16_e64 0x80, v166
; %bb.6250:                             ;   in Loop: Header=BB2_5650 Depth=3
	s_mov_b32 s31, 0x7f800001
	s_xor_b32 s14, exec_lo, -1
; %bb.6251:                             ;   in Loop: Header=BB2_5650 Depth=3
	s_or_b32 exec_lo, exec_lo, s35
	s_delay_alu instid0(SALU_CYCLE_1)
	s_and_b32 s14, s14, exec_lo
                                        ; implicit-def: $vgpr166
	s_or_saveexec_b32 s34, s34
	v_mov_b32_e32 v165, s31
	s_xor_b32 exec_lo, exec_lo, s34
	s_cbranch_execz .LBB2_6013
.LBB2_6252:                             ;   in Loop: Header=BB2_5650 Depth=3
	v_cmp_ne_u16_e64 vcc_lo, 0, v166
	v_mov_b32_e32 v165, 0
	s_and_not1_b32 s14, s14, exec_lo
	s_delay_alu instid0(VALU_DEP_2) | instskip(NEXT) | instid1(SALU_CYCLE_1)
	s_and_b32 vcc_lo, vcc_lo, exec_lo
	s_or_b32 s14, s14, vcc_lo
	s_or_b32 exec_lo, exec_lo, s34
	s_and_saveexec_b32 s31, s14
	s_cbranch_execnz .LBB2_6014
	s_branch .LBB2_6015
.LBB2_6253:                             ;   in Loop: Header=BB2_5650 Depth=3
	s_mov_b32 s14, -1
	s_mov_b32 s35, exec_lo
                                        ; implicit-def: $sgpr31
	v_cmpx_eq_u16_e64 0x80, v167
; %bb.6254:                             ;   in Loop: Header=BB2_5650 Depth=3
	s_mov_b32 s31, 0x7f800001
	s_xor_b32 s14, exec_lo, -1
; %bb.6255:                             ;   in Loop: Header=BB2_5650 Depth=3
	s_or_b32 exec_lo, exec_lo, s35
	s_delay_alu instid0(SALU_CYCLE_1)
	s_and_b32 s14, s14, exec_lo
                                        ; implicit-def: $vgpr167
	s_or_saveexec_b32 s34, s34
	v_mov_b32_e32 v166, s31
	s_xor_b32 exec_lo, exec_lo, s34
	s_cbranch_execz .LBB2_6017
.LBB2_6256:                             ;   in Loop: Header=BB2_5650 Depth=3
	v_cmp_ne_u16_e64 vcc_lo, 0, v167
	v_mov_b32_e32 v166, 0
	s_and_not1_b32 s14, s14, exec_lo
	s_delay_alu instid0(VALU_DEP_2) | instskip(NEXT) | instid1(SALU_CYCLE_1)
	s_and_b32 vcc_lo, vcc_lo, exec_lo
	s_or_b32 s14, s14, vcc_lo
	s_or_b32 exec_lo, exec_lo, s34
	s_and_saveexec_b32 s31, s14
	s_cbranch_execnz .LBB2_6018
	s_branch .LBB2_6019
.LBB2_6257:                             ;   in Loop: Header=BB2_5650 Depth=3
	s_mov_b32 s14, -1
	s_mov_b32 s35, exec_lo
                                        ; implicit-def: $sgpr31
	v_cmpx_eq_u16_e64 0x80, v166
; %bb.6258:                             ;   in Loop: Header=BB2_5650 Depth=3
	s_mov_b32 s31, 0x7f800001
	s_xor_b32 s14, exec_lo, -1
; %bb.6259:                             ;   in Loop: Header=BB2_5650 Depth=3
	s_or_b32 exec_lo, exec_lo, s35
	s_delay_alu instid0(SALU_CYCLE_1)
	s_and_b32 s14, s14, exec_lo
	s_or_saveexec_b32 s34, s34
	v_mov_b32_e32 v165, s31
	s_xor_b32 exec_lo, exec_lo, s34
	s_cbranch_execz .LBB2_6029
.LBB2_6260:                             ;   in Loop: Header=BB2_5650 Depth=3
	v_cmp_ne_u16_e64 vcc_lo, 0, v166
	v_mov_b32_e32 v165, 0
	s_and_not1_b32 s14, s14, exec_lo
	s_delay_alu instid0(VALU_DEP_2) | instskip(NEXT) | instid1(SALU_CYCLE_1)
	s_and_b32 vcc_lo, vcc_lo, exec_lo
	s_or_b32 s14, s14, vcc_lo
	s_or_b32 exec_lo, exec_lo, s34
	s_and_saveexec_b32 s31, s14
	s_cbranch_execnz .LBB2_6030
	s_branch .LBB2_6031
.LBB2_6261:                             ;   in Loop: Header=BB2_5650 Depth=3
	s_mov_b32 s14, -1
	s_mov_b32 s35, exec_lo
                                        ; implicit-def: $sgpr31
	v_cmpx_eq_u16_e64 0x80, v146
; %bb.6262:                             ;   in Loop: Header=BB2_5650 Depth=3
	s_mov_b32 s31, 0x7f800001
	s_xor_b32 s14, exec_lo, -1
; %bb.6263:                             ;   in Loop: Header=BB2_5650 Depth=3
	s_or_b32 exec_lo, exec_lo, s35
	s_delay_alu instid0(SALU_CYCLE_1)
	s_and_b32 s14, s14, exec_lo
	s_or_saveexec_b32 s34, s34
	v_mov_b32_e32 v166, s31
	s_xor_b32 exec_lo, exec_lo, s34
	s_cbranch_execz .LBB2_6033
.LBB2_6264:                             ;   in Loop: Header=BB2_5650 Depth=3
	v_cmp_ne_u16_e64 vcc_lo, 0, v146
	v_mov_b32_e32 v166, 0
	s_and_not1_b32 s14, s14, exec_lo
	s_delay_alu instid0(VALU_DEP_2) | instskip(NEXT) | instid1(SALU_CYCLE_1)
	s_and_b32 vcc_lo, vcc_lo, exec_lo
	s_or_b32 s14, s14, vcc_lo
	s_or_b32 exec_lo, exec_lo, s34
	s_and_saveexec_b32 s31, s14
	s_cbranch_execnz .LBB2_6034
	s_branch .LBB2_6035
.LBB2_6265:                             ;   in Loop: Header=BB2_5650 Depth=3
	s_mov_b32 s14, -1
	s_mov_b32 s35, exec_lo
                                        ; implicit-def: $sgpr31
	v_cmpx_eq_u16_e64 0x80, v151
; %bb.6266:                             ;   in Loop: Header=BB2_5650 Depth=3
	s_mov_b32 s31, 0x7f800001
	s_xor_b32 s14, exec_lo, -1
; %bb.6267:                             ;   in Loop: Header=BB2_5650 Depth=3
	s_or_b32 exec_lo, exec_lo, s35
	s_delay_alu instid0(SALU_CYCLE_1)
	s_and_b32 s14, s14, exec_lo
                                        ; implicit-def: $vgpr151
	s_or_saveexec_b32 s34, s34
	v_mov_b32_e32 v145, s31
	s_xor_b32 exec_lo, exec_lo, s34
	s_cbranch_execz .LBB2_6045
.LBB2_6268:                             ;   in Loop: Header=BB2_5650 Depth=3
	v_cmp_ne_u16_e64 vcc_lo, 0, v151
	v_mov_b32_e32 v145, 0
	s_and_not1_b32 s14, s14, exec_lo
	s_delay_alu instid0(VALU_DEP_2) | instskip(NEXT) | instid1(SALU_CYCLE_1)
	s_and_b32 vcc_lo, vcc_lo, exec_lo
	s_or_b32 s14, s14, vcc_lo
	s_or_b32 exec_lo, exec_lo, s34
	s_and_saveexec_b32 s31, s14
	s_cbranch_execnz .LBB2_6046
	s_branch .LBB2_6047
.LBB2_6269:                             ;   in Loop: Header=BB2_5650 Depth=3
	s_mov_b32 s14, -1
	s_mov_b32 s35, exec_lo
                                        ; implicit-def: $sgpr31
	v_cmpx_eq_u16_e64 0x80, v165
; %bb.6270:                             ;   in Loop: Header=BB2_5650 Depth=3
	s_mov_b32 s31, 0x7f800001
	s_xor_b32 s14, exec_lo, -1
; %bb.6271:                             ;   in Loop: Header=BB2_5650 Depth=3
	s_or_b32 exec_lo, exec_lo, s35
	s_delay_alu instid0(SALU_CYCLE_1)
	s_and_b32 s14, s14, exec_lo
                                        ; implicit-def: $vgpr165
	s_or_saveexec_b32 s34, s34
	v_mov_b32_e32 v151, s31
	s_xor_b32 exec_lo, exec_lo, s34
	s_cbranch_execz .LBB2_6049
.LBB2_6272:                             ;   in Loop: Header=BB2_5650 Depth=3
	v_cmp_ne_u16_e64 vcc_lo, 0, v165
	v_mov_b32_e32 v151, 0
	s_and_not1_b32 s14, s14, exec_lo
	s_delay_alu instid0(VALU_DEP_2) | instskip(NEXT) | instid1(SALU_CYCLE_1)
	s_and_b32 vcc_lo, vcc_lo, exec_lo
	s_or_b32 s14, s14, vcc_lo
	s_or_b32 exec_lo, exec_lo, s34
	s_and_saveexec_b32 s31, s14
	s_cbranch_execnz .LBB2_6050
	s_branch .LBB2_6051
.LBB2_6273:                             ;   in Loop: Header=BB2_5650 Depth=3
	s_mov_b32 s14, -1
	s_mov_b32 s35, exec_lo
                                        ; implicit-def: $sgpr31
	v_cmpx_eq_u16_e64 0x80, v165
; %bb.6274:                             ;   in Loop: Header=BB2_5650 Depth=3
	s_mov_b32 s31, 0x7f800001
	s_xor_b32 s14, exec_lo, -1
; %bb.6275:                             ;   in Loop: Header=BB2_5650 Depth=3
	s_or_b32 exec_lo, exec_lo, s35
	s_delay_alu instid0(SALU_CYCLE_1)
	s_and_b32 s14, s14, exec_lo
	s_or_saveexec_b32 s34, s34
	v_mov_b32_e32 v151, s31
	s_xor_b32 exec_lo, exec_lo, s34
	s_cbranch_execz .LBB2_6061
.LBB2_6276:                             ;   in Loop: Header=BB2_5650 Depth=3
	v_cmp_ne_u16_e64 vcc_lo, 0, v165
	v_mov_b32_e32 v151, 0
	s_and_not1_b32 s14, s14, exec_lo
	s_delay_alu instid0(VALU_DEP_2) | instskip(NEXT) | instid1(SALU_CYCLE_1)
	s_and_b32 vcc_lo, vcc_lo, exec_lo
	s_or_b32 s14, s14, vcc_lo
	s_or_b32 exec_lo, exec_lo, s34
	s_and_saveexec_b32 s31, s14
	s_cbranch_execnz .LBB2_6062
	s_branch .LBB2_6063
.LBB2_6277:                             ;   in Loop: Header=BB2_5650 Depth=3
	s_mov_b32 s14, -1
	s_mov_b32 s35, exec_lo
                                        ; implicit-def: $sgpr31
	v_cmpx_eq_u16_e64 0x80, v165
; %bb.6278:                             ;   in Loop: Header=BB2_5650 Depth=3
	s_mov_b32 s31, 0x7f800001
	s_xor_b32 s14, exec_lo, -1
; %bb.6279:                             ;   in Loop: Header=BB2_5650 Depth=3
	s_or_b32 exec_lo, exec_lo, s35
	s_delay_alu instid0(SALU_CYCLE_1)
	s_and_b32 s14, s14, exec_lo
	s_or_saveexec_b32 s34, s34
	v_mov_b32_e32 v166, s31
	s_xor_b32 exec_lo, exec_lo, s34
	s_cbranch_execz .LBB2_6065
.LBB2_6280:                             ;   in Loop: Header=BB2_5650 Depth=3
	v_cmp_ne_u16_e64 vcc_lo, 0, v165
	v_mov_b32_e32 v166, 0
	s_and_not1_b32 s14, s14, exec_lo
	s_delay_alu instid0(VALU_DEP_2) | instskip(NEXT) | instid1(SALU_CYCLE_1)
	s_and_b32 vcc_lo, vcc_lo, exec_lo
	s_or_b32 s14, s14, vcc_lo
	s_or_b32 exec_lo, exec_lo, s34
	s_and_saveexec_b32 s31, s14
	s_cbranch_execnz .LBB2_6066
	s_branch .LBB2_6067
.LBB2_6281:                             ;   in Loop: Header=BB2_5650 Depth=3
	s_mov_b32 s14, -1
	s_mov_b32 s35, exec_lo
                                        ; implicit-def: $sgpr31
	v_cmpx_eq_u16_e64 0x80, v165
; %bb.6282:                             ;   in Loop: Header=BB2_5650 Depth=3
	s_mov_b32 s31, 0x7f800001
	s_xor_b32 s14, exec_lo, -1
; %bb.6283:                             ;   in Loop: Header=BB2_5650 Depth=3
	s_or_b32 exec_lo, exec_lo, s35
	s_delay_alu instid0(SALU_CYCLE_1)
	s_and_b32 s14, s14, exec_lo
                                        ; implicit-def: $vgpr165
	s_or_saveexec_b32 s34, s34
	v_mov_b32_e32 v144, s31
	s_xor_b32 exec_lo, exec_lo, s34
	s_cbranch_execz .LBB2_6077
.LBB2_6284:                             ;   in Loop: Header=BB2_5650 Depth=3
	v_cmp_ne_u16_e64 vcc_lo, 0, v165
	v_mov_b32_e32 v144, 0
	s_and_not1_b32 s14, s14, exec_lo
	s_delay_alu instid0(VALU_DEP_2) | instskip(NEXT) | instid1(SALU_CYCLE_1)
	s_and_b32 vcc_lo, vcc_lo, exec_lo
	s_or_b32 s14, s14, vcc_lo
	s_or_b32 exec_lo, exec_lo, s34
	v_lshl_or_b32 v146, v148, 16, v146
	s_and_saveexec_b32 s31, s14
	s_cbranch_execnz .LBB2_6078
	s_branch .LBB2_6079
.LBB2_6285:                             ;   in Loop: Header=BB2_5650 Depth=3
	s_mov_b32 s14, -1
	s_mov_b32 s35, exec_lo
                                        ; implicit-def: $sgpr31
	v_cmpx_eq_u16_e64 0x80, v166
; %bb.6286:                             ;   in Loop: Header=BB2_5650 Depth=3
	s_mov_b32 s31, 0x7f800001
	s_xor_b32 s14, exec_lo, -1
; %bb.6287:                             ;   in Loop: Header=BB2_5650 Depth=3
	s_or_b32 exec_lo, exec_lo, s35
	s_delay_alu instid0(SALU_CYCLE_1)
	s_and_b32 s14, s14, exec_lo
                                        ; implicit-def: $vgpr166
	s_or_saveexec_b32 s34, s34
	v_mov_b32_e32 v165, s31
	s_xor_b32 exec_lo, exec_lo, s34
	s_cbranch_execz .LBB2_6081
.LBB2_6288:                             ;   in Loop: Header=BB2_5650 Depth=3
	v_cmp_ne_u16_e64 vcc_lo, 0, v166
	v_mov_b32_e32 v165, 0
	s_and_not1_b32 s14, s14, exec_lo
	s_delay_alu instid0(VALU_DEP_2) | instskip(NEXT) | instid1(SALU_CYCLE_1)
	s_and_b32 vcc_lo, vcc_lo, exec_lo
	s_or_b32 s14, s14, vcc_lo
	s_or_b32 exec_lo, exec_lo, s34
	s_and_saveexec_b32 s31, s14
	s_cbranch_execnz .LBB2_6082
	s_branch .LBB2_6083
.LBB2_6289:                             ;   in Loop: Header=BB2_5650 Depth=3
	s_mov_b32 s14, -1
	s_mov_b32 s35, exec_lo
                                        ; implicit-def: $sgpr31
	v_cmpx_eq_u16_e64 0x80, v165
; %bb.6290:                             ;   in Loop: Header=BB2_5650 Depth=3
	s_mov_b32 s31, 0x7f800001
	s_xor_b32 s14, exec_lo, -1
; %bb.6291:                             ;   in Loop: Header=BB2_5650 Depth=3
	s_or_b32 exec_lo, exec_lo, s35
	s_delay_alu instid0(SALU_CYCLE_1)
	s_and_b32 s14, s14, exec_lo
	s_or_saveexec_b32 s34, s34
	v_mov_b32_e32 v148, s31
	s_xor_b32 exec_lo, exec_lo, s34
	s_cbranch_execz .LBB2_6093
.LBB2_6292:                             ;   in Loop: Header=BB2_5650 Depth=3
	v_cmp_ne_u16_e64 vcc_lo, 0, v165
	v_mov_b32_e32 v148, 0
	s_and_not1_b32 s14, s14, exec_lo
	s_delay_alu instid0(VALU_DEP_2) | instskip(NEXT) | instid1(SALU_CYCLE_1)
	s_and_b32 vcc_lo, vcc_lo, exec_lo
	s_or_b32 s14, s14, vcc_lo
	s_or_b32 exec_lo, exec_lo, s34
	s_and_saveexec_b32 s31, s14
	s_cbranch_execnz .LBB2_6094
	s_branch .LBB2_6095
.LBB2_6293:                             ;   in Loop: Header=BB2_5650 Depth=3
	s_mov_b32 s14, -1
	s_mov_b32 s35, exec_lo
                                        ; implicit-def: $sgpr31
	v_cmpx_eq_u16_e64 0x80, v146
; %bb.6294:                             ;   in Loop: Header=BB2_5650 Depth=3
	s_mov_b32 s31, 0x7f800001
	s_xor_b32 s14, exec_lo, -1
; %bb.6295:                             ;   in Loop: Header=BB2_5650 Depth=3
	s_or_b32 exec_lo, exec_lo, s35
	s_delay_alu instid0(SALU_CYCLE_1)
	s_and_b32 s14, s14, exec_lo
	s_or_saveexec_b32 s34, s34
	v_mov_b32_e32 v165, s31
	s_xor_b32 exec_lo, exec_lo, s34
	s_cbranch_execz .LBB2_6097
.LBB2_6296:                             ;   in Loop: Header=BB2_5650 Depth=3
	v_cmp_ne_u16_e64 vcc_lo, 0, v146
	v_mov_b32_e32 v165, 0
	s_and_not1_b32 s14, s14, exec_lo
	s_delay_alu instid0(VALU_DEP_2) | instskip(NEXT) | instid1(SALU_CYCLE_1)
	s_and_b32 vcc_lo, vcc_lo, exec_lo
	s_or_b32 s14, s14, vcc_lo
	s_or_b32 exec_lo, exec_lo, s34
	s_and_saveexec_b32 s31, s14
	s_cbranch_execnz .LBB2_6098
	s_branch .LBB2_6099
.LBB2_6297:                             ;   in Loop: Header=BB2_3186 Depth=2
	s_or_b32 exec_lo, exec_lo, s17
.LBB2_6298:                             ;   in Loop: Header=BB2_3186 Depth=2
	s_delay_alu instid0(SALU_CYCLE_1) | instskip(SKIP_3) | instid1(VALU_DEP_1)
	s_or_b32 exec_lo, exec_lo, s16
	v_dual_mov_b32 v64, 0 :: v_dual_and_b32 v9, 15, v66
	s_mov_b32 s14, 0
	s_mov_b32 s16, exec_lo
                                        ; implicit-def: $vgpr133
                                        ; implicit-def: $vgpr8
	v_cndmask_b32_e64 v65, v67, v9, s13
	s_delay_alu instid0(VALU_DEP_1)
	v_cmpx_ne_u32_e32 0, v65
	s_cbranch_execz .LBB2_6300
; %bb.6299:                             ;   in Loop: Header=BB2_3186 Depth=2
	v_cmp_lt_i32_e32 vcc_lo, 0, v132
	v_sub_nc_u32_e32 v9, v67, v9
	s_mov_b32 s14, exec_lo
	v_cndmask_b32_e32 v8, 0, v71, vcc_lo
	s_delay_alu instid0(VALU_DEP_2) | instskip(NEXT) | instid1(VALU_DEP_2)
	v_cndmask_b32_e64 v9, 0, v9, s13
	v_sub_nc_u32_e32 v8, v8, v132
	s_delay_alu instid0(VALU_DEP_2) | instskip(NEXT) | instid1(VALU_DEP_2)
	v_add3_u32 v64, v130, v2, v9
	v_lshl_add_u32 v133, v8, 5, v131
	s_delay_alu instid0(VALU_DEP_1) | instskip(NEXT) | instid1(VALU_DEP_1)
	v_ashrrev_i32_e32 v8, 31, v133
	v_lshrrev_b32_e32 v8, 27, v8
	s_delay_alu instid0(VALU_DEP_1) | instskip(NEXT) | instid1(VALU_DEP_1)
	v_add_nc_u32_e32 v8, v133, v8
	v_ashrrev_i32_e32 v8, 5, v8
.LBB2_6300:                             ;   in Loop: Header=BB2_3186 Depth=2
	s_or_b32 exec_lo, exec_lo, s16
	s_delay_alu instid0(SALU_CYCLE_1)
	s_and_b32 s16, s14, exec_lo
.LBB2_6301:                             ;   in Loop: Header=BB2_3186 Depth=2
	s_or_b32 exec_lo, exec_lo, s15
.LBB2_6302:                             ;   in Loop: Header=BB2_3186 Depth=2
	s_and_saveexec_b32 s14, s16
	s_cbranch_execz .LBB2_6694
; %bb.6303:                             ;   in Loop: Header=BB2_3186 Depth=2
	v_ashrrev_i32_e32 v2, 31, v65
	s_mov_b32 s15, exec_lo
	s_delay_alu instid0(VALU_DEP_1) | instskip(NEXT) | instid1(VALU_DEP_1)
	v_lshrrev_b32_e32 v2, 24, v2
	v_add_nc_u32_e32 v2, v65, v2
	s_delay_alu instid0(VALU_DEP_1) | instskip(NEXT) | instid1(VALU_DEP_1)
	v_ashrrev_i32_e32 v66, 8, v2
	v_sub_nc_u32_e32 v2, v66, v8
	s_delay_alu instid0(VALU_DEP_1)
	v_cmpx_lt_i32_e32 0, v2
	s_cbranch_execz .LBB2_6638
; %bb.6304:                             ;   in Loop: Header=BB2_3186 Depth=2
	s_cbranch_execnz .LBB2_7771
; %bb.6305:                             ;   in Loop: Header=BB2_3186 Depth=2
	v_ashrrev_i32_e32 v9, 31, v133
	v_lshlrev_b32_e32 v8, 8, v8
	s_mov_b32 s16, 0
	ds_load_b128 v[51:54], v0
	v_lshrrev_b32_e32 v9, 27, v9
	s_delay_alu instid0(VALU_DEP_1) | instskip(SKIP_2) | instid1(VALU_DEP_1)
	v_add_nc_u32_e32 v11, v133, v9
	ds_load_b64 v[9:10], v0
	v_and_b32_e32 v11, 0xffffffe0, v11
	v_sub_nc_u32_e32 v11, v133, v11
	s_delay_alu instid0(VALU_DEP_1) | instskip(NEXT) | instid1(VALU_DEP_1)
	v_add3_u32 v67, v64, v11, v8
	v_ashrrev_i32_e32 v130, 31, v67
	s_waitcnt lgkmcnt(0)
	v_add_co_u32 v131, vcc_lo, 0xe0, v9
	v_add_co_ci_u32_e32 v132, vcc_lo, 0, v10, vcc_lo
	v_add_co_u32 v8, vcc_lo, v51, v67
	v_add_co_ci_u32_e32 v9, vcc_lo, v52, v130, vcc_lo
	;; [unrolled: 2-line block ×4, first 2 shown]
.LBB2_6306:                             ;   Parent Loop BB2_51 Depth=1
                                        ;     Parent Loop BB2_3186 Depth=2
                                        ; =>    This Inner Loop Header: Depth=3
	s_cbranch_execnz .LBB2_7777
; %bb.6307:                             ;   in Loop: Header=BB2_6306 Depth=3
	ds_load_b64 v[53:54], v0
	s_waitcnt lgkmcnt(0)
	v_and_b32_e32 v54, 0xff, v53
	v_readfirstlane_b32 s13, v53
	s_delay_alu instid0(VALU_DEP_2)
	v_cmp_gt_i16_e32 vcc_lo, 0x80, v54
	s_cbranch_vccnz .LBB2_6311
; %bb.6308:                             ;   in Loop: Header=BB2_6306 Depth=3
	v_cmp_eq_u16_e32 vcc_lo, 0x80, v54
	s_mov_b32 s17, -1
                                        ; implicit-def: $sgpr30
	s_cbranch_vccz .LBB2_6310
; %bb.6309:                             ;   in Loop: Header=BB2_6306 Depth=3
	s_mov_b32 s17, 0
	s_mov_b32 s30, 0x7f800001
.LBB2_6310:                             ;   in Loop: Header=BB2_6306 Depth=3
	s_mov_b32 vcc_lo, 0
	s_branch .LBB2_6312
.LBB2_6311:                             ;   in Loop: Header=BB2_6306 Depth=3
	s_mov_b32 vcc_lo, -1
	s_mov_b32 s17, 0
                                        ; implicit-def: $sgpr30
.LBB2_6312:                             ;   in Loop: Header=BB2_6306 Depth=3
	s_and_b32 vcc_lo, exec_lo, vcc_lo
	s_cbranch_vccz .LBB2_6314
; %bb.6313:                             ;   in Loop: Header=BB2_6306 Depth=3
	v_cmp_ne_u16_e64 s17, 0, v54
	s_mov_b32 s30, 0
.LBB2_6314:                             ;   in Loop: Header=BB2_6306 Depth=3
	s_delay_alu instid0(SALU_CYCLE_1) | instskip(NEXT) | instid1(VALU_DEP_2)
	v_mov_b32_e32 v54, s30
	s_and_not1_b32 vcc_lo, exec_lo, s17
	s_cbranch_vccnz .LBB2_6316
; %bb.6315:                             ;   in Loop: Header=BB2_6306 Depth=3
	s_and_b32 s17, s13, 3
	s_bfe_u32 s30, s13, 0x50002
	s_clz_i32_u32 vcc_lo, s17
	v_lshlrev_b32_e32 v53, 24, v53
	s_min_u32 vcc_lo, vcc_lo, 32
	s_delay_alu instid0(SALU_CYCLE_1)
	s_sub_i32 s31, vcc_lo, 29
	s_sub_i32 vcc_lo, 30, vcc_lo
	s_lshl_b32 s13, s13, s31
	v_and_b32_e32 v53, 0x80000000, v53
	s_and_b32 s13, s13, 3
	s_cmp_eq_u32 s30, 0
	s_cselect_b32 vcc_lo, vcc_lo, s30
	s_cselect_b32 s13, s13, s17
	s_lshl_b32 s17, vcc_lo, 23
	s_lshl_b32 s13, s13, 21
	s_add_i32 s17, s17, 0x37800000
	s_delay_alu instid0(SALU_CYCLE_1) | instskip(NEXT) | instid1(VALU_DEP_1)
	v_or_b32_e32 v53, s17, v53
	v_or_b32_e32 v54, s13, v53
.LBB2_6316:                             ;   in Loop: Header=BB2_6306 Depth=3
	flat_load_u8 v53, v[8:9] slc dlc
	s_mov_b32 s13, 0
	s_mov_b32 s30, exec_lo
                                        ; implicit-def: $sgpr17
	s_waitcnt vmcnt(0) lgkmcnt(0)
	v_cmpx_lt_i16_e32 0x7f, v53
	s_xor_b32 s30, exec_lo, s30
	s_cbranch_execnz .LBB2_6541
; %bb.6317:                             ;   in Loop: Header=BB2_6306 Depth=3
	s_or_saveexec_b32 s30, s30
	v_mov_b32_e32 v67, s17
	s_xor_b32 exec_lo, exec_lo, s30
	s_cbranch_execnz .LBB2_6544
.LBB2_6318:                             ;   in Loop: Header=BB2_6306 Depth=3
	s_or_b32 exec_lo, exec_lo, s30
	s_and_saveexec_b32 s17, s13
	s_cbranch_execz .LBB2_6320
.LBB2_6319:                             ;   in Loop: Header=BB2_6306 Depth=3
	v_and_b32_e32 v67, 0xffff, v53
	v_lshlrev_b32_e32 v53, 24, v53
	s_delay_alu instid0(VALU_DEP_2) | instskip(NEXT) | instid1(VALU_DEP_2)
	v_and_b32_e32 v130, 3, v67
	v_and_b32_e32 v53, 0x80000000, v53
	s_delay_alu instid0(VALU_DEP_2) | instskip(NEXT) | instid1(VALU_DEP_1)
	v_clz_i32_u32_e32 v131, v130
	v_min_u32_e32 v131, 32, v131
	s_delay_alu instid0(VALU_DEP_1) | instskip(SKIP_1) | instid1(VALU_DEP_2)
	v_subrev_nc_u32_e32 v132, 29, v131
	v_sub_nc_u32_e32 v131, 30, v131
	v_lshlrev_b32_e32 v132, v132, v67
	v_bfe_u32 v67, v67, 2, 5
	s_delay_alu instid0(VALU_DEP_1) | instskip(NEXT) | instid1(VALU_DEP_3)
	v_cmp_eq_u32_e32 vcc_lo, 0, v67
	v_dual_cndmask_b32 v67, v67, v131 :: v_dual_and_b32 v132, 3, v132
	s_delay_alu instid0(VALU_DEP_1) | instskip(NEXT) | instid1(VALU_DEP_2)
	v_cndmask_b32_e32 v130, v130, v132, vcc_lo
	v_lshl_add_u32 v67, v67, 23, 0x37800000
	s_delay_alu instid0(VALU_DEP_2) | instskip(NEXT) | instid1(VALU_DEP_1)
	v_lshlrev_b32_e32 v130, 21, v130
	v_or3_b32 v67, v53, v67, v130
.LBB2_6320:                             ;   in Loop: Header=BB2_6306 Depth=3
	s_or_b32 exec_lo, exec_lo, s17
	s_delay_alu instid0(VALU_DEP_1) | instskip(NEXT) | instid1(VALU_DEP_1)
	v_mul_f32_e32 v53, v54, v67
	v_and_b32_e32 v67, 0x7f800000, v53
	s_delay_alu instid0(VALU_DEP_1)
	v_cmp_ne_u32_e32 vcc_lo, 0x7f800000, v67
	v_mov_b32_e32 v67, 0x80
	s_and_saveexec_b32 s17, vcc_lo
	s_cbranch_execz .LBB2_6328
; %bb.6321:                             ;   in Loop: Header=BB2_6306 Depth=3
	v_mov_b32_e32 v67, 0
	s_mov_b32 s30, exec_lo
	v_cmpx_ne_u32_e32 0, v53
	s_cbranch_execz .LBB2_6327
; %bb.6322:                             ;   in Loop: Header=BB2_6306 Depth=3
	v_bfe_u32 v67, v53, 23, 8
	s_delay_alu instid0(VALU_DEP_1) | instskip(SKIP_1) | instid1(VALU_DEP_2)
	v_sub_nc_u32_e32 v131, 0x70, v67
	v_cmp_gt_u32_e32 vcc_lo, 0x71, v67
	v_dual_cndmask_b32 v131, 0, v131 :: v_dual_and_b32 v130, 0x7fffff, v53
	s_delay_alu instid0(VALU_DEP_1) | instskip(SKIP_2) | instid1(VALU_DEP_4)
	v_or_b32_e32 v132, 0x800000, v130
	v_cmp_eq_u32_e32 vcc_lo, 0, v67
	v_add_nc_u32_e32 v67, 0xffffff91, v67
	v_cndmask_b32_e64 v131, v131, 0x6f, vcc_lo
	s_delay_alu instid0(VALU_DEP_4) | instskip(NEXT) | instid1(VALU_DEP_3)
	v_cndmask_b32_e32 v130, v132, v130, vcc_lo
	v_cndmask_b32_e64 v67, v67, 0xffffff92, vcc_lo
	s_delay_alu instid0(VALU_DEP_3) | instskip(NEXT) | instid1(VALU_DEP_3)
	v_lshl_add_u32 v132, 0x200000, v131, -1
	v_lshrrev_b32_e32 v134, v131, v130
	v_lshlrev_b32_e64 v144, v131, 0x100000
	s_delay_alu instid0(VALU_DEP_4) | instskip(NEXT) | instid1(VALU_DEP_4)
	v_add_nc_u32_e32 v131, v131, v67
	v_and_b32_e32 v130, v132, v130
	s_delay_alu instid0(VALU_DEP_4) | instskip(NEXT) | instid1(VALU_DEP_2)
	v_bfe_u32 v135, v134, 21, 1
	v_cmp_eq_u32_e64 s13, v130, v144
	s_delay_alu instid0(VALU_DEP_2) | instskip(NEXT) | instid1(VALU_DEP_1)
	v_add_nc_u32_e32 v132, -1, v135
	v_cndmask_b32_e64 v130, 0, v132, s13
	v_lshrrev_b32_e32 v132, 23, v134
	s_mov_b32 s13, exec_lo
	s_delay_alu instid0(VALU_DEP_2) | instskip(NEXT) | instid1(VALU_DEP_2)
	v_add_nc_u32_e32 v130, v130, v134
	v_xor_b32_e32 v132, 1, v132
	s_delay_alu instid0(VALU_DEP_2) | instskip(NEXT) | instid1(VALU_DEP_1)
	v_and_b32_e32 v67, 0x1fffff, v130
	v_add_nc_u32_e32 v130, v67, v134
                                        ; implicit-def: $vgpr67
	s_delay_alu instid0(VALU_DEP_3)
	v_cmpx_ne_u32_e64 v131, v132
	s_xor_b32 s13, exec_lo, s13
; %bb.6323:                             ;   in Loop: Header=BB2_6306 Depth=3
	s_delay_alu instid0(VALU_DEP_2) | instskip(SKIP_2) | instid1(VALU_DEP_2)
	v_cmp_lt_u32_e32 vcc_lo, 0xffffff, v130
	v_sub_nc_u32_e32 v67, v131, v132
	v_cndmask_b32_e64 v131, 0, 1, vcc_lo
	v_add_co_ci_u32_e32 v67, vcc_lo, 0, v67, vcc_lo
	s_delay_alu instid0(VALU_DEP_2)
	v_lshrrev_b32_e32 v130, v131, v130
; %bb.6324:                             ;   in Loop: Header=BB2_6306 Depth=3
	s_and_not1_saveexec_b32 s13, s13
; %bb.6325:                             ;   in Loop: Header=BB2_6306 Depth=3
	s_delay_alu instid0(VALU_DEP_1)
	v_bfe_u32 v67, v130, 23, 1
; %bb.6326:                             ;   in Loop: Header=BB2_6306 Depth=3
	s_or_b32 exec_lo, exec_lo, s13
	v_lshrrev_b32_e32 v130, 21, v130
	s_delay_alu instid0(VALU_DEP_2) | instskip(SKIP_2) | instid1(VALU_DEP_2)
	v_cmp_gt_i32_e32 vcc_lo, 32, v67
	v_lshrrev_b32_e32 v53, 24, v53
	v_min_i32_e32 v131, 31, v67
	v_dual_cndmask_b32 v130, 3, v130 :: v_dual_and_b32 v53, 0x80, v53
	s_delay_alu instid0(VALU_DEP_2) | instskip(NEXT) | instid1(VALU_DEP_2)
	v_lshlrev_b32_e32 v131, 2, v131
	v_or_b32_e32 v67, v67, v130
	s_delay_alu instid0(VALU_DEP_1) | instskip(SKIP_1) | instid1(VALU_DEP_1)
	v_cmp_ne_u32_e32 vcc_lo, 0, v67
	v_and_b32_e32 v132, 3, v130
	v_or3_b32 v53, v131, v53, v132
	s_delay_alu instid0(VALU_DEP_1)
	v_cndmask_b32_e32 v67, 0, v53, vcc_lo
.LBB2_6327:                             ;   in Loop: Header=BB2_6306 Depth=3
	s_or_b32 exec_lo, exec_lo, s30
.LBB2_6328:                             ;   in Loop: Header=BB2_6306 Depth=3
	s_delay_alu instid0(SALU_CYCLE_1)
	s_or_b32 exec_lo, exec_lo, s17
	flat_load_u8 v53, v[8:9] offset:32 slc dlc
	s_mov_b32 s13, 0
	s_mov_b32 s30, exec_lo
                                        ; implicit-def: $sgpr17
	s_waitcnt vmcnt(0) lgkmcnt(0)
	v_cmpx_lt_i16_e32 0x7f, v53
	s_xor_b32 s30, exec_lo, s30
	s_cbranch_execnz .LBB2_6545
; %bb.6329:                             ;   in Loop: Header=BB2_6306 Depth=3
	s_or_saveexec_b32 s30, s30
	v_mov_b32_e32 v130, s17
	s_xor_b32 exec_lo, exec_lo, s30
	s_cbranch_execnz .LBB2_6548
.LBB2_6330:                             ;   in Loop: Header=BB2_6306 Depth=3
	s_or_b32 exec_lo, exec_lo, s30
	s_and_saveexec_b32 s17, s13
	s_cbranch_execz .LBB2_6332
.LBB2_6331:                             ;   in Loop: Header=BB2_6306 Depth=3
	v_and_b32_e32 v130, 0xffff, v53
	v_lshlrev_b32_e32 v53, 24, v53
	s_delay_alu instid0(VALU_DEP_2) | instskip(NEXT) | instid1(VALU_DEP_2)
	v_and_b32_e32 v131, 3, v130
	v_and_b32_e32 v53, 0x80000000, v53
	s_delay_alu instid0(VALU_DEP_2) | instskip(NEXT) | instid1(VALU_DEP_1)
	v_clz_i32_u32_e32 v132, v131
	v_min_u32_e32 v132, 32, v132
	s_delay_alu instid0(VALU_DEP_1) | instskip(SKIP_1) | instid1(VALU_DEP_2)
	v_subrev_nc_u32_e32 v134, 29, v132
	v_sub_nc_u32_e32 v132, 30, v132
	v_lshlrev_b32_e32 v134, v134, v130
	v_bfe_u32 v130, v130, 2, 5
	s_delay_alu instid0(VALU_DEP_2) | instskip(NEXT) | instid1(VALU_DEP_2)
	v_and_b32_e32 v134, 3, v134
	v_cmp_eq_u32_e32 vcc_lo, 0, v130
	s_delay_alu instid0(VALU_DEP_2) | instskip(NEXT) | instid1(VALU_DEP_1)
	v_dual_cndmask_b32 v130, v130, v132 :: v_dual_cndmask_b32 v131, v131, v134
	v_lshl_add_u32 v130, v130, 23, 0x37800000
	s_delay_alu instid0(VALU_DEP_2) | instskip(NEXT) | instid1(VALU_DEP_1)
	v_lshlrev_b32_e32 v131, 21, v131
	v_or3_b32 v130, v53, v130, v131
.LBB2_6332:                             ;   in Loop: Header=BB2_6306 Depth=3
	s_or_b32 exec_lo, exec_lo, s17
	s_delay_alu instid0(VALU_DEP_1) | instskip(SKIP_2) | instid1(VALU_DEP_2)
	v_mul_f32_e32 v53, v54, v130
	v_mov_b32_e32 v135, 0x80
	s_mov_b32 s17, exec_lo
	v_and_b32_e32 v130, 0x7f800000, v53
	s_delay_alu instid0(VALU_DEP_1)
	v_cmpx_ne_u32_e32 0x7f800000, v130
	s_cbranch_execz .LBB2_6340
; %bb.6333:                             ;   in Loop: Header=BB2_6306 Depth=3
	v_mov_b32_e32 v135, 0
	s_mov_b32 s30, exec_lo
	v_cmpx_ne_u32_e32 0, v53
	s_cbranch_execz .LBB2_6339
; %bb.6334:                             ;   in Loop: Header=BB2_6306 Depth=3
	v_bfe_u32 v130, v53, 23, 8
	s_delay_alu instid0(VALU_DEP_1) | instskip(SKIP_1) | instid1(VALU_DEP_2)
	v_sub_nc_u32_e32 v132, 0x70, v130
	v_cmp_gt_u32_e32 vcc_lo, 0x71, v130
	v_dual_cndmask_b32 v132, 0, v132 :: v_dual_and_b32 v131, 0x7fffff, v53
	s_delay_alu instid0(VALU_DEP_1) | instskip(SKIP_2) | instid1(VALU_DEP_4)
	v_or_b32_e32 v134, 0x800000, v131
	v_cmp_eq_u32_e32 vcc_lo, 0, v130
	v_add_nc_u32_e32 v130, 0xffffff91, v130
	v_cndmask_b32_e64 v132, v132, 0x6f, vcc_lo
	s_delay_alu instid0(VALU_DEP_4) | instskip(NEXT) | instid1(VALU_DEP_3)
	v_cndmask_b32_e32 v131, v134, v131, vcc_lo
	v_cndmask_b32_e64 v130, v130, 0xffffff92, vcc_lo
	s_delay_alu instid0(VALU_DEP_3) | instskip(NEXT) | instid1(VALU_DEP_3)
	v_lshl_add_u32 v134, 0x200000, v132, -1
	v_lshrrev_b32_e32 v135, v132, v131
	v_lshlrev_b32_e64 v145, v132, 0x100000
	s_delay_alu instid0(VALU_DEP_4) | instskip(NEXT) | instid1(VALU_DEP_4)
	v_add_nc_u32_e32 v132, v132, v130
	v_and_b32_e32 v131, v134, v131
	s_delay_alu instid0(VALU_DEP_4) | instskip(NEXT) | instid1(VALU_DEP_2)
	v_bfe_u32 v144, v135, 21, 1
	v_cmp_eq_u32_e64 s13, v131, v145
	s_delay_alu instid0(VALU_DEP_2) | instskip(NEXT) | instid1(VALU_DEP_1)
	v_add_nc_u32_e32 v134, -1, v144
	v_cndmask_b32_e64 v131, 0, v134, s13
	v_lshrrev_b32_e32 v134, 23, v135
	s_mov_b32 s13, exec_lo
	s_delay_alu instid0(VALU_DEP_2) | instskip(NEXT) | instid1(VALU_DEP_2)
	v_add_nc_u32_e32 v131, v131, v135
	v_xor_b32_e32 v134, 1, v134
	s_delay_alu instid0(VALU_DEP_2) | instskip(NEXT) | instid1(VALU_DEP_1)
	v_and_b32_e32 v130, 0x1fffff, v131
	v_add_nc_u32_e32 v131, v130, v135
                                        ; implicit-def: $vgpr130
	s_delay_alu instid0(VALU_DEP_3)
	v_cmpx_ne_u32_e64 v132, v134
	s_xor_b32 s13, exec_lo, s13
; %bb.6335:                             ;   in Loop: Header=BB2_6306 Depth=3
	s_delay_alu instid0(VALU_DEP_2) | instskip(SKIP_2) | instid1(VALU_DEP_2)
	v_cmp_lt_u32_e32 vcc_lo, 0xffffff, v131
	v_sub_nc_u32_e32 v130, v132, v134
	v_cndmask_b32_e64 v132, 0, 1, vcc_lo
	v_add_co_ci_u32_e32 v130, vcc_lo, 0, v130, vcc_lo
	s_delay_alu instid0(VALU_DEP_2)
	v_lshrrev_b32_e32 v131, v132, v131
; %bb.6336:                             ;   in Loop: Header=BB2_6306 Depth=3
	s_and_not1_saveexec_b32 s13, s13
; %bb.6337:                             ;   in Loop: Header=BB2_6306 Depth=3
	s_delay_alu instid0(VALU_DEP_1)
	v_bfe_u32 v130, v131, 23, 1
; %bb.6338:                             ;   in Loop: Header=BB2_6306 Depth=3
	s_or_b32 exec_lo, exec_lo, s13
	v_lshrrev_b32_e32 v131, 21, v131
	s_delay_alu instid0(VALU_DEP_2) | instskip(SKIP_2) | instid1(VALU_DEP_2)
	v_cmp_gt_i32_e32 vcc_lo, 32, v130
	v_min_i32_e32 v132, 31, v130
	v_lshrrev_b32_e32 v53, 24, v53
	v_dual_cndmask_b32 v131, 3, v131 :: v_dual_lshlrev_b32 v132, 2, v132
	s_delay_alu instid0(VALU_DEP_2) | instskip(NEXT) | instid1(VALU_DEP_2)
	v_and_b32_e32 v53, 0x80, v53
	v_or_b32_e32 v130, v130, v131
	s_delay_alu instid0(VALU_DEP_1) | instskip(SKIP_1) | instid1(VALU_DEP_1)
	v_cmp_ne_u32_e32 vcc_lo, 0, v130
	v_and_b32_e32 v134, 3, v131
	v_or3_b32 v53, v132, v53, v134
	s_delay_alu instid0(VALU_DEP_1)
	v_cndmask_b32_e32 v135, 0, v53, vcc_lo
.LBB2_6339:                             ;   in Loop: Header=BB2_6306 Depth=3
	s_or_b32 exec_lo, exec_lo, s30
.LBB2_6340:                             ;   in Loop: Header=BB2_6306 Depth=3
	s_delay_alu instid0(SALU_CYCLE_1)
	s_or_b32 exec_lo, exec_lo, s17
	flat_load_u8 v53, v[8:9] offset:64 slc dlc
	s_mov_b32 s13, 0
	s_mov_b32 s30, exec_lo
                                        ; implicit-def: $sgpr17
	s_waitcnt vmcnt(0) lgkmcnt(0)
	v_cmpx_lt_i16_e32 0x7f, v53
	s_xor_b32 s30, exec_lo, s30
	s_cbranch_execnz .LBB2_6549
; %bb.6341:                             ;   in Loop: Header=BB2_6306 Depth=3
	s_or_saveexec_b32 s30, s30
	v_mov_b32_e32 v130, s17
	s_xor_b32 exec_lo, exec_lo, s30
	s_cbranch_execnz .LBB2_6552
.LBB2_6342:                             ;   in Loop: Header=BB2_6306 Depth=3
	s_or_b32 exec_lo, exec_lo, s30
	s_and_saveexec_b32 s17, s13
	s_cbranch_execz .LBB2_6344
.LBB2_6343:                             ;   in Loop: Header=BB2_6306 Depth=3
	v_and_b32_e32 v130, 0xffff, v53
	v_lshlrev_b32_e32 v53, 24, v53
	s_delay_alu instid0(VALU_DEP_2) | instskip(NEXT) | instid1(VALU_DEP_2)
	v_and_b32_e32 v131, 3, v130
	v_and_b32_e32 v53, 0x80000000, v53
	s_delay_alu instid0(VALU_DEP_2) | instskip(NEXT) | instid1(VALU_DEP_1)
	v_clz_i32_u32_e32 v132, v131
	v_min_u32_e32 v132, 32, v132
	s_delay_alu instid0(VALU_DEP_1) | instskip(SKIP_1) | instid1(VALU_DEP_2)
	v_subrev_nc_u32_e32 v134, 29, v132
	v_sub_nc_u32_e32 v132, 30, v132
	v_lshlrev_b32_e32 v134, v134, v130
	v_bfe_u32 v130, v130, 2, 5
	s_delay_alu instid0(VALU_DEP_2) | instskip(NEXT) | instid1(VALU_DEP_2)
	v_and_b32_e32 v134, 3, v134
	v_cmp_eq_u32_e32 vcc_lo, 0, v130
	s_delay_alu instid0(VALU_DEP_2) | instskip(NEXT) | instid1(VALU_DEP_1)
	v_dual_cndmask_b32 v130, v130, v132 :: v_dual_cndmask_b32 v131, v131, v134
	v_lshl_add_u32 v130, v130, 23, 0x37800000
	s_delay_alu instid0(VALU_DEP_2) | instskip(NEXT) | instid1(VALU_DEP_1)
	v_lshlrev_b32_e32 v131, 21, v131
	v_or3_b32 v130, v53, v130, v131
.LBB2_6344:                             ;   in Loop: Header=BB2_6306 Depth=3
	s_or_b32 exec_lo, exec_lo, s17
	s_delay_alu instid0(VALU_DEP_1) | instskip(SKIP_2) | instid1(VALU_DEP_2)
	v_mul_f32_e32 v53, v54, v130
	v_mov_b32_e32 v145, 0x80
	s_mov_b32 s17, exec_lo
	v_and_b32_e32 v130, 0x7f800000, v53
	s_delay_alu instid0(VALU_DEP_1)
	v_cmpx_ne_u32_e32 0x7f800000, v130
	s_cbranch_execz .LBB2_6352
; %bb.6345:                             ;   in Loop: Header=BB2_6306 Depth=3
	v_mov_b32_e32 v145, 0
	s_mov_b32 s30, exec_lo
	v_cmpx_ne_u32_e32 0, v53
	s_cbranch_execz .LBB2_6351
; %bb.6346:                             ;   in Loop: Header=BB2_6306 Depth=3
	v_bfe_u32 v130, v53, 23, 8
	s_delay_alu instid0(VALU_DEP_1) | instskip(SKIP_1) | instid1(VALU_DEP_2)
	v_sub_nc_u32_e32 v132, 0x70, v130
	v_cmp_gt_u32_e32 vcc_lo, 0x71, v130
	v_dual_cndmask_b32 v132, 0, v132 :: v_dual_and_b32 v131, 0x7fffff, v53
	s_delay_alu instid0(VALU_DEP_1) | instskip(SKIP_2) | instid1(VALU_DEP_4)
	v_or_b32_e32 v134, 0x800000, v131
	v_cmp_eq_u32_e32 vcc_lo, 0, v130
	v_add_nc_u32_e32 v130, 0xffffff91, v130
	v_cndmask_b32_e64 v132, v132, 0x6f, vcc_lo
	s_delay_alu instid0(VALU_DEP_4) | instskip(NEXT) | instid1(VALU_DEP_3)
	v_cndmask_b32_e32 v131, v134, v131, vcc_lo
	v_cndmask_b32_e64 v130, v130, 0xffffff92, vcc_lo
	s_delay_alu instid0(VALU_DEP_3) | instskip(NEXT) | instid1(VALU_DEP_3)
	v_lshl_add_u32 v134, 0x200000, v132, -1
	v_lshrrev_b32_e32 v144, v132, v131
	v_lshlrev_b32_e64 v146, v132, 0x100000
	s_delay_alu instid0(VALU_DEP_4) | instskip(NEXT) | instid1(VALU_DEP_4)
	v_add_nc_u32_e32 v132, v132, v130
	v_and_b32_e32 v131, v134, v131
	s_delay_alu instid0(VALU_DEP_4) | instskip(NEXT) | instid1(VALU_DEP_2)
	v_bfe_u32 v145, v144, 21, 1
	v_cmp_eq_u32_e64 s13, v131, v146
	s_delay_alu instid0(VALU_DEP_2) | instskip(NEXT) | instid1(VALU_DEP_1)
	v_add_nc_u32_e32 v134, -1, v145
	v_cndmask_b32_e64 v131, 0, v134, s13
	v_lshrrev_b32_e32 v134, 23, v144
	s_mov_b32 s13, exec_lo
	s_delay_alu instid0(VALU_DEP_2) | instskip(NEXT) | instid1(VALU_DEP_2)
	v_add_nc_u32_e32 v131, v131, v144
	v_xor_b32_e32 v134, 1, v134
	s_delay_alu instid0(VALU_DEP_2) | instskip(NEXT) | instid1(VALU_DEP_1)
	v_and_b32_e32 v130, 0x1fffff, v131
	v_add_nc_u32_e32 v131, v130, v144
                                        ; implicit-def: $vgpr130
	s_delay_alu instid0(VALU_DEP_3)
	v_cmpx_ne_u32_e64 v132, v134
	s_xor_b32 s13, exec_lo, s13
; %bb.6347:                             ;   in Loop: Header=BB2_6306 Depth=3
	s_delay_alu instid0(VALU_DEP_2) | instskip(SKIP_2) | instid1(VALU_DEP_2)
	v_cmp_lt_u32_e32 vcc_lo, 0xffffff, v131
	v_sub_nc_u32_e32 v130, v132, v134
	v_cndmask_b32_e64 v132, 0, 1, vcc_lo
	v_add_co_ci_u32_e32 v130, vcc_lo, 0, v130, vcc_lo
	s_delay_alu instid0(VALU_DEP_2)
	v_lshrrev_b32_e32 v131, v132, v131
; %bb.6348:                             ;   in Loop: Header=BB2_6306 Depth=3
	s_and_not1_saveexec_b32 s13, s13
; %bb.6349:                             ;   in Loop: Header=BB2_6306 Depth=3
	s_delay_alu instid0(VALU_DEP_1)
	v_bfe_u32 v130, v131, 23, 1
; %bb.6350:                             ;   in Loop: Header=BB2_6306 Depth=3
	s_or_b32 exec_lo, exec_lo, s13
	v_lshrrev_b32_e32 v131, 21, v131
	s_delay_alu instid0(VALU_DEP_2) | instskip(SKIP_2) | instid1(VALU_DEP_2)
	v_cmp_gt_i32_e32 vcc_lo, 32, v130
	v_min_i32_e32 v132, 31, v130
	v_lshrrev_b32_e32 v53, 24, v53
	v_dual_cndmask_b32 v131, 3, v131 :: v_dual_lshlrev_b32 v132, 2, v132
	s_delay_alu instid0(VALU_DEP_2) | instskip(NEXT) | instid1(VALU_DEP_2)
	v_and_b32_e32 v53, 0x80, v53
	v_or_b32_e32 v130, v130, v131
	s_delay_alu instid0(VALU_DEP_1) | instskip(SKIP_1) | instid1(VALU_DEP_1)
	v_cmp_ne_u32_e32 vcc_lo, 0, v130
	v_and_b32_e32 v134, 3, v131
	v_or3_b32 v53, v132, v53, v134
	s_delay_alu instid0(VALU_DEP_1)
	v_cndmask_b32_e32 v145, 0, v53, vcc_lo
.LBB2_6351:                             ;   in Loop: Header=BB2_6306 Depth=3
	s_or_b32 exec_lo, exec_lo, s30
.LBB2_6352:                             ;   in Loop: Header=BB2_6306 Depth=3
	s_delay_alu instid0(SALU_CYCLE_1)
	s_or_b32 exec_lo, exec_lo, s17
	flat_load_u8 v53, v[8:9] offset:96 slc dlc
	s_mov_b32 s13, 0
	s_mov_b32 s30, exec_lo
                                        ; implicit-def: $sgpr17
	s_waitcnt vmcnt(0) lgkmcnt(0)
	v_cmpx_lt_i16_e32 0x7f, v53
	s_xor_b32 s30, exec_lo, s30
	s_cbranch_execnz .LBB2_6553
; %bb.6353:                             ;   in Loop: Header=BB2_6306 Depth=3
	s_or_saveexec_b32 s30, s30
	v_mov_b32_e32 v130, s17
	s_xor_b32 exec_lo, exec_lo, s30
	s_cbranch_execnz .LBB2_6556
.LBB2_6354:                             ;   in Loop: Header=BB2_6306 Depth=3
	s_or_b32 exec_lo, exec_lo, s30
	s_and_saveexec_b32 s17, s13
	s_cbranch_execz .LBB2_6356
.LBB2_6355:                             ;   in Loop: Header=BB2_6306 Depth=3
	v_and_b32_e32 v130, 0xffff, v53
	v_lshlrev_b32_e32 v53, 24, v53
	s_delay_alu instid0(VALU_DEP_2) | instskip(NEXT) | instid1(VALU_DEP_2)
	v_and_b32_e32 v131, 3, v130
	v_and_b32_e32 v53, 0x80000000, v53
	s_delay_alu instid0(VALU_DEP_2) | instskip(NEXT) | instid1(VALU_DEP_1)
	v_clz_i32_u32_e32 v132, v131
	v_min_u32_e32 v132, 32, v132
	s_delay_alu instid0(VALU_DEP_1) | instskip(SKIP_1) | instid1(VALU_DEP_2)
	v_subrev_nc_u32_e32 v134, 29, v132
	v_sub_nc_u32_e32 v132, 30, v132
	v_lshlrev_b32_e32 v134, v134, v130
	v_bfe_u32 v130, v130, 2, 5
	s_delay_alu instid0(VALU_DEP_2) | instskip(NEXT) | instid1(VALU_DEP_2)
	v_and_b32_e32 v134, 3, v134
	v_cmp_eq_u32_e32 vcc_lo, 0, v130
	s_delay_alu instid0(VALU_DEP_2) | instskip(NEXT) | instid1(VALU_DEP_1)
	v_dual_cndmask_b32 v130, v130, v132 :: v_dual_cndmask_b32 v131, v131, v134
	v_lshl_add_u32 v130, v130, 23, 0x37800000
	s_delay_alu instid0(VALU_DEP_2) | instskip(NEXT) | instid1(VALU_DEP_1)
	v_lshlrev_b32_e32 v131, 21, v131
	v_or3_b32 v130, v53, v130, v131
.LBB2_6356:                             ;   in Loop: Header=BB2_6306 Depth=3
	s_or_b32 exec_lo, exec_lo, s17
	s_delay_alu instid0(VALU_DEP_1) | instskip(SKIP_1) | instid1(VALU_DEP_1)
	v_dual_mul_f32 v53, v54, v130 :: v_dual_mov_b32 v144, 0x80
	s_mov_b32 s17, exec_lo
	v_and_b32_e32 v130, 0x7f800000, v53
	s_delay_alu instid0(VALU_DEP_1)
	v_cmpx_ne_u32_e32 0x7f800000, v130
	s_cbranch_execz .LBB2_6364
; %bb.6357:                             ;   in Loop: Header=BB2_6306 Depth=3
	v_mov_b32_e32 v144, 0
	s_mov_b32 s30, exec_lo
	v_cmpx_ne_u32_e32 0, v53
	s_cbranch_execz .LBB2_6363
; %bb.6358:                             ;   in Loop: Header=BB2_6306 Depth=3
	v_bfe_u32 v130, v53, 23, 8
	s_delay_alu instid0(VALU_DEP_1) | instskip(SKIP_1) | instid1(VALU_DEP_2)
	v_sub_nc_u32_e32 v132, 0x70, v130
	v_cmp_gt_u32_e32 vcc_lo, 0x71, v130
	v_dual_cndmask_b32 v132, 0, v132 :: v_dual_and_b32 v131, 0x7fffff, v53
	s_delay_alu instid0(VALU_DEP_1) | instskip(SKIP_2) | instid1(VALU_DEP_4)
	v_or_b32_e32 v134, 0x800000, v131
	v_cmp_eq_u32_e32 vcc_lo, 0, v130
	v_add_nc_u32_e32 v130, 0xffffff91, v130
	v_cndmask_b32_e64 v132, v132, 0x6f, vcc_lo
	s_delay_alu instid0(VALU_DEP_4) | instskip(NEXT) | instid1(VALU_DEP_3)
	v_cndmask_b32_e32 v131, v134, v131, vcc_lo
	v_cndmask_b32_e64 v130, v130, 0xffffff92, vcc_lo
	s_delay_alu instid0(VALU_DEP_3) | instskip(NEXT) | instid1(VALU_DEP_3)
	v_lshl_add_u32 v134, 0x200000, v132, -1
	v_lshrrev_b32_e32 v144, v132, v131
	v_lshlrev_b32_e64 v147, v132, 0x100000
	s_delay_alu instid0(VALU_DEP_4) | instskip(NEXT) | instid1(VALU_DEP_4)
	v_add_nc_u32_e32 v132, v132, v130
	v_and_b32_e32 v131, v134, v131
	s_delay_alu instid0(VALU_DEP_4) | instskip(NEXT) | instid1(VALU_DEP_2)
	v_bfe_u32 v146, v144, 21, 1
	v_cmp_eq_u32_e64 s13, v131, v147
	s_delay_alu instid0(VALU_DEP_2) | instskip(NEXT) | instid1(VALU_DEP_1)
	v_add_nc_u32_e32 v134, -1, v146
	v_cndmask_b32_e64 v131, 0, v134, s13
	v_lshrrev_b32_e32 v134, 23, v144
	s_mov_b32 s13, exec_lo
	s_delay_alu instid0(VALU_DEP_2) | instskip(NEXT) | instid1(VALU_DEP_2)
	v_add_nc_u32_e32 v131, v131, v144
	v_xor_b32_e32 v134, 1, v134
	s_delay_alu instid0(VALU_DEP_2) | instskip(NEXT) | instid1(VALU_DEP_1)
	v_and_b32_e32 v130, 0x1fffff, v131
	v_add_nc_u32_e32 v131, v130, v144
                                        ; implicit-def: $vgpr130
	s_delay_alu instid0(VALU_DEP_3)
	v_cmpx_ne_u32_e64 v132, v134
	s_xor_b32 s13, exec_lo, s13
; %bb.6359:                             ;   in Loop: Header=BB2_6306 Depth=3
	s_delay_alu instid0(VALU_DEP_2) | instskip(SKIP_2) | instid1(VALU_DEP_2)
	v_cmp_lt_u32_e32 vcc_lo, 0xffffff, v131
	v_sub_nc_u32_e32 v130, v132, v134
	v_cndmask_b32_e64 v132, 0, 1, vcc_lo
	v_add_co_ci_u32_e32 v130, vcc_lo, 0, v130, vcc_lo
	s_delay_alu instid0(VALU_DEP_2)
	v_lshrrev_b32_e32 v131, v132, v131
; %bb.6360:                             ;   in Loop: Header=BB2_6306 Depth=3
	s_and_not1_saveexec_b32 s13, s13
; %bb.6361:                             ;   in Loop: Header=BB2_6306 Depth=3
	s_delay_alu instid0(VALU_DEP_1)
	v_bfe_u32 v130, v131, 23, 1
; %bb.6362:                             ;   in Loop: Header=BB2_6306 Depth=3
	s_or_b32 exec_lo, exec_lo, s13
	v_lshrrev_b32_e32 v131, 21, v131
	s_delay_alu instid0(VALU_DEP_2) | instskip(SKIP_2) | instid1(VALU_DEP_4)
	v_cmp_gt_i32_e32 vcc_lo, 32, v130
	v_lshrrev_b32_e32 v53, 24, v53
	v_min_i32_e32 v132, 31, v130
	v_cndmask_b32_e32 v131, 3, v131, vcc_lo
	s_delay_alu instid0(VALU_DEP_3) | instskip(NEXT) | instid1(VALU_DEP_3)
	v_and_b32_e32 v53, 0x80, v53
	v_lshlrev_b32_e32 v132, 2, v132
	s_delay_alu instid0(VALU_DEP_3) | instskip(SKIP_1) | instid1(VALU_DEP_2)
	v_and_b32_e32 v134, 3, v131
	v_or_b32_e32 v130, v130, v131
	v_or3_b32 v53, v132, v53, v134
	s_delay_alu instid0(VALU_DEP_2) | instskip(NEXT) | instid1(VALU_DEP_2)
	v_cmp_ne_u32_e32 vcc_lo, 0, v130
	v_cndmask_b32_e32 v144, 0, v53, vcc_lo
.LBB2_6363:                             ;   in Loop: Header=BB2_6306 Depth=3
	s_or_b32 exec_lo, exec_lo, s30
.LBB2_6364:                             ;   in Loop: Header=BB2_6306 Depth=3
	s_delay_alu instid0(SALU_CYCLE_1)
	s_or_b32 exec_lo, exec_lo, s17
	flat_load_u8 v53, v[8:9] offset:128 slc dlc
	s_mov_b32 s13, 0
	s_mov_b32 s30, exec_lo
                                        ; implicit-def: $sgpr17
	s_waitcnt vmcnt(0) lgkmcnt(0)
	v_cmpx_lt_i16_e32 0x7f, v53
	s_xor_b32 s30, exec_lo, s30
	s_cbranch_execnz .LBB2_6557
; %bb.6365:                             ;   in Loop: Header=BB2_6306 Depth=3
	s_or_saveexec_b32 s30, s30
	v_mov_b32_e32 v130, s17
	s_xor_b32 exec_lo, exec_lo, s30
	s_cbranch_execnz .LBB2_6560
.LBB2_6366:                             ;   in Loop: Header=BB2_6306 Depth=3
	s_or_b32 exec_lo, exec_lo, s30
	s_and_saveexec_b32 s17, s13
	s_cbranch_execz .LBB2_6368
.LBB2_6367:                             ;   in Loop: Header=BB2_6306 Depth=3
	v_and_b32_e32 v130, 0xffff, v53
	v_lshlrev_b32_e32 v53, 24, v53
	s_delay_alu instid0(VALU_DEP_2) | instskip(NEXT) | instid1(VALU_DEP_2)
	v_and_b32_e32 v131, 3, v130
	v_and_b32_e32 v53, 0x80000000, v53
	s_delay_alu instid0(VALU_DEP_2) | instskip(NEXT) | instid1(VALU_DEP_1)
	v_clz_i32_u32_e32 v132, v131
	v_min_u32_e32 v132, 32, v132
	s_delay_alu instid0(VALU_DEP_1) | instskip(SKIP_1) | instid1(VALU_DEP_2)
	v_subrev_nc_u32_e32 v134, 29, v132
	v_sub_nc_u32_e32 v132, 30, v132
	v_lshlrev_b32_e32 v134, v134, v130
	v_bfe_u32 v130, v130, 2, 5
	s_delay_alu instid0(VALU_DEP_2) | instskip(NEXT) | instid1(VALU_DEP_2)
	v_and_b32_e32 v134, 3, v134
	v_cmp_eq_u32_e32 vcc_lo, 0, v130
	s_delay_alu instid0(VALU_DEP_2) | instskip(NEXT) | instid1(VALU_DEP_1)
	v_dual_cndmask_b32 v130, v130, v132 :: v_dual_cndmask_b32 v131, v131, v134
	v_lshl_add_u32 v130, v130, 23, 0x37800000
	s_delay_alu instid0(VALU_DEP_2) | instskip(NEXT) | instid1(VALU_DEP_1)
	v_lshlrev_b32_e32 v131, 21, v131
	v_or3_b32 v130, v53, v130, v131
.LBB2_6368:                             ;   in Loop: Header=BB2_6306 Depth=3
	s_or_b32 exec_lo, exec_lo, s17
	s_delay_alu instid0(VALU_DEP_1) | instskip(SKIP_1) | instid1(VALU_DEP_1)
	v_dual_mul_f32 v53, v54, v130 :: v_dual_mov_b32 v134, 0x80
	s_mov_b32 s17, exec_lo
	v_and_b32_e32 v130, 0x7f800000, v53
	s_delay_alu instid0(VALU_DEP_1)
	v_cmpx_ne_u32_e32 0x7f800000, v130
	s_cbranch_execz .LBB2_6376
; %bb.6369:                             ;   in Loop: Header=BB2_6306 Depth=3
	v_mov_b32_e32 v134, 0
	s_mov_b32 s30, exec_lo
	v_cmpx_ne_u32_e32 0, v53
	s_cbranch_execz .LBB2_6375
; %bb.6370:                             ;   in Loop: Header=BB2_6306 Depth=3
	v_bfe_u32 v130, v53, 23, 8
	s_delay_alu instid0(VALU_DEP_1) | instskip(SKIP_1) | instid1(VALU_DEP_2)
	v_sub_nc_u32_e32 v132, 0x70, v130
	v_cmp_gt_u32_e32 vcc_lo, 0x71, v130
	v_dual_cndmask_b32 v132, 0, v132 :: v_dual_and_b32 v131, 0x7fffff, v53
	s_delay_alu instid0(VALU_DEP_1) | instskip(SKIP_2) | instid1(VALU_DEP_4)
	v_or_b32_e32 v134, 0x800000, v131
	v_cmp_eq_u32_e32 vcc_lo, 0, v130
	v_add_nc_u32_e32 v130, 0xffffff91, v130
	v_cndmask_b32_e64 v132, v132, 0x6f, vcc_lo
	s_delay_alu instid0(VALU_DEP_4) | instskip(NEXT) | instid1(VALU_DEP_3)
	v_cndmask_b32_e32 v131, v134, v131, vcc_lo
	v_cndmask_b32_e64 v130, v130, 0xffffff92, vcc_lo
	s_delay_alu instid0(VALU_DEP_3) | instskip(NEXT) | instid1(VALU_DEP_3)
	v_lshl_add_u32 v134, 0x200000, v132, -1
	v_lshrrev_b32_e32 v146, v132, v131
	v_lshlrev_b32_e64 v148, v132, 0x100000
	s_delay_alu instid0(VALU_DEP_4) | instskip(NEXT) | instid1(VALU_DEP_4)
	v_add_nc_u32_e32 v132, v132, v130
	v_and_b32_e32 v131, v134, v131
	s_delay_alu instid0(VALU_DEP_4) | instskip(NEXT) | instid1(VALU_DEP_2)
	v_bfe_u32 v147, v146, 21, 1
	v_cmp_eq_u32_e64 s13, v131, v148
	s_delay_alu instid0(VALU_DEP_2) | instskip(NEXT) | instid1(VALU_DEP_1)
	v_add_nc_u32_e32 v134, -1, v147
	v_cndmask_b32_e64 v131, 0, v134, s13
	v_lshrrev_b32_e32 v134, 23, v146
	s_mov_b32 s13, exec_lo
	s_delay_alu instid0(VALU_DEP_2) | instskip(NEXT) | instid1(VALU_DEP_2)
	v_add_nc_u32_e32 v131, v131, v146
	v_xor_b32_e32 v134, 1, v134
	s_delay_alu instid0(VALU_DEP_2) | instskip(NEXT) | instid1(VALU_DEP_1)
	v_and_b32_e32 v130, 0x1fffff, v131
	v_add_nc_u32_e32 v131, v130, v146
                                        ; implicit-def: $vgpr130
	s_delay_alu instid0(VALU_DEP_3)
	v_cmpx_ne_u32_e64 v132, v134
	s_xor_b32 s13, exec_lo, s13
; %bb.6371:                             ;   in Loop: Header=BB2_6306 Depth=3
	s_delay_alu instid0(VALU_DEP_2) | instskip(SKIP_2) | instid1(VALU_DEP_2)
	v_cmp_lt_u32_e32 vcc_lo, 0xffffff, v131
	v_sub_nc_u32_e32 v130, v132, v134
	v_cndmask_b32_e64 v132, 0, 1, vcc_lo
	v_add_co_ci_u32_e32 v130, vcc_lo, 0, v130, vcc_lo
	s_delay_alu instid0(VALU_DEP_2)
	v_lshrrev_b32_e32 v131, v132, v131
; %bb.6372:                             ;   in Loop: Header=BB2_6306 Depth=3
	s_and_not1_saveexec_b32 s13, s13
; %bb.6373:                             ;   in Loop: Header=BB2_6306 Depth=3
	s_delay_alu instid0(VALU_DEP_1)
	v_bfe_u32 v130, v131, 23, 1
; %bb.6374:                             ;   in Loop: Header=BB2_6306 Depth=3
	s_or_b32 exec_lo, exec_lo, s13
	v_lshrrev_b32_e32 v131, 21, v131
	s_delay_alu instid0(VALU_DEP_2) | instskip(SKIP_2) | instid1(VALU_DEP_4)
	v_cmp_gt_i32_e32 vcc_lo, 32, v130
	v_lshrrev_b32_e32 v53, 24, v53
	v_min_i32_e32 v132, 31, v130
	v_cndmask_b32_e32 v131, 3, v131, vcc_lo
	s_delay_alu instid0(VALU_DEP_3) | instskip(NEXT) | instid1(VALU_DEP_3)
	v_and_b32_e32 v53, 0x80, v53
	v_lshlrev_b32_e32 v132, 2, v132
	s_delay_alu instid0(VALU_DEP_3) | instskip(SKIP_1) | instid1(VALU_DEP_2)
	v_and_b32_e32 v134, 3, v131
	v_or_b32_e32 v130, v130, v131
	v_or3_b32 v53, v132, v53, v134
	s_delay_alu instid0(VALU_DEP_2) | instskip(NEXT) | instid1(VALU_DEP_2)
	v_cmp_ne_u32_e32 vcc_lo, 0, v130
	v_cndmask_b32_e32 v134, 0, v53, vcc_lo
.LBB2_6375:                             ;   in Loop: Header=BB2_6306 Depth=3
	s_or_b32 exec_lo, exec_lo, s30
.LBB2_6376:                             ;   in Loop: Header=BB2_6306 Depth=3
	s_delay_alu instid0(SALU_CYCLE_1)
	s_or_b32 exec_lo, exec_lo, s17
	flat_load_u8 v53, v[8:9] offset:160 slc dlc
	s_mov_b32 s13, 0
	s_mov_b32 s30, exec_lo
                                        ; implicit-def: $sgpr17
	s_waitcnt vmcnt(0) lgkmcnt(0)
	v_cmpx_lt_i16_e32 0x7f, v53
	s_xor_b32 s30, exec_lo, s30
	s_cbranch_execnz .LBB2_6561
; %bb.6377:                             ;   in Loop: Header=BB2_6306 Depth=3
	s_or_saveexec_b32 s30, s30
	v_mov_b32_e32 v130, s17
	s_xor_b32 exec_lo, exec_lo, s30
	s_cbranch_execnz .LBB2_6564
.LBB2_6378:                             ;   in Loop: Header=BB2_6306 Depth=3
	s_or_b32 exec_lo, exec_lo, s30
	s_and_saveexec_b32 s17, s13
	s_cbranch_execz .LBB2_6380
.LBB2_6379:                             ;   in Loop: Header=BB2_6306 Depth=3
	v_and_b32_e32 v130, 0xffff, v53
	v_lshlrev_b32_e32 v53, 24, v53
	s_delay_alu instid0(VALU_DEP_2) | instskip(NEXT) | instid1(VALU_DEP_2)
	v_and_b32_e32 v131, 3, v130
	v_and_b32_e32 v53, 0x80000000, v53
	s_delay_alu instid0(VALU_DEP_2) | instskip(NEXT) | instid1(VALU_DEP_1)
	v_clz_i32_u32_e32 v132, v131
	v_min_u32_e32 v132, 32, v132
	s_delay_alu instid0(VALU_DEP_1) | instskip(SKIP_1) | instid1(VALU_DEP_2)
	v_subrev_nc_u32_e32 v146, 29, v132
	v_sub_nc_u32_e32 v132, 30, v132
	v_lshlrev_b32_e32 v146, v146, v130
	v_bfe_u32 v130, v130, 2, 5
	s_delay_alu instid0(VALU_DEP_2) | instskip(NEXT) | instid1(VALU_DEP_2)
	v_and_b32_e32 v146, 3, v146
	v_cmp_eq_u32_e32 vcc_lo, 0, v130
	s_delay_alu instid0(VALU_DEP_2) | instskip(NEXT) | instid1(VALU_DEP_1)
	v_dual_cndmask_b32 v130, v130, v132 :: v_dual_cndmask_b32 v131, v131, v146
	v_lshl_add_u32 v130, v130, 23, 0x37800000
	s_delay_alu instid0(VALU_DEP_2) | instskip(NEXT) | instid1(VALU_DEP_1)
	v_lshlrev_b32_e32 v131, 21, v131
	v_or3_b32 v130, v53, v130, v131
.LBB2_6380:                             ;   in Loop: Header=BB2_6306 Depth=3
	s_or_b32 exec_lo, exec_lo, s17
	s_delay_alu instid0(VALU_DEP_1) | instskip(SKIP_2) | instid1(VALU_DEP_2)
	v_mul_f32_e32 v53, v54, v130
	v_mov_b32_e32 v131, 0x80
	s_mov_b32 s17, exec_lo
	v_and_b32_e32 v130, 0x7f800000, v53
	s_delay_alu instid0(VALU_DEP_1)
	v_cmpx_ne_u32_e32 0x7f800000, v130
	s_cbranch_execz .LBB2_6388
; %bb.6381:                             ;   in Loop: Header=BB2_6306 Depth=3
	v_mov_b32_e32 v131, 0
	s_mov_b32 s30, exec_lo
	v_cmpx_ne_u32_e32 0, v53
	s_cbranch_execz .LBB2_6387
; %bb.6382:                             ;   in Loop: Header=BB2_6306 Depth=3
	v_bfe_u32 v130, v53, 23, 8
	s_delay_alu instid0(VALU_DEP_1) | instskip(SKIP_1) | instid1(VALU_DEP_2)
	v_sub_nc_u32_e32 v132, 0x70, v130
	v_cmp_gt_u32_e32 vcc_lo, 0x71, v130
	v_dual_cndmask_b32 v132, 0, v132 :: v_dual_and_b32 v131, 0x7fffff, v53
	s_delay_alu instid0(VALU_DEP_1) | instskip(SKIP_2) | instid1(VALU_DEP_4)
	v_or_b32_e32 v146, 0x800000, v131
	v_cmp_eq_u32_e32 vcc_lo, 0, v130
	v_add_nc_u32_e32 v130, 0xffffff91, v130
	v_cndmask_b32_e64 v132, v132, 0x6f, vcc_lo
	s_delay_alu instid0(VALU_DEP_4) | instskip(NEXT) | instid1(VALU_DEP_3)
	v_cndmask_b32_e32 v131, v146, v131, vcc_lo
	v_cndmask_b32_e64 v130, v130, 0xffffff92, vcc_lo
	s_delay_alu instid0(VALU_DEP_3) | instskip(NEXT) | instid1(VALU_DEP_3)
	v_lshl_add_u32 v146, 0x200000, v132, -1
	v_lshrrev_b32_e32 v147, v132, v131
	v_lshlrev_b32_e64 v149, v132, 0x100000
	s_delay_alu instid0(VALU_DEP_4) | instskip(NEXT) | instid1(VALU_DEP_4)
	v_add_nc_u32_e32 v132, v132, v130
	v_and_b32_e32 v131, v146, v131
	s_delay_alu instid0(VALU_DEP_4) | instskip(NEXT) | instid1(VALU_DEP_2)
	v_bfe_u32 v148, v147, 21, 1
	v_cmp_eq_u32_e64 s13, v131, v149
	s_delay_alu instid0(VALU_DEP_2) | instskip(NEXT) | instid1(VALU_DEP_1)
	v_add_nc_u32_e32 v146, -1, v148
	v_cndmask_b32_e64 v131, 0, v146, s13
	v_lshrrev_b32_e32 v146, 23, v147
	s_mov_b32 s13, exec_lo
	s_delay_alu instid0(VALU_DEP_2) | instskip(NEXT) | instid1(VALU_DEP_2)
	v_add_nc_u32_e32 v131, v131, v147
	v_xor_b32_e32 v146, 1, v146
	s_delay_alu instid0(VALU_DEP_2) | instskip(NEXT) | instid1(VALU_DEP_1)
	v_and_b32_e32 v130, 0x1fffff, v131
	v_add_nc_u32_e32 v131, v130, v147
                                        ; implicit-def: $vgpr130
	s_delay_alu instid0(VALU_DEP_3)
	v_cmpx_ne_u32_e64 v132, v146
	s_xor_b32 s13, exec_lo, s13
; %bb.6383:                             ;   in Loop: Header=BB2_6306 Depth=3
	s_delay_alu instid0(VALU_DEP_2) | instskip(SKIP_2) | instid1(VALU_DEP_2)
	v_cmp_lt_u32_e32 vcc_lo, 0xffffff, v131
	v_sub_nc_u32_e32 v130, v132, v146
	v_cndmask_b32_e64 v132, 0, 1, vcc_lo
	v_add_co_ci_u32_e32 v130, vcc_lo, 0, v130, vcc_lo
	s_delay_alu instid0(VALU_DEP_2)
	v_lshrrev_b32_e32 v131, v132, v131
; %bb.6384:                             ;   in Loop: Header=BB2_6306 Depth=3
	s_and_not1_saveexec_b32 s13, s13
; %bb.6385:                             ;   in Loop: Header=BB2_6306 Depth=3
	s_delay_alu instid0(VALU_DEP_1)
	v_bfe_u32 v130, v131, 23, 1
; %bb.6386:                             ;   in Loop: Header=BB2_6306 Depth=3
	s_or_b32 exec_lo, exec_lo, s13
	v_lshrrev_b32_e32 v131, 21, v131
	s_delay_alu instid0(VALU_DEP_2) | instskip(SKIP_2) | instid1(VALU_DEP_2)
	v_cmp_gt_i32_e32 vcc_lo, 32, v130
	v_min_i32_e32 v132, 31, v130
	v_lshrrev_b32_e32 v53, 24, v53
	v_dual_cndmask_b32 v131, 3, v131 :: v_dual_lshlrev_b32 v132, 2, v132
	s_delay_alu instid0(VALU_DEP_2) | instskip(NEXT) | instid1(VALU_DEP_2)
	v_and_b32_e32 v53, 0x80, v53
	v_or_b32_e32 v130, v130, v131
	s_delay_alu instid0(VALU_DEP_1) | instskip(SKIP_1) | instid1(VALU_DEP_1)
	v_cmp_ne_u32_e32 vcc_lo, 0, v130
	v_and_b32_e32 v146, 3, v131
	v_or3_b32 v53, v132, v53, v146
	s_delay_alu instid0(VALU_DEP_1)
	v_cndmask_b32_e32 v131, 0, v53, vcc_lo
.LBB2_6387:                             ;   in Loop: Header=BB2_6306 Depth=3
	s_or_b32 exec_lo, exec_lo, s30
.LBB2_6388:                             ;   in Loop: Header=BB2_6306 Depth=3
	s_delay_alu instid0(SALU_CYCLE_1)
	s_or_b32 exec_lo, exec_lo, s17
	flat_load_u8 v53, v[8:9] offset:192 slc dlc
	s_mov_b32 s13, 0
	s_mov_b32 s30, exec_lo
                                        ; implicit-def: $sgpr17
	s_waitcnt vmcnt(0) lgkmcnt(0)
	v_cmpx_lt_i16_e32 0x7f, v53
	s_xor_b32 s30, exec_lo, s30
	s_cbranch_execnz .LBB2_6565
; %bb.6389:                             ;   in Loop: Header=BB2_6306 Depth=3
	s_or_saveexec_b32 s30, s30
	v_mov_b32_e32 v130, s17
	s_xor_b32 exec_lo, exec_lo, s30
	s_cbranch_execnz .LBB2_6568
.LBB2_6390:                             ;   in Loop: Header=BB2_6306 Depth=3
	s_or_b32 exec_lo, exec_lo, s30
	s_and_saveexec_b32 s17, s13
	s_cbranch_execz .LBB2_6392
.LBB2_6391:                             ;   in Loop: Header=BB2_6306 Depth=3
	v_and_b32_e32 v130, 0xffff, v53
	s_delay_alu instid0(VALU_DEP_1) | instskip(NEXT) | instid1(VALU_DEP_1)
	v_and_b32_e32 v132, 3, v130
	v_clz_i32_u32_e32 v146, v132
	s_delay_alu instid0(VALU_DEP_1) | instskip(NEXT) | instid1(VALU_DEP_1)
	v_min_u32_e32 v146, 32, v146
	v_subrev_nc_u32_e32 v147, 29, v146
	v_sub_nc_u32_e32 v146, 30, v146
	s_delay_alu instid0(VALU_DEP_2) | instskip(SKIP_1) | instid1(VALU_DEP_1)
	v_lshlrev_b32_e32 v147, v147, v130
	v_bfe_u32 v130, v130, 2, 5
	v_cmp_eq_u32_e32 vcc_lo, 0, v130
	s_delay_alu instid0(VALU_DEP_3) | instskip(NEXT) | instid1(VALU_DEP_1)
	v_dual_cndmask_b32 v130, v130, v146 :: v_dual_and_b32 v147, 3, v147
	v_dual_cndmask_b32 v132, v132, v147 :: v_dual_lshlrev_b32 v53, 24, v53
	s_delay_alu instid0(VALU_DEP_2) | instskip(NEXT) | instid1(VALU_DEP_2)
	v_lshl_add_u32 v130, v130, 23, 0x37800000
	v_and_b32_e32 v53, 0x80000000, v53
	s_delay_alu instid0(VALU_DEP_3) | instskip(NEXT) | instid1(VALU_DEP_1)
	v_lshlrev_b32_e32 v132, 21, v132
	v_or3_b32 v130, v53, v130, v132
.LBB2_6392:                             ;   in Loop: Header=BB2_6306 Depth=3
	s_or_b32 exec_lo, exec_lo, s17
	s_delay_alu instid0(VALU_DEP_1) | instskip(NEXT) | instid1(VALU_DEP_1)
	v_mul_f32_e32 v53, v54, v130
	v_and_b32_e32 v130, 0x7f800000, v53
	s_delay_alu instid0(VALU_DEP_1)
	v_cmp_ne_u32_e32 vcc_lo, 0x7f800000, v130
	v_mov_b32_e32 v130, 0x80
	s_and_saveexec_b32 s17, vcc_lo
	s_cbranch_execz .LBB2_6400
; %bb.6393:                             ;   in Loop: Header=BB2_6306 Depth=3
	v_mov_b32_e32 v130, 0
	s_mov_b32 s30, exec_lo
	v_cmpx_ne_u32_e32 0, v53
	s_cbranch_execz .LBB2_6399
; %bb.6394:                             ;   in Loop: Header=BB2_6306 Depth=3
	v_bfe_u32 v130, v53, 23, 8
	v_and_b32_e32 v132, 0x7fffff, v53
	s_delay_alu instid0(VALU_DEP_2) | instskip(SKIP_1) | instid1(VALU_DEP_3)
	v_sub_nc_u32_e32 v146, 0x70, v130
	v_cmp_gt_u32_e32 vcc_lo, 0x71, v130
	v_or_b32_e32 v147, 0x800000, v132
	s_delay_alu instid0(VALU_DEP_3) | instskip(SKIP_2) | instid1(VALU_DEP_3)
	v_cndmask_b32_e32 v146, 0, v146, vcc_lo
	v_cmp_eq_u32_e32 vcc_lo, 0, v130
	v_add_nc_u32_e32 v130, 0xffffff91, v130
	v_cndmask_b32_e64 v146, v146, 0x6f, vcc_lo
	v_cndmask_b32_e32 v132, v147, v132, vcc_lo
	s_delay_alu instid0(VALU_DEP_3) | instskip(NEXT) | instid1(VALU_DEP_3)
	v_cndmask_b32_e64 v130, v130, 0xffffff92, vcc_lo
	v_lshl_add_u32 v147, 0x200000, v146, -1
	s_delay_alu instid0(VALU_DEP_3) | instskip(SKIP_1) | instid1(VALU_DEP_4)
	v_lshrrev_b32_e32 v148, v146, v132
	v_lshlrev_b32_e64 v150, v146, 0x100000
	v_add_nc_u32_e32 v146, v146, v130
	s_delay_alu instid0(VALU_DEP_4) | instskip(NEXT) | instid1(VALU_DEP_4)
	v_and_b32_e32 v132, v147, v132
	v_bfe_u32 v149, v148, 21, 1
	s_delay_alu instid0(VALU_DEP_2) | instskip(NEXT) | instid1(VALU_DEP_2)
	v_cmp_eq_u32_e64 s13, v132, v150
	v_add_nc_u32_e32 v147, -1, v149
	s_delay_alu instid0(VALU_DEP_1) | instskip(SKIP_2) | instid1(VALU_DEP_2)
	v_cndmask_b32_e64 v132, 0, v147, s13
	v_lshrrev_b32_e32 v147, 23, v148
	s_mov_b32 s13, exec_lo
	v_add_nc_u32_e32 v132, v132, v148
	s_delay_alu instid0(VALU_DEP_2) | instskip(NEXT) | instid1(VALU_DEP_2)
	v_xor_b32_e32 v147, 1, v147
	v_and_b32_e32 v130, 0x1fffff, v132
	s_delay_alu instid0(VALU_DEP_1) | instskip(NEXT) | instid1(VALU_DEP_3)
	v_add_nc_u32_e32 v132, v130, v148
                                        ; implicit-def: $vgpr130
	v_cmpx_ne_u32_e64 v146, v147
	s_xor_b32 s13, exec_lo, s13
; %bb.6395:                             ;   in Loop: Header=BB2_6306 Depth=3
	s_delay_alu instid0(VALU_DEP_2) | instskip(SKIP_2) | instid1(VALU_DEP_2)
	v_cmp_lt_u32_e32 vcc_lo, 0xffffff, v132
	v_sub_nc_u32_e32 v130, v146, v147
	v_cndmask_b32_e64 v146, 0, 1, vcc_lo
	v_add_co_ci_u32_e32 v130, vcc_lo, 0, v130, vcc_lo
	s_delay_alu instid0(VALU_DEP_2)
	v_lshrrev_b32_e32 v132, v146, v132
; %bb.6396:                             ;   in Loop: Header=BB2_6306 Depth=3
	s_and_not1_saveexec_b32 s13, s13
; %bb.6397:                             ;   in Loop: Header=BB2_6306 Depth=3
	s_delay_alu instid0(VALU_DEP_1)
	v_bfe_u32 v130, v132, 23, 1
; %bb.6398:                             ;   in Loop: Header=BB2_6306 Depth=3
	s_or_b32 exec_lo, exec_lo, s13
	v_lshrrev_b32_e32 v132, 21, v132
	s_delay_alu instid0(VALU_DEP_2) | instskip(SKIP_2) | instid1(VALU_DEP_2)
	v_cmp_gt_i32_e32 vcc_lo, 32, v130
	v_lshrrev_b32_e32 v53, 24, v53
	v_min_i32_e32 v146, 31, v130
	v_dual_cndmask_b32 v132, 3, v132 :: v_dual_and_b32 v53, 0x80, v53
	s_delay_alu instid0(VALU_DEP_2) | instskip(NEXT) | instid1(VALU_DEP_2)
	v_lshlrev_b32_e32 v146, 2, v146
	v_or_b32_e32 v130, v130, v132
	s_delay_alu instid0(VALU_DEP_1) | instskip(SKIP_1) | instid1(VALU_DEP_1)
	v_cmp_ne_u32_e32 vcc_lo, 0, v130
	v_and_b32_e32 v147, 3, v132
	v_or3_b32 v53, v146, v53, v147
	s_delay_alu instid0(VALU_DEP_1)
	v_cndmask_b32_e32 v130, 0, v53, vcc_lo
.LBB2_6399:                             ;   in Loop: Header=BB2_6306 Depth=3
	s_or_b32 exec_lo, exec_lo, s30
.LBB2_6400:                             ;   in Loop: Header=BB2_6306 Depth=3
	s_delay_alu instid0(SALU_CYCLE_1)
	s_or_b32 exec_lo, exec_lo, s17
	flat_load_u8 v53, v[8:9] offset:224 slc dlc
	s_mov_b32 s13, 0
	s_mov_b32 s30, exec_lo
                                        ; implicit-def: $sgpr17
	s_waitcnt vmcnt(0) lgkmcnt(0)
	v_cmpx_lt_i16_e32 0x7f, v53
	s_xor_b32 s30, exec_lo, s30
	s_cbranch_execnz .LBB2_6569
; %bb.6401:                             ;   in Loop: Header=BB2_6306 Depth=3
	s_or_saveexec_b32 s30, s30
	v_mov_b32_e32 v132, s17
	s_xor_b32 exec_lo, exec_lo, s30
	s_cbranch_execnz .LBB2_6572
.LBB2_6402:                             ;   in Loop: Header=BB2_6306 Depth=3
	s_or_b32 exec_lo, exec_lo, s30
	s_and_saveexec_b32 s17, s13
	s_cbranch_execz .LBB2_6404
.LBB2_6403:                             ;   in Loop: Header=BB2_6306 Depth=3
	v_and_b32_e32 v132, 0xffff, v53
	s_delay_alu instid0(VALU_DEP_1) | instskip(NEXT) | instid1(VALU_DEP_1)
	v_and_b32_e32 v146, 3, v132
	v_clz_i32_u32_e32 v147, v146
	s_delay_alu instid0(VALU_DEP_1) | instskip(NEXT) | instid1(VALU_DEP_1)
	v_min_u32_e32 v147, 32, v147
	v_subrev_nc_u32_e32 v148, 29, v147
	v_sub_nc_u32_e32 v147, 30, v147
	s_delay_alu instid0(VALU_DEP_2) | instskip(SKIP_1) | instid1(VALU_DEP_2)
	v_lshlrev_b32_e32 v148, v148, v132
	v_bfe_u32 v132, v132, 2, 5
	v_and_b32_e32 v148, 3, v148
	s_delay_alu instid0(VALU_DEP_2) | instskip(SKIP_1) | instid1(VALU_DEP_1)
	v_cmp_eq_u32_e32 vcc_lo, 0, v132
	v_dual_cndmask_b32 v132, v132, v147 :: v_dual_lshlrev_b32 v53, 24, v53
	v_dual_cndmask_b32 v146, v146, v148 :: v_dual_and_b32 v53, 0x80000000, v53
	s_delay_alu instid0(VALU_DEP_2) | instskip(NEXT) | instid1(VALU_DEP_2)
	v_lshl_add_u32 v132, v132, 23, 0x37800000
	v_lshlrev_b32_e32 v146, 21, v146
	s_delay_alu instid0(VALU_DEP_1)
	v_or3_b32 v132, v53, v132, v146
.LBB2_6404:                             ;   in Loop: Header=BB2_6306 Depth=3
	s_or_b32 exec_lo, exec_lo, s17
	s_delay_alu instid0(VALU_DEP_1) | instskip(NEXT) | instid1(VALU_DEP_1)
	v_mul_f32_e32 v53, v54, v132
	v_and_b32_e32 v54, 0x7f800000, v53
	s_delay_alu instid0(VALU_DEP_1)
	v_cmp_ne_u32_e32 vcc_lo, 0x7f800000, v54
	v_mov_b32_e32 v54, 0x80
	s_and_saveexec_b32 s17, vcc_lo
	s_cbranch_execz .LBB2_6412
; %bb.6405:                             ;   in Loop: Header=BB2_6306 Depth=3
	v_mov_b32_e32 v54, 0
	s_mov_b32 s30, exec_lo
	v_cmpx_ne_u32_e32 0, v53
	s_cbranch_execz .LBB2_6411
; %bb.6406:                             ;   in Loop: Header=BB2_6306 Depth=3
	v_bfe_u32 v54, v53, 23, 8
	v_and_b32_e32 v132, 0x7fffff, v53
	s_delay_alu instid0(VALU_DEP_2) | instskip(SKIP_1) | instid1(VALU_DEP_3)
	v_sub_nc_u32_e32 v146, 0x70, v54
	v_cmp_gt_u32_e32 vcc_lo, 0x71, v54
	v_or_b32_e32 v147, 0x800000, v132
	s_delay_alu instid0(VALU_DEP_3) | instskip(SKIP_2) | instid1(VALU_DEP_3)
	v_cndmask_b32_e32 v146, 0, v146, vcc_lo
	v_cmp_eq_u32_e32 vcc_lo, 0, v54
	v_add_nc_u32_e32 v54, 0xffffff91, v54
	v_cndmask_b32_e64 v146, v146, 0x6f, vcc_lo
	v_cndmask_b32_e32 v132, v147, v132, vcc_lo
	s_delay_alu instid0(VALU_DEP_3) | instskip(NEXT) | instid1(VALU_DEP_3)
	v_cndmask_b32_e64 v54, v54, 0xffffff92, vcc_lo
	v_lshl_add_u32 v147, 0x200000, v146, -1
	s_delay_alu instid0(VALU_DEP_3) | instskip(SKIP_1) | instid1(VALU_DEP_4)
	v_lshrrev_b32_e32 v148, v146, v132
	v_lshlrev_b32_e64 v150, v146, 0x100000
	v_add_nc_u32_e32 v146, v146, v54
	s_delay_alu instid0(VALU_DEP_4) | instskip(NEXT) | instid1(VALU_DEP_4)
	v_and_b32_e32 v132, v147, v132
	v_bfe_u32 v149, v148, 21, 1
	s_delay_alu instid0(VALU_DEP_2) | instskip(NEXT) | instid1(VALU_DEP_2)
	v_cmp_eq_u32_e64 s13, v132, v150
	v_add_nc_u32_e32 v147, -1, v149
	s_delay_alu instid0(VALU_DEP_1) | instskip(SKIP_2) | instid1(VALU_DEP_2)
	v_cndmask_b32_e64 v132, 0, v147, s13
	v_lshrrev_b32_e32 v147, 23, v148
	s_mov_b32 s13, exec_lo
	v_add_nc_u32_e32 v132, v132, v148
	s_delay_alu instid0(VALU_DEP_2) | instskip(NEXT) | instid1(VALU_DEP_2)
	v_xor_b32_e32 v147, 1, v147
	v_and_b32_e32 v54, 0x1fffff, v132
	s_delay_alu instid0(VALU_DEP_1) | instskip(NEXT) | instid1(VALU_DEP_3)
	v_add_nc_u32_e32 v132, v54, v148
                                        ; implicit-def: $vgpr54
	v_cmpx_ne_u32_e64 v146, v147
	s_xor_b32 s13, exec_lo, s13
; %bb.6407:                             ;   in Loop: Header=BB2_6306 Depth=3
	s_delay_alu instid0(VALU_DEP_2) | instskip(SKIP_2) | instid1(VALU_DEP_2)
	v_cmp_lt_u32_e32 vcc_lo, 0xffffff, v132
	v_sub_nc_u32_e32 v54, v146, v147
	v_cndmask_b32_e64 v146, 0, 1, vcc_lo
	v_add_co_ci_u32_e32 v54, vcc_lo, 0, v54, vcc_lo
	s_delay_alu instid0(VALU_DEP_2)
	v_lshrrev_b32_e32 v132, v146, v132
; %bb.6408:                             ;   in Loop: Header=BB2_6306 Depth=3
	s_and_not1_saveexec_b32 s13, s13
; %bb.6409:                             ;   in Loop: Header=BB2_6306 Depth=3
	s_delay_alu instid0(VALU_DEP_1)
	v_bfe_u32 v54, v132, 23, 1
; %bb.6410:                             ;   in Loop: Header=BB2_6306 Depth=3
	s_or_b32 exec_lo, exec_lo, s13
	v_lshrrev_b32_e32 v132, 21, v132
	s_delay_alu instid0(VALU_DEP_2) | instskip(SKIP_2) | instid1(VALU_DEP_2)
	v_cmp_gt_i32_e32 vcc_lo, 32, v54
	v_lshrrev_b32_e32 v53, 24, v53
	v_min_i32_e32 v146, 31, v54
	v_dual_cndmask_b32 v132, 3, v132 :: v_dual_and_b32 v53, 0x80, v53
	s_delay_alu instid0(VALU_DEP_2) | instskip(NEXT) | instid1(VALU_DEP_2)
	v_lshlrev_b32_e32 v146, 2, v146
	v_or_b32_e32 v54, v54, v132
	s_delay_alu instid0(VALU_DEP_1) | instskip(SKIP_1) | instid1(VALU_DEP_1)
	v_cmp_ne_u32_e32 vcc_lo, 0, v54
	v_and_b32_e32 v147, 3, v132
	v_or3_b32 v53, v146, v53, v147
	s_delay_alu instid0(VALU_DEP_1)
	v_cndmask_b32_e32 v54, 0, v53, vcc_lo
.LBB2_6411:                             ;   in Loop: Header=BB2_6306 Depth=3
	s_or_b32 exec_lo, exec_lo, s30
.LBB2_6412:                             ;   in Loop: Header=BB2_6306 Depth=3
	s_delay_alu instid0(SALU_CYCLE_1)
	s_or_b32 exec_lo, exec_lo, s17
	s_clause 0x7
	flat_load_u8 v151, v[10:11] slc dlc
	flat_load_u8 v150, v[10:11] offset:32 slc dlc
	flat_load_u8 v149, v[10:11] offset:64 slc dlc
	;; [unrolled: 1-line block ×7, first 2 shown]
	v_and_b32_e32 v161, 0xff, v67
	s_mov_b32 s13, 0
	s_mov_b32 s30, exec_lo
                                        ; implicit-def: $sgpr17
	s_delay_alu instid0(VALU_DEP_1)
	v_cmpx_lt_i16_e64 0x7f, v161
	s_xor_b32 s30, exec_lo, s30
	s_cbranch_execnz .LBB2_6573
; %bb.6413:                             ;   in Loop: Header=BB2_6306 Depth=3
	s_or_saveexec_b32 s30, s30
	v_mov_b32_e32 v160, s17
	s_xor_b32 exec_lo, exec_lo, s30
	s_cbranch_execnz .LBB2_6576
.LBB2_6414:                             ;   in Loop: Header=BB2_6306 Depth=3
	s_or_b32 exec_lo, exec_lo, s30
	s_and_saveexec_b32 s17, s13
	s_cbranch_execz .LBB2_6416
.LBB2_6415:                             ;   in Loop: Header=BB2_6306 Depth=3
	v_lshrrev_b16 v163, 2, v67
	s_delay_alu instid0(VALU_DEP_1) | instskip(NEXT) | instid1(VALU_DEP_1)
	v_and_b32_e32 v163, 31, v163
	v_cmp_eq_u32_e32 vcc_lo, 0, v163
	v_and_b32_e32 v160, 3, v67
	s_delay_alu instid0(VALU_DEP_1) | instskip(NEXT) | instid1(VALU_DEP_1)
	v_clz_i32_u32_e32 v161, v160
	v_min_u32_e32 v161, 32, v161
	s_delay_alu instid0(VALU_DEP_1) | instskip(SKIP_1) | instid1(VALU_DEP_1)
	v_subrev_nc_u32_e32 v162, 29, v161
	v_sub_nc_u32_e32 v161, 30, v161
	v_dual_cndmask_b32 v161, v163, v161 :: v_dual_lshlrev_b32 v162, v162, v67
	v_lshlrev_b32_e32 v67, 24, v67
	s_delay_alu instid0(VALU_DEP_2) | instskip(NEXT) | instid1(VALU_DEP_3)
	v_and_b32_e32 v162, 3, v162
	v_lshl_add_u32 v161, v161, 23, 0x37800000
	s_delay_alu instid0(VALU_DEP_2) | instskip(NEXT) | instid1(VALU_DEP_1)
	v_dual_cndmask_b32 v160, v160, v162 :: v_dual_and_b32 v67, 0x80000000, v67
	v_lshlrev_b32_e32 v160, 21, v160
	s_delay_alu instid0(VALU_DEP_1)
	v_or3_b32 v160, v67, v161, v160
.LBB2_6416:                             ;   in Loop: Header=BB2_6306 Depth=3
	s_or_b32 exec_lo, exec_lo, s17
	s_waitcnt vmcnt(7) lgkmcnt(7)
	v_and_b32_e32 v161, 0xff, v151
	s_mov_b32 s13, 0
	s_mov_b32 s30, exec_lo
                                        ; implicit-def: $sgpr17
	s_delay_alu instid0(VALU_DEP_1)
	v_cmpx_lt_i16_e64 0x7f, v161
	s_xor_b32 s30, exec_lo, s30
	s_cbranch_execnz .LBB2_6577
; %bb.6417:                             ;   in Loop: Header=BB2_6306 Depth=3
	s_or_saveexec_b32 s30, s30
	v_mov_b32_e32 v67, s17
	s_xor_b32 exec_lo, exec_lo, s30
	s_cbranch_execnz .LBB2_6580
.LBB2_6418:                             ;   in Loop: Header=BB2_6306 Depth=3
	s_or_b32 exec_lo, exec_lo, s30
	s_and_saveexec_b32 s17, s13
	s_cbranch_execz .LBB2_6420
.LBB2_6419:                             ;   in Loop: Header=BB2_6306 Depth=3
	v_and_b32_e32 v67, 3, v151
	v_lshrrev_b16 v163, 2, v151
	s_delay_alu instid0(VALU_DEP_2) | instskip(NEXT) | instid1(VALU_DEP_2)
	v_clz_i32_u32_e32 v161, v67
	v_and_b32_e32 v163, 31, v163
	s_delay_alu instid0(VALU_DEP_2) | instskip(NEXT) | instid1(VALU_DEP_2)
	v_min_u32_e32 v161, 32, v161
	v_cmp_eq_u32_e32 vcc_lo, 0, v163
	s_delay_alu instid0(VALU_DEP_2) | instskip(SKIP_1) | instid1(VALU_DEP_1)
	v_subrev_nc_u32_e32 v162, 29, v161
	v_sub_nc_u32_e32 v161, 30, v161
	v_dual_cndmask_b32 v161, v163, v161 :: v_dual_lshlrev_b32 v162, v162, v151
	v_lshlrev_b32_e32 v151, 24, v151
	s_delay_alu instid0(VALU_DEP_2) | instskip(NEXT) | instid1(VALU_DEP_3)
	v_and_b32_e32 v162, 3, v162
	v_lshl_add_u32 v161, v161, 23, 0x37800000
	s_delay_alu instid0(VALU_DEP_3) | instskip(NEXT) | instid1(VALU_DEP_3)
	v_and_b32_e32 v151, 0x80000000, v151
	v_cndmask_b32_e32 v67, v67, v162, vcc_lo
	s_delay_alu instid0(VALU_DEP_1) | instskip(NEXT) | instid1(VALU_DEP_1)
	v_lshlrev_b32_e32 v67, 21, v67
	v_or3_b32 v67, v151, v161, v67
.LBB2_6420:                             ;   in Loop: Header=BB2_6306 Depth=3
	s_or_b32 exec_lo, exec_lo, s17
	s_delay_alu instid0(VALU_DEP_1) | instskip(NEXT) | instid1(VALU_DEP_1)
	v_add_f32_e32 v151, v160, v67
	v_and_b32_e32 v67, 0x7f800000, v151
	s_delay_alu instid0(VALU_DEP_1)
	v_cmp_ne_u32_e32 vcc_lo, 0x7f800000, v67
	v_mov_b32_e32 v67, 0x80
	s_and_saveexec_b32 s17, vcc_lo
	s_cbranch_execz .LBB2_6428
; %bb.6421:                             ;   in Loop: Header=BB2_6306 Depth=3
	v_mov_b32_e32 v67, 0
	s_mov_b32 s30, exec_lo
	v_cmpx_ne_u32_e32 0, v151
	s_cbranch_execz .LBB2_6427
; %bb.6422:                             ;   in Loop: Header=BB2_6306 Depth=3
	v_bfe_u32 v67, v151, 23, 8
	s_delay_alu instid0(VALU_DEP_1) | instskip(SKIP_1) | instid1(VALU_DEP_2)
	v_sub_nc_u32_e32 v161, 0x70, v67
	v_cmp_gt_u32_e32 vcc_lo, 0x71, v67
	v_dual_cndmask_b32 v161, 0, v161 :: v_dual_and_b32 v160, 0x7fffff, v151
	s_delay_alu instid0(VALU_DEP_1) | instskip(SKIP_2) | instid1(VALU_DEP_4)
	v_or_b32_e32 v162, 0x800000, v160
	v_cmp_eq_u32_e32 vcc_lo, 0, v67
	v_add_nc_u32_e32 v67, 0xffffff91, v67
	v_cndmask_b32_e64 v161, v161, 0x6f, vcc_lo
	s_delay_alu instid0(VALU_DEP_4) | instskip(NEXT) | instid1(VALU_DEP_3)
	v_cndmask_b32_e32 v160, v162, v160, vcc_lo
	v_cndmask_b32_e64 v67, v67, 0xffffff92, vcc_lo
	s_delay_alu instid0(VALU_DEP_3) | instskip(NEXT) | instid1(VALU_DEP_3)
	v_lshl_add_u32 v162, 0x200000, v161, -1
	v_lshrrev_b32_e32 v163, v161, v160
	v_lshlrev_b32_e64 v165, v161, 0x100000
	s_delay_alu instid0(VALU_DEP_4) | instskip(NEXT) | instid1(VALU_DEP_4)
	v_add_nc_u32_e32 v161, v161, v67
	v_and_b32_e32 v160, v162, v160
	s_delay_alu instid0(VALU_DEP_4) | instskip(NEXT) | instid1(VALU_DEP_2)
	v_bfe_u32 v164, v163, 21, 1
	v_cmp_eq_u32_e64 s13, v160, v165
	s_delay_alu instid0(VALU_DEP_2) | instskip(NEXT) | instid1(VALU_DEP_1)
	v_add_nc_u32_e32 v162, -1, v164
	v_cndmask_b32_e64 v160, 0, v162, s13
	v_lshrrev_b32_e32 v162, 23, v163
	s_mov_b32 s13, exec_lo
	s_delay_alu instid0(VALU_DEP_2) | instskip(NEXT) | instid1(VALU_DEP_2)
	v_add_nc_u32_e32 v160, v160, v163
	v_xor_b32_e32 v162, 1, v162
	s_delay_alu instid0(VALU_DEP_2) | instskip(NEXT) | instid1(VALU_DEP_1)
	v_and_b32_e32 v67, 0x1fffff, v160
	v_add_nc_u32_e32 v160, v67, v163
                                        ; implicit-def: $vgpr67
	s_delay_alu instid0(VALU_DEP_3)
	v_cmpx_ne_u32_e64 v161, v162
	s_xor_b32 s13, exec_lo, s13
; %bb.6423:                             ;   in Loop: Header=BB2_6306 Depth=3
	s_delay_alu instid0(VALU_DEP_2) | instskip(SKIP_2) | instid1(VALU_DEP_2)
	v_cmp_lt_u32_e32 vcc_lo, 0xffffff, v160
	v_sub_nc_u32_e32 v67, v161, v162
	v_cndmask_b32_e64 v161, 0, 1, vcc_lo
	v_add_co_ci_u32_e32 v67, vcc_lo, 0, v67, vcc_lo
	s_delay_alu instid0(VALU_DEP_2)
	v_lshrrev_b32_e32 v160, v161, v160
; %bb.6424:                             ;   in Loop: Header=BB2_6306 Depth=3
	s_and_not1_saveexec_b32 s13, s13
; %bb.6425:                             ;   in Loop: Header=BB2_6306 Depth=3
	s_delay_alu instid0(VALU_DEP_1)
	v_bfe_u32 v67, v160, 23, 1
; %bb.6426:                             ;   in Loop: Header=BB2_6306 Depth=3
	s_or_b32 exec_lo, exec_lo, s13
	v_lshrrev_b32_e32 v160, 21, v160
	s_delay_alu instid0(VALU_DEP_2) | instskip(SKIP_2) | instid1(VALU_DEP_2)
	v_cmp_gt_i32_e32 vcc_lo, 32, v67
	v_lshrrev_b32_e32 v151, 24, v151
	v_min_i32_e32 v161, 31, v67
	v_dual_cndmask_b32 v160, 3, v160 :: v_dual_and_b32 v151, 0x80, v151
	s_delay_alu instid0(VALU_DEP_2) | instskip(NEXT) | instid1(VALU_DEP_2)
	v_lshlrev_b32_e32 v161, 2, v161
	v_or_b32_e32 v67, v67, v160
	s_delay_alu instid0(VALU_DEP_1) | instskip(SKIP_1) | instid1(VALU_DEP_1)
	v_cmp_ne_u32_e32 vcc_lo, 0, v67
	v_and_b32_e32 v162, 3, v160
	v_or3_b32 v151, v161, v151, v162
	s_delay_alu instid0(VALU_DEP_1)
	v_cndmask_b32_e32 v67, 0, v151, vcc_lo
.LBB2_6427:                             ;   in Loop: Header=BB2_6306 Depth=3
	s_or_b32 exec_lo, exec_lo, s30
.LBB2_6428:                             ;   in Loop: Header=BB2_6306 Depth=3
	s_delay_alu instid0(SALU_CYCLE_1) | instskip(SKIP_3) | instid1(VALU_DEP_1)
	s_or_b32 exec_lo, exec_lo, s17
	v_and_b32_e32 v160, 0xff, v135
	s_mov_b32 s13, 0
	s_mov_b32 s30, exec_lo
                                        ; implicit-def: $sgpr17
	v_cmpx_lt_i16_e64 0x7f, v160
	s_xor_b32 s30, exec_lo, s30
	s_cbranch_execnz .LBB2_6581
; %bb.6429:                             ;   in Loop: Header=BB2_6306 Depth=3
	s_or_saveexec_b32 s30, s30
	v_mov_b32_e32 v151, s17
	s_xor_b32 exec_lo, exec_lo, s30
	s_cbranch_execnz .LBB2_6584
.LBB2_6430:                             ;   in Loop: Header=BB2_6306 Depth=3
	s_or_b32 exec_lo, exec_lo, s30
	s_and_saveexec_b32 s17, s13
	s_cbranch_execz .LBB2_6432
.LBB2_6431:                             ;   in Loop: Header=BB2_6306 Depth=3
	v_lshrrev_b16 v162, 2, v135
	s_delay_alu instid0(VALU_DEP_1) | instskip(NEXT) | instid1(VALU_DEP_1)
	v_and_b32_e32 v162, 31, v162
	v_cmp_eq_u32_e32 vcc_lo, 0, v162
	v_and_b32_e32 v151, 3, v135
	s_delay_alu instid0(VALU_DEP_1) | instskip(NEXT) | instid1(VALU_DEP_1)
	v_clz_i32_u32_e32 v160, v151
	v_min_u32_e32 v160, 32, v160
	s_delay_alu instid0(VALU_DEP_1) | instskip(SKIP_1) | instid1(VALU_DEP_1)
	v_subrev_nc_u32_e32 v161, 29, v160
	v_sub_nc_u32_e32 v160, 30, v160
	v_dual_cndmask_b32 v160, v162, v160 :: v_dual_lshlrev_b32 v161, v161, v135
	v_lshlrev_b32_e32 v135, 24, v135
	s_delay_alu instid0(VALU_DEP_2) | instskip(NEXT) | instid1(VALU_DEP_3)
	v_and_b32_e32 v161, 3, v161
	v_lshl_add_u32 v160, v160, 23, 0x37800000
	s_delay_alu instid0(VALU_DEP_3) | instskip(NEXT) | instid1(VALU_DEP_3)
	v_and_b32_e32 v135, 0x80000000, v135
	v_cndmask_b32_e32 v151, v151, v161, vcc_lo
	s_delay_alu instid0(VALU_DEP_1) | instskip(NEXT) | instid1(VALU_DEP_1)
	v_lshlrev_b32_e32 v151, 21, v151
	v_or3_b32 v151, v135, v160, v151
.LBB2_6432:                             ;   in Loop: Header=BB2_6306 Depth=3
	s_or_b32 exec_lo, exec_lo, s17
	s_waitcnt vmcnt(6) lgkmcnt(6)
	v_and_b32_e32 v160, 0xff, v150
	s_mov_b32 s13, 0
	s_mov_b32 s30, exec_lo
                                        ; implicit-def: $sgpr17
	s_delay_alu instid0(VALU_DEP_1)
	v_cmpx_lt_i16_e64 0x7f, v160
	s_xor_b32 s30, exec_lo, s30
	s_cbranch_execnz .LBB2_6585
; %bb.6433:                             ;   in Loop: Header=BB2_6306 Depth=3
	s_or_saveexec_b32 s30, s30
	v_mov_b32_e32 v135, s17
	s_xor_b32 exec_lo, exec_lo, s30
	s_cbranch_execnz .LBB2_6588
.LBB2_6434:                             ;   in Loop: Header=BB2_6306 Depth=3
	s_or_b32 exec_lo, exec_lo, s30
	s_and_saveexec_b32 s17, s13
	s_cbranch_execz .LBB2_6436
.LBB2_6435:                             ;   in Loop: Header=BB2_6306 Depth=3
	v_lshrrev_b16 v162, 2, v150
	s_delay_alu instid0(VALU_DEP_1) | instskip(NEXT) | instid1(VALU_DEP_1)
	v_and_b32_e32 v162, 31, v162
	v_cmp_eq_u32_e32 vcc_lo, 0, v162
	v_and_b32_e32 v135, 3, v150
	s_delay_alu instid0(VALU_DEP_1) | instskip(NEXT) | instid1(VALU_DEP_1)
	v_clz_i32_u32_e32 v160, v135
	v_min_u32_e32 v160, 32, v160
	s_delay_alu instid0(VALU_DEP_1) | instskip(SKIP_1) | instid1(VALU_DEP_1)
	v_subrev_nc_u32_e32 v161, 29, v160
	v_sub_nc_u32_e32 v160, 30, v160
	v_dual_cndmask_b32 v160, v162, v160 :: v_dual_lshlrev_b32 v161, v161, v150
	v_lshlrev_b32_e32 v150, 24, v150
	s_delay_alu instid0(VALU_DEP_2) | instskip(NEXT) | instid1(VALU_DEP_3)
	v_and_b32_e32 v161, 3, v161
	v_lshl_add_u32 v160, v160, 23, 0x37800000
	s_delay_alu instid0(VALU_DEP_2) | instskip(NEXT) | instid1(VALU_DEP_1)
	v_dual_cndmask_b32 v135, v135, v161 :: v_dual_and_b32 v150, 0x80000000, v150
	v_lshlrev_b32_e32 v135, 21, v135
	s_delay_alu instid0(VALU_DEP_1)
	v_or3_b32 v135, v150, v160, v135
.LBB2_6436:                             ;   in Loop: Header=BB2_6306 Depth=3
	s_or_b32 exec_lo, exec_lo, s17
	s_delay_alu instid0(VALU_DEP_1) | instskip(NEXT) | instid1(VALU_DEP_1)
	v_add_f32_e32 v150, v151, v135
	v_and_b32_e32 v135, 0x7f800000, v150
	s_delay_alu instid0(VALU_DEP_1)
	v_cmp_ne_u32_e32 vcc_lo, 0x7f800000, v135
	v_mov_b32_e32 v135, 0x80
	s_and_saveexec_b32 s17, vcc_lo
	s_cbranch_execz .LBB2_6444
; %bb.6437:                             ;   in Loop: Header=BB2_6306 Depth=3
	v_mov_b32_e32 v135, 0
	s_mov_b32 s30, exec_lo
	v_cmpx_ne_u32_e32 0, v150
	s_cbranch_execz .LBB2_6443
; %bb.6438:                             ;   in Loop: Header=BB2_6306 Depth=3
	v_bfe_u32 v135, v150, 23, 8
	s_delay_alu instid0(VALU_DEP_1) | instskip(SKIP_1) | instid1(VALU_DEP_2)
	v_sub_nc_u32_e32 v160, 0x70, v135
	v_cmp_gt_u32_e32 vcc_lo, 0x71, v135
	v_dual_cndmask_b32 v160, 0, v160 :: v_dual_and_b32 v151, 0x7fffff, v150
	s_delay_alu instid0(VALU_DEP_1) | instskip(SKIP_2) | instid1(VALU_DEP_4)
	v_or_b32_e32 v161, 0x800000, v151
	v_cmp_eq_u32_e32 vcc_lo, 0, v135
	v_add_nc_u32_e32 v135, 0xffffff91, v135
	v_cndmask_b32_e64 v160, v160, 0x6f, vcc_lo
	s_delay_alu instid0(VALU_DEP_4) | instskip(NEXT) | instid1(VALU_DEP_3)
	v_cndmask_b32_e32 v151, v161, v151, vcc_lo
	v_cndmask_b32_e64 v135, v135, 0xffffff92, vcc_lo
	s_delay_alu instid0(VALU_DEP_3) | instskip(NEXT) | instid1(VALU_DEP_3)
	v_lshl_add_u32 v161, 0x200000, v160, -1
	v_lshrrev_b32_e32 v162, v160, v151
	v_lshlrev_b32_e64 v164, v160, 0x100000
	s_delay_alu instid0(VALU_DEP_4) | instskip(NEXT) | instid1(VALU_DEP_4)
	v_add_nc_u32_e32 v160, v160, v135
	v_and_b32_e32 v151, v161, v151
	s_delay_alu instid0(VALU_DEP_4) | instskip(NEXT) | instid1(VALU_DEP_2)
	v_bfe_u32 v163, v162, 21, 1
	v_cmp_eq_u32_e64 s13, v151, v164
	s_delay_alu instid0(VALU_DEP_2) | instskip(NEXT) | instid1(VALU_DEP_1)
	v_add_nc_u32_e32 v161, -1, v163
	v_cndmask_b32_e64 v151, 0, v161, s13
	v_lshrrev_b32_e32 v161, 23, v162
	s_mov_b32 s13, exec_lo
	s_delay_alu instid0(VALU_DEP_2) | instskip(NEXT) | instid1(VALU_DEP_2)
	v_add_nc_u32_e32 v151, v151, v162
	v_xor_b32_e32 v161, 1, v161
	s_delay_alu instid0(VALU_DEP_2) | instskip(NEXT) | instid1(VALU_DEP_1)
	v_and_b32_e32 v135, 0x1fffff, v151
	v_add_nc_u32_e32 v151, v135, v162
                                        ; implicit-def: $vgpr135
	s_delay_alu instid0(VALU_DEP_3)
	v_cmpx_ne_u32_e64 v160, v161
	s_xor_b32 s13, exec_lo, s13
; %bb.6439:                             ;   in Loop: Header=BB2_6306 Depth=3
	s_delay_alu instid0(VALU_DEP_2) | instskip(SKIP_2) | instid1(VALU_DEP_2)
	v_cmp_lt_u32_e32 vcc_lo, 0xffffff, v151
	v_sub_nc_u32_e32 v135, v160, v161
	v_cndmask_b32_e64 v160, 0, 1, vcc_lo
	v_add_co_ci_u32_e32 v135, vcc_lo, 0, v135, vcc_lo
	s_delay_alu instid0(VALU_DEP_2)
	v_lshrrev_b32_e32 v151, v160, v151
; %bb.6440:                             ;   in Loop: Header=BB2_6306 Depth=3
	s_and_not1_saveexec_b32 s13, s13
; %bb.6441:                             ;   in Loop: Header=BB2_6306 Depth=3
	s_delay_alu instid0(VALU_DEP_1)
	v_bfe_u32 v135, v151, 23, 1
; %bb.6442:                             ;   in Loop: Header=BB2_6306 Depth=3
	s_or_b32 exec_lo, exec_lo, s13
	v_lshrrev_b32_e32 v151, 21, v151
	s_delay_alu instid0(VALU_DEP_2) | instskip(SKIP_2) | instid1(VALU_DEP_2)
	v_cmp_gt_i32_e32 vcc_lo, 32, v135
	v_lshrrev_b32_e32 v150, 24, v150
	v_min_i32_e32 v160, 31, v135
	v_dual_cndmask_b32 v151, 3, v151 :: v_dual_and_b32 v150, 0x80, v150
	s_delay_alu instid0(VALU_DEP_1) | instskip(SKIP_1) | instid1(VALU_DEP_2)
	v_or_b32_e32 v135, v135, v151
	v_and_b32_e32 v161, 3, v151
	v_cmp_ne_u32_e32 vcc_lo, 0, v135
	v_lshlrev_b32_e32 v160, 2, v160
	s_delay_alu instid0(VALU_DEP_1) | instskip(NEXT) | instid1(VALU_DEP_1)
	v_or3_b32 v150, v160, v150, v161
	v_cndmask_b32_e32 v135, 0, v150, vcc_lo
.LBB2_6443:                             ;   in Loop: Header=BB2_6306 Depth=3
	s_or_b32 exec_lo, exec_lo, s30
.LBB2_6444:                             ;   in Loop: Header=BB2_6306 Depth=3
	s_delay_alu instid0(SALU_CYCLE_1) | instskip(SKIP_3) | instid1(VALU_DEP_1)
	s_or_b32 exec_lo, exec_lo, s17
	v_and_b32_e32 v151, 0xff, v145
	s_mov_b32 s13, 0
	s_mov_b32 s30, exec_lo
                                        ; implicit-def: $sgpr17
	v_cmpx_lt_i16_e64 0x7f, v151
	s_xor_b32 s30, exec_lo, s30
	s_cbranch_execnz .LBB2_6589
; %bb.6445:                             ;   in Loop: Header=BB2_6306 Depth=3
	s_or_saveexec_b32 s30, s30
	v_mov_b32_e32 v150, s17
	s_xor_b32 exec_lo, exec_lo, s30
	s_cbranch_execnz .LBB2_6592
.LBB2_6446:                             ;   in Loop: Header=BB2_6306 Depth=3
	s_or_b32 exec_lo, exec_lo, s30
	s_and_saveexec_b32 s17, s13
	s_cbranch_execz .LBB2_6448
.LBB2_6447:                             ;   in Loop: Header=BB2_6306 Depth=3
	v_lshrrev_b16 v161, 2, v145
	s_delay_alu instid0(VALU_DEP_1) | instskip(NEXT) | instid1(VALU_DEP_1)
	v_and_b32_e32 v161, 31, v161
	v_cmp_eq_u32_e32 vcc_lo, 0, v161
	v_and_b32_e32 v150, 3, v145
	s_delay_alu instid0(VALU_DEP_1) | instskip(NEXT) | instid1(VALU_DEP_1)
	v_clz_i32_u32_e32 v151, v150
	v_min_u32_e32 v151, 32, v151
	s_delay_alu instid0(VALU_DEP_1) | instskip(SKIP_1) | instid1(VALU_DEP_1)
	v_subrev_nc_u32_e32 v160, 29, v151
	v_sub_nc_u32_e32 v151, 30, v151
	v_dual_cndmask_b32 v151, v161, v151 :: v_dual_lshlrev_b32 v160, v160, v145
	v_lshlrev_b32_e32 v145, 24, v145
	s_delay_alu instid0(VALU_DEP_2) | instskip(NEXT) | instid1(VALU_DEP_3)
	v_and_b32_e32 v160, 3, v160
	v_lshl_add_u32 v151, v151, 23, 0x37800000
	s_delay_alu instid0(VALU_DEP_2) | instskip(NEXT) | instid1(VALU_DEP_1)
	v_dual_cndmask_b32 v150, v150, v160 :: v_dual_and_b32 v145, 0x80000000, v145
	v_lshlrev_b32_e32 v150, 21, v150
	s_delay_alu instid0(VALU_DEP_1)
	v_or3_b32 v150, v145, v151, v150
.LBB2_6448:                             ;   in Loop: Header=BB2_6306 Depth=3
	s_or_b32 exec_lo, exec_lo, s17
	s_waitcnt vmcnt(5) lgkmcnt(5)
	v_and_b32_e32 v151, 0xff, v149
	s_mov_b32 s13, 0
	s_mov_b32 s30, exec_lo
                                        ; implicit-def: $sgpr17
	s_delay_alu instid0(VALU_DEP_1)
	v_cmpx_lt_i16_e64 0x7f, v151
	s_xor_b32 s30, exec_lo, s30
	s_cbranch_execnz .LBB2_6593
; %bb.6449:                             ;   in Loop: Header=BB2_6306 Depth=3
	s_or_saveexec_b32 s30, s30
	v_mov_b32_e32 v145, s17
	s_xor_b32 exec_lo, exec_lo, s30
	s_cbranch_execnz .LBB2_6596
.LBB2_6450:                             ;   in Loop: Header=BB2_6306 Depth=3
	s_or_b32 exec_lo, exec_lo, s30
	s_and_saveexec_b32 s17, s13
	s_cbranch_execz .LBB2_6452
.LBB2_6451:                             ;   in Loop: Header=BB2_6306 Depth=3
	v_and_b32_e32 v145, 3, v149
	v_lshrrev_b16 v161, 2, v149
	s_delay_alu instid0(VALU_DEP_2) | instskip(NEXT) | instid1(VALU_DEP_2)
	v_clz_i32_u32_e32 v151, v145
	v_and_b32_e32 v161, 31, v161
	s_delay_alu instid0(VALU_DEP_2) | instskip(NEXT) | instid1(VALU_DEP_2)
	v_min_u32_e32 v151, 32, v151
	v_cmp_eq_u32_e32 vcc_lo, 0, v161
	s_delay_alu instid0(VALU_DEP_2) | instskip(SKIP_1) | instid1(VALU_DEP_1)
	v_subrev_nc_u32_e32 v160, 29, v151
	v_sub_nc_u32_e32 v151, 30, v151
	v_dual_cndmask_b32 v151, v161, v151 :: v_dual_lshlrev_b32 v160, v160, v149
	v_lshlrev_b32_e32 v149, 24, v149
	s_delay_alu instid0(VALU_DEP_2) | instskip(NEXT) | instid1(VALU_DEP_3)
	v_and_b32_e32 v160, 3, v160
	v_lshl_add_u32 v151, v151, 23, 0x37800000
	s_delay_alu instid0(VALU_DEP_3) | instskip(NEXT) | instid1(VALU_DEP_3)
	v_and_b32_e32 v149, 0x80000000, v149
	v_cndmask_b32_e32 v145, v145, v160, vcc_lo
	s_delay_alu instid0(VALU_DEP_1) | instskip(NEXT) | instid1(VALU_DEP_1)
	v_lshlrev_b32_e32 v145, 21, v145
	v_or3_b32 v145, v149, v151, v145
.LBB2_6452:                             ;   in Loop: Header=BB2_6306 Depth=3
	s_or_b32 exec_lo, exec_lo, s17
	s_delay_alu instid0(VALU_DEP_1) | instskip(NEXT) | instid1(VALU_DEP_1)
	v_add_f32_e32 v149, v150, v145
	v_and_b32_e32 v145, 0x7f800000, v149
	s_delay_alu instid0(VALU_DEP_1)
	v_cmp_ne_u32_e32 vcc_lo, 0x7f800000, v145
	v_mov_b32_e32 v145, 0x80
	s_and_saveexec_b32 s17, vcc_lo
	s_cbranch_execz .LBB2_6460
; %bb.6453:                             ;   in Loop: Header=BB2_6306 Depth=3
	v_mov_b32_e32 v145, 0
	s_mov_b32 s30, exec_lo
	v_cmpx_ne_u32_e32 0, v149
	s_cbranch_execz .LBB2_6459
; %bb.6454:                             ;   in Loop: Header=BB2_6306 Depth=3
	v_bfe_u32 v145, v149, 23, 8
	s_delay_alu instid0(VALU_DEP_1) | instskip(SKIP_1) | instid1(VALU_DEP_2)
	v_sub_nc_u32_e32 v151, 0x70, v145
	v_cmp_gt_u32_e32 vcc_lo, 0x71, v145
	v_dual_cndmask_b32 v151, 0, v151 :: v_dual_and_b32 v150, 0x7fffff, v149
	s_delay_alu instid0(VALU_DEP_1) | instskip(SKIP_2) | instid1(VALU_DEP_4)
	v_or_b32_e32 v160, 0x800000, v150
	v_cmp_eq_u32_e32 vcc_lo, 0, v145
	v_add_nc_u32_e32 v145, 0xffffff91, v145
	v_cndmask_b32_e64 v151, v151, 0x6f, vcc_lo
	s_delay_alu instid0(VALU_DEP_4) | instskip(NEXT) | instid1(VALU_DEP_3)
	v_cndmask_b32_e32 v150, v160, v150, vcc_lo
	v_cndmask_b32_e64 v145, v145, 0xffffff92, vcc_lo
	s_delay_alu instid0(VALU_DEP_3) | instskip(NEXT) | instid1(VALU_DEP_3)
	v_lshl_add_u32 v160, 0x200000, v151, -1
	v_lshrrev_b32_e32 v161, v151, v150
	v_lshlrev_b32_e64 v163, v151, 0x100000
	s_delay_alu instid0(VALU_DEP_4) | instskip(NEXT) | instid1(VALU_DEP_4)
	v_add_nc_u32_e32 v151, v151, v145
	v_and_b32_e32 v150, v160, v150
	s_delay_alu instid0(VALU_DEP_4) | instskip(NEXT) | instid1(VALU_DEP_2)
	v_bfe_u32 v162, v161, 21, 1
	v_cmp_eq_u32_e64 s13, v150, v163
	s_delay_alu instid0(VALU_DEP_2) | instskip(NEXT) | instid1(VALU_DEP_1)
	v_add_nc_u32_e32 v160, -1, v162
	v_cndmask_b32_e64 v150, 0, v160, s13
	v_lshrrev_b32_e32 v160, 23, v161
	s_mov_b32 s13, exec_lo
	s_delay_alu instid0(VALU_DEP_2) | instskip(NEXT) | instid1(VALU_DEP_2)
	v_add_nc_u32_e32 v150, v150, v161
	v_xor_b32_e32 v160, 1, v160
	s_delay_alu instid0(VALU_DEP_2) | instskip(NEXT) | instid1(VALU_DEP_1)
	v_and_b32_e32 v145, 0x1fffff, v150
	v_add_nc_u32_e32 v150, v145, v161
                                        ; implicit-def: $vgpr145
	s_delay_alu instid0(VALU_DEP_3)
	v_cmpx_ne_u32_e64 v151, v160
	s_xor_b32 s13, exec_lo, s13
; %bb.6455:                             ;   in Loop: Header=BB2_6306 Depth=3
	s_delay_alu instid0(VALU_DEP_2) | instskip(SKIP_2) | instid1(VALU_DEP_2)
	v_cmp_lt_u32_e32 vcc_lo, 0xffffff, v150
	v_sub_nc_u32_e32 v145, v151, v160
	v_cndmask_b32_e64 v151, 0, 1, vcc_lo
	v_add_co_ci_u32_e32 v145, vcc_lo, 0, v145, vcc_lo
	s_delay_alu instid0(VALU_DEP_2)
	v_lshrrev_b32_e32 v150, v151, v150
; %bb.6456:                             ;   in Loop: Header=BB2_6306 Depth=3
	s_and_not1_saveexec_b32 s13, s13
; %bb.6457:                             ;   in Loop: Header=BB2_6306 Depth=3
	s_delay_alu instid0(VALU_DEP_1)
	v_bfe_u32 v145, v150, 23, 1
; %bb.6458:                             ;   in Loop: Header=BB2_6306 Depth=3
	s_or_b32 exec_lo, exec_lo, s13
	v_lshrrev_b32_e32 v150, 21, v150
	s_delay_alu instid0(VALU_DEP_2) | instskip(SKIP_2) | instid1(VALU_DEP_2)
	v_cmp_gt_i32_e32 vcc_lo, 32, v145
	v_lshrrev_b32_e32 v149, 24, v149
	v_min_i32_e32 v151, 31, v145
	v_dual_cndmask_b32 v150, 3, v150 :: v_dual_and_b32 v149, 0x80, v149
	s_delay_alu instid0(VALU_DEP_2) | instskip(NEXT) | instid1(VALU_DEP_2)
	v_lshlrev_b32_e32 v151, 2, v151
	v_or_b32_e32 v145, v145, v150
	s_delay_alu instid0(VALU_DEP_1) | instskip(SKIP_1) | instid1(VALU_DEP_1)
	v_cmp_ne_u32_e32 vcc_lo, 0, v145
	v_and_b32_e32 v160, 3, v150
	v_or3_b32 v149, v151, v149, v160
	s_delay_alu instid0(VALU_DEP_1)
	v_cndmask_b32_e32 v145, 0, v149, vcc_lo
.LBB2_6459:                             ;   in Loop: Header=BB2_6306 Depth=3
	s_or_b32 exec_lo, exec_lo, s30
.LBB2_6460:                             ;   in Loop: Header=BB2_6306 Depth=3
	s_delay_alu instid0(SALU_CYCLE_1) | instskip(SKIP_3) | instid1(VALU_DEP_1)
	s_or_b32 exec_lo, exec_lo, s17
	v_and_b32_e32 v150, 0xff, v144
	s_mov_b32 s13, 0
	s_mov_b32 s30, exec_lo
                                        ; implicit-def: $sgpr17
	v_cmpx_lt_i16_e64 0x7f, v150
	s_xor_b32 s30, exec_lo, s30
	s_cbranch_execnz .LBB2_6597
; %bb.6461:                             ;   in Loop: Header=BB2_6306 Depth=3
	s_or_saveexec_b32 s30, s30
	v_mov_b32_e32 v149, s17
	s_xor_b32 exec_lo, exec_lo, s30
	s_cbranch_execnz .LBB2_6600
.LBB2_6462:                             ;   in Loop: Header=BB2_6306 Depth=3
	s_or_b32 exec_lo, exec_lo, s30
	s_and_saveexec_b32 s17, s13
	s_cbranch_execz .LBB2_6464
.LBB2_6463:                             ;   in Loop: Header=BB2_6306 Depth=3
	v_lshrrev_b16 v160, 2, v144
	s_delay_alu instid0(VALU_DEP_1) | instskip(NEXT) | instid1(VALU_DEP_1)
	v_and_b32_e32 v160, 31, v160
	v_cmp_eq_u32_e32 vcc_lo, 0, v160
	v_and_b32_e32 v149, 3, v144
	s_delay_alu instid0(VALU_DEP_1) | instskip(NEXT) | instid1(VALU_DEP_1)
	v_clz_i32_u32_e32 v150, v149
	v_min_u32_e32 v150, 32, v150
	s_delay_alu instid0(VALU_DEP_1) | instskip(SKIP_1) | instid1(VALU_DEP_1)
	v_subrev_nc_u32_e32 v151, 29, v150
	v_sub_nc_u32_e32 v150, 30, v150
	v_dual_cndmask_b32 v150, v160, v150 :: v_dual_lshlrev_b32 v151, v151, v144
	v_lshlrev_b32_e32 v144, 24, v144
	s_delay_alu instid0(VALU_DEP_2) | instskip(NEXT) | instid1(VALU_DEP_3)
	v_and_b32_e32 v151, 3, v151
	v_lshl_add_u32 v150, v150, 23, 0x37800000
	s_delay_alu instid0(VALU_DEP_2) | instskip(NEXT) | instid1(VALU_DEP_1)
	v_dual_cndmask_b32 v149, v149, v151 :: v_dual_and_b32 v144, 0x80000000, v144
	v_lshlrev_b32_e32 v149, 21, v149
	s_delay_alu instid0(VALU_DEP_1)
	v_or3_b32 v149, v144, v150, v149
.LBB2_6464:                             ;   in Loop: Header=BB2_6306 Depth=3
	s_or_b32 exec_lo, exec_lo, s17
	s_waitcnt vmcnt(4) lgkmcnt(4)
	v_and_b32_e32 v150, 0xff, v148
	s_mov_b32 s13, 0
	s_mov_b32 s30, exec_lo
                                        ; implicit-def: $sgpr17
	s_delay_alu instid0(VALU_DEP_1)
	v_cmpx_lt_i16_e64 0x7f, v150
	s_xor_b32 s30, exec_lo, s30
	s_cbranch_execnz .LBB2_6601
; %bb.6465:                             ;   in Loop: Header=BB2_6306 Depth=3
	s_or_saveexec_b32 s30, s30
	v_mov_b32_e32 v144, s17
	s_xor_b32 exec_lo, exec_lo, s30
	s_cbranch_execnz .LBB2_6604
.LBB2_6466:                             ;   in Loop: Header=BB2_6306 Depth=3
	s_or_b32 exec_lo, exec_lo, s30
	s_and_saveexec_b32 s17, s13
	s_cbranch_execz .LBB2_6468
.LBB2_6467:                             ;   in Loop: Header=BB2_6306 Depth=3
	v_and_b32_e32 v144, 3, v148
	v_lshrrev_b16 v160, 2, v148
	s_delay_alu instid0(VALU_DEP_2) | instskip(NEXT) | instid1(VALU_DEP_2)
	v_clz_i32_u32_e32 v150, v144
	v_and_b32_e32 v160, 31, v160
	s_delay_alu instid0(VALU_DEP_2) | instskip(NEXT) | instid1(VALU_DEP_2)
	v_min_u32_e32 v150, 32, v150
	v_cmp_eq_u32_e32 vcc_lo, 0, v160
	s_delay_alu instid0(VALU_DEP_2) | instskip(SKIP_1) | instid1(VALU_DEP_1)
	v_subrev_nc_u32_e32 v151, 29, v150
	v_sub_nc_u32_e32 v150, 30, v150
	v_dual_cndmask_b32 v150, v160, v150 :: v_dual_lshlrev_b32 v151, v151, v148
	v_lshlrev_b32_e32 v148, 24, v148
	s_delay_alu instid0(VALU_DEP_2) | instskip(NEXT) | instid1(VALU_DEP_3)
	v_and_b32_e32 v151, 3, v151
	v_lshl_add_u32 v150, v150, 23, 0x37800000
	s_delay_alu instid0(VALU_DEP_3) | instskip(NEXT) | instid1(VALU_DEP_3)
	v_and_b32_e32 v148, 0x80000000, v148
	v_cndmask_b32_e32 v144, v144, v151, vcc_lo
	s_delay_alu instid0(VALU_DEP_1) | instskip(NEXT) | instid1(VALU_DEP_1)
	v_lshlrev_b32_e32 v144, 21, v144
	v_or3_b32 v144, v148, v150, v144
.LBB2_6468:                             ;   in Loop: Header=BB2_6306 Depth=3
	s_or_b32 exec_lo, exec_lo, s17
	s_delay_alu instid0(VALU_DEP_1) | instskip(NEXT) | instid1(VALU_DEP_1)
	v_add_f32_e32 v148, v149, v144
	v_and_b32_e32 v144, 0x7f800000, v148
	s_delay_alu instid0(VALU_DEP_1)
	v_cmp_ne_u32_e32 vcc_lo, 0x7f800000, v144
	v_mov_b32_e32 v144, 0x80
	s_and_saveexec_b32 s17, vcc_lo
	s_cbranch_execz .LBB2_6476
; %bb.6469:                             ;   in Loop: Header=BB2_6306 Depth=3
	v_mov_b32_e32 v144, 0
	s_mov_b32 s30, exec_lo
	v_cmpx_ne_u32_e32 0, v148
	s_cbranch_execz .LBB2_6475
; %bb.6470:                             ;   in Loop: Header=BB2_6306 Depth=3
	v_bfe_u32 v144, v148, 23, 8
	s_delay_alu instid0(VALU_DEP_1) | instskip(SKIP_1) | instid1(VALU_DEP_2)
	v_sub_nc_u32_e32 v150, 0x70, v144
	v_cmp_gt_u32_e32 vcc_lo, 0x71, v144
	v_dual_cndmask_b32 v150, 0, v150 :: v_dual_and_b32 v149, 0x7fffff, v148
	s_delay_alu instid0(VALU_DEP_1) | instskip(SKIP_2) | instid1(VALU_DEP_4)
	v_or_b32_e32 v151, 0x800000, v149
	v_cmp_eq_u32_e32 vcc_lo, 0, v144
	v_add_nc_u32_e32 v144, 0xffffff91, v144
	v_cndmask_b32_e64 v150, v150, 0x6f, vcc_lo
	s_delay_alu instid0(VALU_DEP_4) | instskip(NEXT) | instid1(VALU_DEP_3)
	v_cndmask_b32_e32 v149, v151, v149, vcc_lo
	v_cndmask_b32_e64 v144, v144, 0xffffff92, vcc_lo
	s_delay_alu instid0(VALU_DEP_3) | instskip(NEXT) | instid1(VALU_DEP_3)
	v_lshl_add_u32 v151, 0x200000, v150, -1
	v_lshrrev_b32_e32 v160, v150, v149
	v_lshlrev_b32_e64 v162, v150, 0x100000
	s_delay_alu instid0(VALU_DEP_4) | instskip(NEXT) | instid1(VALU_DEP_4)
	v_add_nc_u32_e32 v150, v150, v144
	v_and_b32_e32 v149, v151, v149
	s_delay_alu instid0(VALU_DEP_4) | instskip(NEXT) | instid1(VALU_DEP_2)
	v_bfe_u32 v161, v160, 21, 1
	v_cmp_eq_u32_e64 s13, v149, v162
	s_delay_alu instid0(VALU_DEP_2) | instskip(NEXT) | instid1(VALU_DEP_1)
	v_add_nc_u32_e32 v151, -1, v161
	v_cndmask_b32_e64 v149, 0, v151, s13
	v_lshrrev_b32_e32 v151, 23, v160
	s_mov_b32 s13, exec_lo
	s_delay_alu instid0(VALU_DEP_2) | instskip(NEXT) | instid1(VALU_DEP_2)
	v_add_nc_u32_e32 v149, v149, v160
	v_xor_b32_e32 v151, 1, v151
	s_delay_alu instid0(VALU_DEP_2) | instskip(NEXT) | instid1(VALU_DEP_1)
	v_and_b32_e32 v144, 0x1fffff, v149
	v_add_nc_u32_e32 v149, v144, v160
                                        ; implicit-def: $vgpr144
	s_delay_alu instid0(VALU_DEP_3)
	v_cmpx_ne_u32_e64 v150, v151
	s_xor_b32 s13, exec_lo, s13
; %bb.6471:                             ;   in Loop: Header=BB2_6306 Depth=3
	s_delay_alu instid0(VALU_DEP_2) | instskip(SKIP_2) | instid1(VALU_DEP_2)
	v_cmp_lt_u32_e32 vcc_lo, 0xffffff, v149
	v_sub_nc_u32_e32 v144, v150, v151
	v_cndmask_b32_e64 v150, 0, 1, vcc_lo
	v_add_co_ci_u32_e32 v144, vcc_lo, 0, v144, vcc_lo
	s_delay_alu instid0(VALU_DEP_2)
	v_lshrrev_b32_e32 v149, v150, v149
; %bb.6472:                             ;   in Loop: Header=BB2_6306 Depth=3
	s_and_not1_saveexec_b32 s13, s13
; %bb.6473:                             ;   in Loop: Header=BB2_6306 Depth=3
	s_delay_alu instid0(VALU_DEP_1)
	v_bfe_u32 v144, v149, 23, 1
; %bb.6474:                             ;   in Loop: Header=BB2_6306 Depth=3
	s_or_b32 exec_lo, exec_lo, s13
	v_lshrrev_b32_e32 v149, 21, v149
	s_delay_alu instid0(VALU_DEP_2) | instskip(SKIP_2) | instid1(VALU_DEP_2)
	v_cmp_gt_i32_e32 vcc_lo, 32, v144
	v_lshrrev_b32_e32 v148, 24, v148
	v_min_i32_e32 v150, 31, v144
	v_dual_cndmask_b32 v149, 3, v149 :: v_dual_and_b32 v148, 0x80, v148
	s_delay_alu instid0(VALU_DEP_2) | instskip(NEXT) | instid1(VALU_DEP_2)
	v_lshlrev_b32_e32 v150, 2, v150
	v_or_b32_e32 v144, v144, v149
	s_delay_alu instid0(VALU_DEP_1) | instskip(SKIP_1) | instid1(VALU_DEP_1)
	v_cmp_ne_u32_e32 vcc_lo, 0, v144
	v_and_b32_e32 v151, 3, v149
	v_or3_b32 v148, v150, v148, v151
	s_delay_alu instid0(VALU_DEP_1)
	v_cndmask_b32_e32 v144, 0, v148, vcc_lo
.LBB2_6475:                             ;   in Loop: Header=BB2_6306 Depth=3
	s_or_b32 exec_lo, exec_lo, s30
.LBB2_6476:                             ;   in Loop: Header=BB2_6306 Depth=3
	s_delay_alu instid0(SALU_CYCLE_1) | instskip(SKIP_3) | instid1(VALU_DEP_1)
	s_or_b32 exec_lo, exec_lo, s17
	v_and_b32_e32 v149, 0xff, v134
	s_mov_b32 s13, 0
	s_mov_b32 s30, exec_lo
                                        ; implicit-def: $sgpr17
	v_cmpx_lt_i16_e64 0x7f, v149
	s_xor_b32 s30, exec_lo, s30
	s_cbranch_execnz .LBB2_6605
; %bb.6477:                             ;   in Loop: Header=BB2_6306 Depth=3
	s_or_saveexec_b32 s30, s30
	v_mov_b32_e32 v148, s17
	s_xor_b32 exec_lo, exec_lo, s30
	s_cbranch_execnz .LBB2_6608
.LBB2_6478:                             ;   in Loop: Header=BB2_6306 Depth=3
	s_or_b32 exec_lo, exec_lo, s30
	s_and_saveexec_b32 s17, s13
	s_cbranch_execz .LBB2_6480
.LBB2_6479:                             ;   in Loop: Header=BB2_6306 Depth=3
	v_lshrrev_b16 v151, 2, v134
	s_delay_alu instid0(VALU_DEP_1) | instskip(NEXT) | instid1(VALU_DEP_1)
	v_and_b32_e32 v151, 31, v151
	v_cmp_eq_u32_e32 vcc_lo, 0, v151
	v_and_b32_e32 v148, 3, v134
	s_delay_alu instid0(VALU_DEP_1) | instskip(NEXT) | instid1(VALU_DEP_1)
	v_clz_i32_u32_e32 v149, v148
	v_min_u32_e32 v149, 32, v149
	s_delay_alu instid0(VALU_DEP_1) | instskip(SKIP_1) | instid1(VALU_DEP_1)
	v_subrev_nc_u32_e32 v150, 29, v149
	v_sub_nc_u32_e32 v149, 30, v149
	v_dual_cndmask_b32 v149, v151, v149 :: v_dual_lshlrev_b32 v150, v150, v134
	v_lshlrev_b32_e32 v134, 24, v134
	s_delay_alu instid0(VALU_DEP_2) | instskip(NEXT) | instid1(VALU_DEP_3)
	v_and_b32_e32 v150, 3, v150
	v_lshl_add_u32 v149, v149, 23, 0x37800000
	s_delay_alu instid0(VALU_DEP_3) | instskip(NEXT) | instid1(VALU_DEP_3)
	v_and_b32_e32 v134, 0x80000000, v134
	v_cndmask_b32_e32 v148, v148, v150, vcc_lo
	s_delay_alu instid0(VALU_DEP_1) | instskip(NEXT) | instid1(VALU_DEP_1)
	v_lshlrev_b32_e32 v148, 21, v148
	v_or3_b32 v148, v134, v149, v148
.LBB2_6480:                             ;   in Loop: Header=BB2_6306 Depth=3
	s_or_b32 exec_lo, exec_lo, s17
	s_waitcnt vmcnt(3) lgkmcnt(3)
	v_and_b32_e32 v149, 0xff, v147
	s_mov_b32 s13, 0
	s_mov_b32 s30, exec_lo
                                        ; implicit-def: $sgpr17
	s_delay_alu instid0(VALU_DEP_1)
	v_cmpx_lt_i16_e64 0x7f, v149
	s_xor_b32 s30, exec_lo, s30
	s_cbranch_execnz .LBB2_6609
; %bb.6481:                             ;   in Loop: Header=BB2_6306 Depth=3
	s_or_saveexec_b32 s30, s30
	v_mov_b32_e32 v134, s17
	s_xor_b32 exec_lo, exec_lo, s30
	s_cbranch_execnz .LBB2_6612
.LBB2_6482:                             ;   in Loop: Header=BB2_6306 Depth=3
	s_or_b32 exec_lo, exec_lo, s30
	s_and_saveexec_b32 s17, s13
	s_cbranch_execz .LBB2_6484
.LBB2_6483:                             ;   in Loop: Header=BB2_6306 Depth=3
	v_lshrrev_b16 v151, 2, v147
	s_delay_alu instid0(VALU_DEP_1) | instskip(NEXT) | instid1(VALU_DEP_1)
	v_and_b32_e32 v151, 31, v151
	v_cmp_eq_u32_e32 vcc_lo, 0, v151
	v_and_b32_e32 v134, 3, v147
	s_delay_alu instid0(VALU_DEP_1) | instskip(NEXT) | instid1(VALU_DEP_1)
	v_clz_i32_u32_e32 v149, v134
	v_min_u32_e32 v149, 32, v149
	s_delay_alu instid0(VALU_DEP_1) | instskip(SKIP_1) | instid1(VALU_DEP_1)
	v_subrev_nc_u32_e32 v150, 29, v149
	v_sub_nc_u32_e32 v149, 30, v149
	v_dual_cndmask_b32 v149, v151, v149 :: v_dual_lshlrev_b32 v150, v150, v147
	v_lshlrev_b32_e32 v147, 24, v147
	s_delay_alu instid0(VALU_DEP_2) | instskip(NEXT) | instid1(VALU_DEP_3)
	v_and_b32_e32 v150, 3, v150
	v_lshl_add_u32 v149, v149, 23, 0x37800000
	s_delay_alu instid0(VALU_DEP_2) | instskip(NEXT) | instid1(VALU_DEP_1)
	v_dual_cndmask_b32 v134, v134, v150 :: v_dual_and_b32 v147, 0x80000000, v147
	v_lshlrev_b32_e32 v134, 21, v134
	s_delay_alu instid0(VALU_DEP_1)
	v_or3_b32 v134, v147, v149, v134
.LBB2_6484:                             ;   in Loop: Header=BB2_6306 Depth=3
	s_or_b32 exec_lo, exec_lo, s17
	s_delay_alu instid0(VALU_DEP_1) | instskip(NEXT) | instid1(VALU_DEP_1)
	v_add_f32_e32 v147, v148, v134
	v_and_b32_e32 v134, 0x7f800000, v147
	s_delay_alu instid0(VALU_DEP_1)
	v_cmp_ne_u32_e32 vcc_lo, 0x7f800000, v134
	v_mov_b32_e32 v134, 0x80
	s_and_saveexec_b32 s17, vcc_lo
	s_cbranch_execz .LBB2_6492
; %bb.6485:                             ;   in Loop: Header=BB2_6306 Depth=3
	v_mov_b32_e32 v134, 0
	s_mov_b32 s30, exec_lo
	v_cmpx_ne_u32_e32 0, v147
	s_cbranch_execz .LBB2_6491
; %bb.6486:                             ;   in Loop: Header=BB2_6306 Depth=3
	v_bfe_u32 v134, v147, 23, 8
	s_delay_alu instid0(VALU_DEP_1) | instskip(SKIP_1) | instid1(VALU_DEP_2)
	v_sub_nc_u32_e32 v149, 0x70, v134
	v_cmp_gt_u32_e32 vcc_lo, 0x71, v134
	v_dual_cndmask_b32 v149, 0, v149 :: v_dual_and_b32 v148, 0x7fffff, v147
	s_delay_alu instid0(VALU_DEP_1) | instskip(SKIP_2) | instid1(VALU_DEP_4)
	v_or_b32_e32 v150, 0x800000, v148
	v_cmp_eq_u32_e32 vcc_lo, 0, v134
	v_add_nc_u32_e32 v134, 0xffffff91, v134
	v_cndmask_b32_e64 v149, v149, 0x6f, vcc_lo
	s_delay_alu instid0(VALU_DEP_2) | instskip(SKIP_1) | instid1(VALU_DEP_3)
	v_cndmask_b32_e64 v134, v134, 0xffffff92, vcc_lo
	v_cndmask_b32_e32 v148, v150, v148, vcc_lo
	v_lshl_add_u32 v150, 0x200000, v149, -1
	v_lshlrev_b32_e64 v161, v149, 0x100000
	s_delay_alu instid0(VALU_DEP_3) | instskip(SKIP_1) | instid1(VALU_DEP_4)
	v_lshrrev_b32_e32 v151, v149, v148
	v_add_nc_u32_e32 v149, v149, v134
	v_and_b32_e32 v148, v150, v148
	s_delay_alu instid0(VALU_DEP_3) | instskip(NEXT) | instid1(VALU_DEP_2)
	v_bfe_u32 v160, v151, 21, 1
	v_cmp_eq_u32_e64 s13, v148, v161
	s_delay_alu instid0(VALU_DEP_2) | instskip(NEXT) | instid1(VALU_DEP_1)
	v_add_nc_u32_e32 v150, -1, v160
	v_cndmask_b32_e64 v148, 0, v150, s13
	v_lshrrev_b32_e32 v150, 23, v151
	s_mov_b32 s13, exec_lo
	s_delay_alu instid0(VALU_DEP_2) | instskip(NEXT) | instid1(VALU_DEP_2)
	v_add_nc_u32_e32 v148, v148, v151
	v_xor_b32_e32 v150, 1, v150
	s_delay_alu instid0(VALU_DEP_2) | instskip(NEXT) | instid1(VALU_DEP_1)
	v_and_b32_e32 v134, 0x1fffff, v148
	v_add_nc_u32_e32 v148, v134, v151
                                        ; implicit-def: $vgpr134
	s_delay_alu instid0(VALU_DEP_3)
	v_cmpx_ne_u32_e64 v149, v150
	s_xor_b32 s13, exec_lo, s13
; %bb.6487:                             ;   in Loop: Header=BB2_6306 Depth=3
	s_delay_alu instid0(VALU_DEP_2) | instskip(SKIP_2) | instid1(VALU_DEP_2)
	v_cmp_lt_u32_e32 vcc_lo, 0xffffff, v148
	v_sub_nc_u32_e32 v134, v149, v150
	v_cndmask_b32_e64 v149, 0, 1, vcc_lo
	v_add_co_ci_u32_e32 v134, vcc_lo, 0, v134, vcc_lo
	s_delay_alu instid0(VALU_DEP_2)
	v_lshrrev_b32_e32 v148, v149, v148
; %bb.6488:                             ;   in Loop: Header=BB2_6306 Depth=3
	s_and_not1_saveexec_b32 s13, s13
; %bb.6489:                             ;   in Loop: Header=BB2_6306 Depth=3
	s_delay_alu instid0(VALU_DEP_1)
	v_bfe_u32 v134, v148, 23, 1
; %bb.6490:                             ;   in Loop: Header=BB2_6306 Depth=3
	s_or_b32 exec_lo, exec_lo, s13
	v_lshrrev_b32_e32 v148, 21, v148
	s_delay_alu instid0(VALU_DEP_2) | instskip(SKIP_2) | instid1(VALU_DEP_2)
	v_cmp_gt_i32_e32 vcc_lo, 32, v134
	v_lshrrev_b32_e32 v147, 24, v147
	v_min_i32_e32 v149, 31, v134
	v_dual_cndmask_b32 v148, 3, v148 :: v_dual_and_b32 v147, 0x80, v147
	s_delay_alu instid0(VALU_DEP_1) | instskip(SKIP_1) | instid1(VALU_DEP_2)
	v_or_b32_e32 v134, v134, v148
	v_and_b32_e32 v150, 3, v148
	v_cmp_ne_u32_e32 vcc_lo, 0, v134
	v_lshlrev_b32_e32 v149, 2, v149
	s_delay_alu instid0(VALU_DEP_1) | instskip(NEXT) | instid1(VALU_DEP_1)
	v_or3_b32 v147, v149, v147, v150
	v_cndmask_b32_e32 v134, 0, v147, vcc_lo
.LBB2_6491:                             ;   in Loop: Header=BB2_6306 Depth=3
	s_or_b32 exec_lo, exec_lo, s30
.LBB2_6492:                             ;   in Loop: Header=BB2_6306 Depth=3
	s_delay_alu instid0(SALU_CYCLE_1) | instskip(SKIP_3) | instid1(VALU_DEP_1)
	s_or_b32 exec_lo, exec_lo, s17
	v_and_b32_e32 v148, 0xff, v131
	s_mov_b32 s13, 0
	s_mov_b32 s30, exec_lo
                                        ; implicit-def: $sgpr17
	v_cmpx_lt_i16_e64 0x7f, v148
	s_xor_b32 s30, exec_lo, s30
	s_cbranch_execnz .LBB2_6613
; %bb.6493:                             ;   in Loop: Header=BB2_6306 Depth=3
	s_or_saveexec_b32 s30, s30
	v_mov_b32_e32 v147, s17
	s_xor_b32 exec_lo, exec_lo, s30
	s_cbranch_execnz .LBB2_6616
.LBB2_6494:                             ;   in Loop: Header=BB2_6306 Depth=3
	s_or_b32 exec_lo, exec_lo, s30
	s_and_saveexec_b32 s17, s13
	s_cbranch_execz .LBB2_6496
.LBB2_6495:                             ;   in Loop: Header=BB2_6306 Depth=3
	v_lshrrev_b16 v150, 2, v131
	s_delay_alu instid0(VALU_DEP_1) | instskip(NEXT) | instid1(VALU_DEP_1)
	v_and_b32_e32 v150, 31, v150
	v_cmp_eq_u32_e32 vcc_lo, 0, v150
	v_and_b32_e32 v147, 3, v131
	s_delay_alu instid0(VALU_DEP_1) | instskip(NEXT) | instid1(VALU_DEP_1)
	v_clz_i32_u32_e32 v148, v147
	v_min_u32_e32 v148, 32, v148
	s_delay_alu instid0(VALU_DEP_1) | instskip(SKIP_1) | instid1(VALU_DEP_1)
	v_subrev_nc_u32_e32 v149, 29, v148
	v_sub_nc_u32_e32 v148, 30, v148
	v_dual_cndmask_b32 v148, v150, v148 :: v_dual_lshlrev_b32 v149, v149, v131
	v_lshlrev_b32_e32 v131, 24, v131
	s_delay_alu instid0(VALU_DEP_2) | instskip(NEXT) | instid1(VALU_DEP_3)
	v_and_b32_e32 v149, 3, v149
	v_lshl_add_u32 v148, v148, 23, 0x37800000
	s_delay_alu instid0(VALU_DEP_3) | instskip(NEXT) | instid1(VALU_DEP_3)
	v_and_b32_e32 v131, 0x80000000, v131
	v_cndmask_b32_e32 v147, v147, v149, vcc_lo
	s_delay_alu instid0(VALU_DEP_1) | instskip(NEXT) | instid1(VALU_DEP_1)
	v_lshlrev_b32_e32 v147, 21, v147
	v_or3_b32 v147, v131, v148, v147
.LBB2_6496:                             ;   in Loop: Header=BB2_6306 Depth=3
	s_or_b32 exec_lo, exec_lo, s17
	s_waitcnt vmcnt(2) lgkmcnt(2)
	v_and_b32_e32 v148, 0xff, v146
	s_mov_b32 s13, 0
	s_mov_b32 s30, exec_lo
                                        ; implicit-def: $sgpr17
	s_delay_alu instid0(VALU_DEP_1)
	v_cmpx_lt_i16_e64 0x7f, v148
	s_xor_b32 s30, exec_lo, s30
	s_cbranch_execnz .LBB2_6617
; %bb.6497:                             ;   in Loop: Header=BB2_6306 Depth=3
	s_or_saveexec_b32 s30, s30
	v_mov_b32_e32 v131, s17
	s_xor_b32 exec_lo, exec_lo, s30
	s_cbranch_execnz .LBB2_6620
.LBB2_6498:                             ;   in Loop: Header=BB2_6306 Depth=3
	s_or_b32 exec_lo, exec_lo, s30
	s_and_saveexec_b32 s17, s13
	s_cbranch_execz .LBB2_6500
.LBB2_6499:                             ;   in Loop: Header=BB2_6306 Depth=3
	v_lshrrev_b16 v150, 2, v146
	s_delay_alu instid0(VALU_DEP_1) | instskip(NEXT) | instid1(VALU_DEP_1)
	v_and_b32_e32 v150, 31, v150
	v_cmp_eq_u32_e32 vcc_lo, 0, v150
	v_and_b32_e32 v131, 3, v146
	s_delay_alu instid0(VALU_DEP_1) | instskip(NEXT) | instid1(VALU_DEP_1)
	v_clz_i32_u32_e32 v148, v131
	v_min_u32_e32 v148, 32, v148
	s_delay_alu instid0(VALU_DEP_1) | instskip(SKIP_1) | instid1(VALU_DEP_1)
	v_subrev_nc_u32_e32 v149, 29, v148
	v_sub_nc_u32_e32 v148, 30, v148
	v_dual_cndmask_b32 v148, v150, v148 :: v_dual_lshlrev_b32 v149, v149, v146
	v_lshlrev_b32_e32 v146, 24, v146
	s_delay_alu instid0(VALU_DEP_2) | instskip(NEXT) | instid1(VALU_DEP_3)
	v_and_b32_e32 v149, 3, v149
	v_lshl_add_u32 v148, v148, 23, 0x37800000
	s_delay_alu instid0(VALU_DEP_2) | instskip(NEXT) | instid1(VALU_DEP_1)
	v_dual_cndmask_b32 v131, v131, v149 :: v_dual_and_b32 v146, 0x80000000, v146
	v_lshlrev_b32_e32 v131, 21, v131
	s_delay_alu instid0(VALU_DEP_1)
	v_or3_b32 v131, v146, v148, v131
.LBB2_6500:                             ;   in Loop: Header=BB2_6306 Depth=3
	s_or_b32 exec_lo, exec_lo, s17
	s_delay_alu instid0(VALU_DEP_1) | instskip(NEXT) | instid1(VALU_DEP_1)
	v_add_f32_e32 v146, v147, v131
	v_and_b32_e32 v131, 0x7f800000, v146
	s_delay_alu instid0(VALU_DEP_1)
	v_cmp_ne_u32_e32 vcc_lo, 0x7f800000, v131
	v_mov_b32_e32 v131, 0x80
	s_and_saveexec_b32 s17, vcc_lo
	s_cbranch_execz .LBB2_6508
; %bb.6501:                             ;   in Loop: Header=BB2_6306 Depth=3
	v_mov_b32_e32 v131, 0
	s_mov_b32 s30, exec_lo
	v_cmpx_ne_u32_e32 0, v146
	s_cbranch_execz .LBB2_6507
; %bb.6502:                             ;   in Loop: Header=BB2_6306 Depth=3
	v_bfe_u32 v131, v146, 23, 8
	s_delay_alu instid0(VALU_DEP_1) | instskip(SKIP_1) | instid1(VALU_DEP_2)
	v_sub_nc_u32_e32 v148, 0x70, v131
	v_cmp_gt_u32_e32 vcc_lo, 0x71, v131
	v_dual_cndmask_b32 v148, 0, v148 :: v_dual_and_b32 v147, 0x7fffff, v146
	s_delay_alu instid0(VALU_DEP_1) | instskip(SKIP_2) | instid1(VALU_DEP_4)
	v_or_b32_e32 v149, 0x800000, v147
	v_cmp_eq_u32_e32 vcc_lo, 0, v131
	v_add_nc_u32_e32 v131, 0xffffff91, v131
	v_cndmask_b32_e64 v148, v148, 0x6f, vcc_lo
	s_delay_alu instid0(VALU_DEP_4) | instskip(NEXT) | instid1(VALU_DEP_3)
	v_cndmask_b32_e32 v147, v149, v147, vcc_lo
	v_cndmask_b32_e64 v131, v131, 0xffffff92, vcc_lo
	s_delay_alu instid0(VALU_DEP_3) | instskip(NEXT) | instid1(VALU_DEP_3)
	v_lshl_add_u32 v149, 0x200000, v148, -1
	v_lshrrev_b32_e32 v150, v148, v147
	v_lshlrev_b32_e64 v160, v148, 0x100000
	s_delay_alu instid0(VALU_DEP_4) | instskip(NEXT) | instid1(VALU_DEP_4)
	v_add_nc_u32_e32 v148, v148, v131
	v_and_b32_e32 v147, v149, v147
	s_delay_alu instid0(VALU_DEP_4) | instskip(NEXT) | instid1(VALU_DEP_2)
	v_bfe_u32 v151, v150, 21, 1
	v_cmp_eq_u32_e64 s13, v147, v160
	s_delay_alu instid0(VALU_DEP_2) | instskip(NEXT) | instid1(VALU_DEP_1)
	v_add_nc_u32_e32 v149, -1, v151
	v_cndmask_b32_e64 v147, 0, v149, s13
	v_lshrrev_b32_e32 v149, 23, v150
	s_mov_b32 s13, exec_lo
	s_delay_alu instid0(VALU_DEP_2) | instskip(NEXT) | instid1(VALU_DEP_2)
	v_add_nc_u32_e32 v147, v147, v150
	v_xor_b32_e32 v149, 1, v149
	s_delay_alu instid0(VALU_DEP_2) | instskip(NEXT) | instid1(VALU_DEP_1)
	v_and_b32_e32 v131, 0x1fffff, v147
	v_add_nc_u32_e32 v147, v131, v150
                                        ; implicit-def: $vgpr131
	s_delay_alu instid0(VALU_DEP_3)
	v_cmpx_ne_u32_e64 v148, v149
	s_xor_b32 s13, exec_lo, s13
; %bb.6503:                             ;   in Loop: Header=BB2_6306 Depth=3
	s_delay_alu instid0(VALU_DEP_2) | instskip(SKIP_2) | instid1(VALU_DEP_2)
	v_cmp_lt_u32_e32 vcc_lo, 0xffffff, v147
	v_sub_nc_u32_e32 v131, v148, v149
	v_cndmask_b32_e64 v148, 0, 1, vcc_lo
	v_add_co_ci_u32_e32 v131, vcc_lo, 0, v131, vcc_lo
	s_delay_alu instid0(VALU_DEP_2)
	v_lshrrev_b32_e32 v147, v148, v147
; %bb.6504:                             ;   in Loop: Header=BB2_6306 Depth=3
	s_and_not1_saveexec_b32 s13, s13
; %bb.6505:                             ;   in Loop: Header=BB2_6306 Depth=3
	s_delay_alu instid0(VALU_DEP_1)
	v_bfe_u32 v131, v147, 23, 1
; %bb.6506:                             ;   in Loop: Header=BB2_6306 Depth=3
	s_or_b32 exec_lo, exec_lo, s13
	v_lshrrev_b32_e32 v147, 21, v147
	s_delay_alu instid0(VALU_DEP_2) | instskip(SKIP_2) | instid1(VALU_DEP_2)
	v_cmp_gt_i32_e32 vcc_lo, 32, v131
	v_lshrrev_b32_e32 v146, 24, v146
	v_min_i32_e32 v148, 31, v131
	v_dual_cndmask_b32 v147, 3, v147 :: v_dual_and_b32 v146, 0x80, v146
	s_delay_alu instid0(VALU_DEP_1) | instskip(SKIP_1) | instid1(VALU_DEP_2)
	v_or_b32_e32 v131, v131, v147
	v_and_b32_e32 v149, 3, v147
	v_cmp_ne_u32_e32 vcc_lo, 0, v131
	v_lshlrev_b32_e32 v148, 2, v148
	s_delay_alu instid0(VALU_DEP_1) | instskip(NEXT) | instid1(VALU_DEP_1)
	v_or3_b32 v146, v148, v146, v149
	v_cndmask_b32_e32 v131, 0, v146, vcc_lo
.LBB2_6507:                             ;   in Loop: Header=BB2_6306 Depth=3
	s_or_b32 exec_lo, exec_lo, s30
.LBB2_6508:                             ;   in Loop: Header=BB2_6306 Depth=3
	s_delay_alu instid0(SALU_CYCLE_1) | instskip(SKIP_3) | instid1(VALU_DEP_1)
	s_or_b32 exec_lo, exec_lo, s17
	v_and_b32_e32 v147, 0xff, v130
	s_mov_b32 s13, 0
	s_mov_b32 s30, exec_lo
                                        ; implicit-def: $sgpr17
	v_cmpx_lt_i16_e64 0x7f, v147
	s_xor_b32 s30, exec_lo, s30
	s_cbranch_execnz .LBB2_6621
; %bb.6509:                             ;   in Loop: Header=BB2_6306 Depth=3
	s_or_saveexec_b32 s30, s30
	v_mov_b32_e32 v146, s17
	s_xor_b32 exec_lo, exec_lo, s30
	s_cbranch_execnz .LBB2_6624
.LBB2_6510:                             ;   in Loop: Header=BB2_6306 Depth=3
	s_or_b32 exec_lo, exec_lo, s30
	s_and_saveexec_b32 s17, s13
	s_cbranch_execz .LBB2_6512
.LBB2_6511:                             ;   in Loop: Header=BB2_6306 Depth=3
	v_lshrrev_b16 v149, 2, v130
	s_delay_alu instid0(VALU_DEP_1) | instskip(NEXT) | instid1(VALU_DEP_1)
	v_and_b32_e32 v149, 31, v149
	v_cmp_eq_u32_e32 vcc_lo, 0, v149
	v_and_b32_e32 v146, 3, v130
	s_delay_alu instid0(VALU_DEP_1) | instskip(NEXT) | instid1(VALU_DEP_1)
	v_clz_i32_u32_e32 v147, v146
	v_min_u32_e32 v147, 32, v147
	s_delay_alu instid0(VALU_DEP_1) | instskip(SKIP_1) | instid1(VALU_DEP_1)
	v_subrev_nc_u32_e32 v148, 29, v147
	v_sub_nc_u32_e32 v147, 30, v147
	v_dual_cndmask_b32 v147, v149, v147 :: v_dual_lshlrev_b32 v148, v148, v130
	v_lshlrev_b32_e32 v130, 24, v130
	s_delay_alu instid0(VALU_DEP_2) | instskip(NEXT) | instid1(VALU_DEP_3)
	v_and_b32_e32 v148, 3, v148
	v_lshl_add_u32 v147, v147, 23, 0x37800000
	s_delay_alu instid0(VALU_DEP_3) | instskip(NEXT) | instid1(VALU_DEP_3)
	v_and_b32_e32 v130, 0x80000000, v130
	v_cndmask_b32_e32 v146, v146, v148, vcc_lo
	s_delay_alu instid0(VALU_DEP_1) | instskip(NEXT) | instid1(VALU_DEP_1)
	v_lshlrev_b32_e32 v146, 21, v146
	v_or3_b32 v146, v130, v147, v146
.LBB2_6512:                             ;   in Loop: Header=BB2_6306 Depth=3
	s_or_b32 exec_lo, exec_lo, s17
	s_waitcnt vmcnt(1) lgkmcnt(1)
	v_and_b32_e32 v147, 0xff, v132
	s_mov_b32 s13, 0
	s_mov_b32 s30, exec_lo
                                        ; implicit-def: $sgpr17
	s_delay_alu instid0(VALU_DEP_1)
	v_cmpx_lt_i16_e64 0x7f, v147
	s_xor_b32 s30, exec_lo, s30
	s_cbranch_execnz .LBB2_6625
; %bb.6513:                             ;   in Loop: Header=BB2_6306 Depth=3
	s_or_saveexec_b32 s30, s30
	v_mov_b32_e32 v130, s17
	s_xor_b32 exec_lo, exec_lo, s30
	s_cbranch_execnz .LBB2_6628
.LBB2_6514:                             ;   in Loop: Header=BB2_6306 Depth=3
	s_or_b32 exec_lo, exec_lo, s30
	s_and_saveexec_b32 s17, s13
	s_cbranch_execz .LBB2_6516
.LBB2_6515:                             ;   in Loop: Header=BB2_6306 Depth=3
	v_lshrrev_b16 v149, 2, v132
	s_delay_alu instid0(VALU_DEP_1) | instskip(NEXT) | instid1(VALU_DEP_1)
	v_and_b32_e32 v149, 31, v149
	v_cmp_eq_u32_e32 vcc_lo, 0, v149
	v_and_b32_e32 v130, 3, v132
	s_delay_alu instid0(VALU_DEP_1) | instskip(NEXT) | instid1(VALU_DEP_1)
	v_clz_i32_u32_e32 v147, v130
	v_min_u32_e32 v147, 32, v147
	s_delay_alu instid0(VALU_DEP_1) | instskip(SKIP_1) | instid1(VALU_DEP_1)
	v_subrev_nc_u32_e32 v148, 29, v147
	v_sub_nc_u32_e32 v147, 30, v147
	v_dual_cndmask_b32 v147, v149, v147 :: v_dual_lshlrev_b32 v148, v148, v132
	v_lshlrev_b32_e32 v132, 24, v132
	s_delay_alu instid0(VALU_DEP_2) | instskip(NEXT) | instid1(VALU_DEP_3)
	v_and_b32_e32 v148, 3, v148
	v_lshl_add_u32 v147, v147, 23, 0x37800000
	s_delay_alu instid0(VALU_DEP_3) | instskip(NEXT) | instid1(VALU_DEP_3)
	v_and_b32_e32 v132, 0x80000000, v132
	v_cndmask_b32_e32 v130, v130, v148, vcc_lo
	s_delay_alu instid0(VALU_DEP_1) | instskip(NEXT) | instid1(VALU_DEP_1)
	v_lshlrev_b32_e32 v130, 21, v130
	v_or3_b32 v130, v132, v147, v130
.LBB2_6516:                             ;   in Loop: Header=BB2_6306 Depth=3
	s_or_b32 exec_lo, exec_lo, s17
	s_delay_alu instid0(VALU_DEP_1) | instskip(NEXT) | instid1(VALU_DEP_1)
	v_add_f32_e32 v132, v146, v130
	v_and_b32_e32 v130, 0x7f800000, v132
	s_delay_alu instid0(VALU_DEP_1)
	v_cmp_ne_u32_e32 vcc_lo, 0x7f800000, v130
	v_mov_b32_e32 v130, 0x80
	s_and_saveexec_b32 s17, vcc_lo
	s_cbranch_execz .LBB2_6524
; %bb.6517:                             ;   in Loop: Header=BB2_6306 Depth=3
	v_mov_b32_e32 v130, 0
	s_mov_b32 s30, exec_lo
	v_cmpx_ne_u32_e32 0, v132
	s_cbranch_execz .LBB2_6523
; %bb.6518:                             ;   in Loop: Header=BB2_6306 Depth=3
	v_bfe_u32 v130, v132, 23, 8
	s_delay_alu instid0(VALU_DEP_1) | instskip(SKIP_1) | instid1(VALU_DEP_2)
	v_sub_nc_u32_e32 v147, 0x70, v130
	v_cmp_gt_u32_e32 vcc_lo, 0x71, v130
	v_dual_cndmask_b32 v147, 0, v147 :: v_dual_and_b32 v146, 0x7fffff, v132
	s_delay_alu instid0(VALU_DEP_1) | instskip(SKIP_2) | instid1(VALU_DEP_4)
	v_or_b32_e32 v148, 0x800000, v146
	v_cmp_eq_u32_e32 vcc_lo, 0, v130
	v_add_nc_u32_e32 v130, 0xffffff91, v130
	v_cndmask_b32_e64 v147, v147, 0x6f, vcc_lo
	s_delay_alu instid0(VALU_DEP_4) | instskip(NEXT) | instid1(VALU_DEP_3)
	v_cndmask_b32_e32 v146, v148, v146, vcc_lo
	v_cndmask_b32_e64 v130, v130, 0xffffff92, vcc_lo
	s_delay_alu instid0(VALU_DEP_3) | instskip(NEXT) | instid1(VALU_DEP_3)
	v_lshl_add_u32 v148, 0x200000, v147, -1
	v_lshrrev_b32_e32 v149, v147, v146
	v_lshlrev_b32_e64 v151, v147, 0x100000
	s_delay_alu instid0(VALU_DEP_4) | instskip(NEXT) | instid1(VALU_DEP_4)
	v_add_nc_u32_e32 v147, v147, v130
	v_and_b32_e32 v146, v148, v146
	s_delay_alu instid0(VALU_DEP_4) | instskip(NEXT) | instid1(VALU_DEP_2)
	v_bfe_u32 v150, v149, 21, 1
	v_cmp_eq_u32_e64 s13, v146, v151
	s_delay_alu instid0(VALU_DEP_2) | instskip(NEXT) | instid1(VALU_DEP_1)
	v_add_nc_u32_e32 v148, -1, v150
	v_cndmask_b32_e64 v146, 0, v148, s13
	v_lshrrev_b32_e32 v148, 23, v149
	s_mov_b32 s13, exec_lo
	s_delay_alu instid0(VALU_DEP_2) | instskip(NEXT) | instid1(VALU_DEP_2)
	v_add_nc_u32_e32 v146, v146, v149
	v_xor_b32_e32 v148, 1, v148
	s_delay_alu instid0(VALU_DEP_2) | instskip(NEXT) | instid1(VALU_DEP_1)
	v_and_b32_e32 v130, 0x1fffff, v146
	v_add_nc_u32_e32 v146, v130, v149
                                        ; implicit-def: $vgpr130
	s_delay_alu instid0(VALU_DEP_3)
	v_cmpx_ne_u32_e64 v147, v148
	s_xor_b32 s13, exec_lo, s13
; %bb.6519:                             ;   in Loop: Header=BB2_6306 Depth=3
	s_delay_alu instid0(VALU_DEP_2) | instskip(SKIP_2) | instid1(VALU_DEP_2)
	v_cmp_lt_u32_e32 vcc_lo, 0xffffff, v146
	v_sub_nc_u32_e32 v130, v147, v148
	v_cndmask_b32_e64 v147, 0, 1, vcc_lo
	v_add_co_ci_u32_e32 v130, vcc_lo, 0, v130, vcc_lo
	s_delay_alu instid0(VALU_DEP_2)
	v_lshrrev_b32_e32 v146, v147, v146
; %bb.6520:                             ;   in Loop: Header=BB2_6306 Depth=3
	s_and_not1_saveexec_b32 s13, s13
; %bb.6521:                             ;   in Loop: Header=BB2_6306 Depth=3
	s_delay_alu instid0(VALU_DEP_1)
	v_bfe_u32 v130, v146, 23, 1
; %bb.6522:                             ;   in Loop: Header=BB2_6306 Depth=3
	s_or_b32 exec_lo, exec_lo, s13
	v_lshrrev_b32_e32 v146, 21, v146
	s_delay_alu instid0(VALU_DEP_2) | instskip(SKIP_2) | instid1(VALU_DEP_4)
	v_cmp_gt_i32_e32 vcc_lo, 32, v130
	v_lshrrev_b32_e32 v132, 24, v132
	v_min_i32_e32 v147, 31, v130
	v_cndmask_b32_e32 v146, 3, v146, vcc_lo
	s_delay_alu instid0(VALU_DEP_3) | instskip(NEXT) | instid1(VALU_DEP_3)
	v_and_b32_e32 v132, 0x80, v132
	v_lshlrev_b32_e32 v147, 2, v147
	s_delay_alu instid0(VALU_DEP_3) | instskip(SKIP_1) | instid1(VALU_DEP_2)
	v_and_b32_e32 v148, 3, v146
	v_or_b32_e32 v130, v130, v146
	v_or3_b32 v132, v147, v132, v148
	s_delay_alu instid0(VALU_DEP_2) | instskip(NEXT) | instid1(VALU_DEP_2)
	v_cmp_ne_u32_e32 vcc_lo, 0, v130
	v_cndmask_b32_e32 v130, 0, v132, vcc_lo
.LBB2_6523:                             ;   in Loop: Header=BB2_6306 Depth=3
	s_or_b32 exec_lo, exec_lo, s30
.LBB2_6524:                             ;   in Loop: Header=BB2_6306 Depth=3
	s_delay_alu instid0(SALU_CYCLE_1) | instskip(SKIP_3) | instid1(VALU_DEP_1)
	s_or_b32 exec_lo, exec_lo, s17
	v_and_b32_e32 v146, 0xff, v54
	s_mov_b32 s13, 0
	s_mov_b32 s30, exec_lo
                                        ; implicit-def: $sgpr17
	v_cmpx_lt_i16_e64 0x7f, v146
	s_xor_b32 s30, exec_lo, s30
	s_cbranch_execnz .LBB2_6629
; %bb.6525:                             ;   in Loop: Header=BB2_6306 Depth=3
	s_or_saveexec_b32 s30, s30
	v_mov_b32_e32 v132, s17
	s_xor_b32 exec_lo, exec_lo, s30
	s_cbranch_execnz .LBB2_6632
.LBB2_6526:                             ;   in Loop: Header=BB2_6306 Depth=3
	s_or_b32 exec_lo, exec_lo, s30
	s_and_saveexec_b32 s17, s13
	s_cbranch_execz .LBB2_6528
.LBB2_6527:                             ;   in Loop: Header=BB2_6306 Depth=3
	v_and_b32_e32 v132, 3, v54
	v_lshrrev_b16 v148, 2, v54
	s_delay_alu instid0(VALU_DEP_2) | instskip(NEXT) | instid1(VALU_DEP_2)
	v_clz_i32_u32_e32 v146, v132
	v_and_b32_e32 v148, 31, v148
	s_delay_alu instid0(VALU_DEP_2) | instskip(NEXT) | instid1(VALU_DEP_2)
	v_min_u32_e32 v146, 32, v146
	v_cmp_eq_u32_e32 vcc_lo, 0, v148
	s_delay_alu instid0(VALU_DEP_2) | instskip(SKIP_1) | instid1(VALU_DEP_2)
	v_subrev_nc_u32_e32 v147, 29, v146
	v_sub_nc_u32_e32 v146, 30, v146
	v_lshlrev_b32_e32 v147, v147, v54
	v_lshlrev_b32_e32 v54, 24, v54
	s_delay_alu instid0(VALU_DEP_2) | instskip(NEXT) | instid1(VALU_DEP_2)
	v_dual_cndmask_b32 v146, v148, v146 :: v_dual_and_b32 v147, 3, v147
	v_and_b32_e32 v54, 0x80000000, v54
	s_delay_alu instid0(VALU_DEP_2) | instskip(NEXT) | instid1(VALU_DEP_3)
	v_lshl_add_u32 v146, v146, 23, 0x37800000
	v_cndmask_b32_e32 v132, v132, v147, vcc_lo
	s_delay_alu instid0(VALU_DEP_1) | instskip(NEXT) | instid1(VALU_DEP_1)
	v_lshlrev_b32_e32 v132, 21, v132
	v_or3_b32 v132, v54, v146, v132
.LBB2_6528:                             ;   in Loop: Header=BB2_6306 Depth=3
	s_or_b32 exec_lo, exec_lo, s17
	s_waitcnt vmcnt(0) lgkmcnt(0)
	v_and_b32_e32 v146, 0xff, v53
	s_mov_b32 s13, 0
	s_mov_b32 s30, exec_lo
                                        ; implicit-def: $sgpr17
	s_delay_alu instid0(VALU_DEP_1)
	v_cmpx_lt_i16_e64 0x7f, v146
	s_xor_b32 s30, exec_lo, s30
	s_cbranch_execnz .LBB2_6633
; %bb.6529:                             ;   in Loop: Header=BB2_6306 Depth=3
	s_or_saveexec_b32 s30, s30
	v_mov_b32_e32 v54, s17
	s_xor_b32 exec_lo, exec_lo, s30
	s_cbranch_execnz .LBB2_6636
.LBB2_6530:                             ;   in Loop: Header=BB2_6306 Depth=3
	s_or_b32 exec_lo, exec_lo, s30
	s_and_saveexec_b32 s17, s13
	s_cbranch_execz .LBB2_6532
.LBB2_6531:                             ;   in Loop: Header=BB2_6306 Depth=3
	v_and_b32_e32 v54, 3, v53
	v_lshrrev_b16 v148, 2, v53
	s_delay_alu instid0(VALU_DEP_2) | instskip(NEXT) | instid1(VALU_DEP_2)
	v_clz_i32_u32_e32 v146, v54
	v_and_b32_e32 v148, 31, v148
	s_delay_alu instid0(VALU_DEP_2) | instskip(NEXT) | instid1(VALU_DEP_2)
	v_min_u32_e32 v146, 32, v146
	v_cmp_eq_u32_e32 vcc_lo, 0, v148
	s_delay_alu instid0(VALU_DEP_2) | instskip(SKIP_1) | instid1(VALU_DEP_1)
	v_subrev_nc_u32_e32 v147, 29, v146
	v_sub_nc_u32_e32 v146, 30, v146
	v_dual_cndmask_b32 v146, v148, v146 :: v_dual_lshlrev_b32 v147, v147, v53
	s_delay_alu instid0(VALU_DEP_1) | instskip(SKIP_1) | instid1(VALU_DEP_3)
	v_and_b32_e32 v147, 3, v147
	v_lshlrev_b32_e32 v53, 24, v53
	v_lshl_add_u32 v146, v146, 23, 0x37800000
	s_delay_alu instid0(VALU_DEP_2) | instskip(NEXT) | instid1(VALU_DEP_1)
	v_dual_cndmask_b32 v54, v54, v147 :: v_dual_and_b32 v53, 0x80000000, v53
	v_lshlrev_b32_e32 v54, 21, v54
	s_delay_alu instid0(VALU_DEP_1)
	v_or3_b32 v54, v53, v146, v54
.LBB2_6532:                             ;   in Loop: Header=BB2_6306 Depth=3
	s_or_b32 exec_lo, exec_lo, s17
	s_delay_alu instid0(VALU_DEP_1) | instskip(NEXT) | instid1(VALU_DEP_1)
	v_add_f32_e32 v53, v132, v54
	v_and_b32_e32 v54, 0x7f800000, v53
	s_delay_alu instid0(VALU_DEP_1)
	v_cmp_ne_u32_e32 vcc_lo, 0x7f800000, v54
	v_mov_b32_e32 v54, 0x80
	s_and_saveexec_b32 s17, vcc_lo
	s_cbranch_execz .LBB2_6540
; %bb.6533:                             ;   in Loop: Header=BB2_6306 Depth=3
	v_mov_b32_e32 v54, 0
	s_mov_b32 s30, exec_lo
	v_cmpx_ne_u32_e32 0, v53
	s_cbranch_execz .LBB2_6539
; %bb.6534:                             ;   in Loop: Header=BB2_6306 Depth=3
	v_bfe_u32 v54, v53, 23, 8
	v_and_b32_e32 v132, 0x7fffff, v53
	s_delay_alu instid0(VALU_DEP_2) | instskip(SKIP_1) | instid1(VALU_DEP_3)
	v_sub_nc_u32_e32 v146, 0x70, v54
	v_cmp_gt_u32_e32 vcc_lo, 0x71, v54
	v_or_b32_e32 v147, 0x800000, v132
	s_delay_alu instid0(VALU_DEP_3) | instskip(SKIP_2) | instid1(VALU_DEP_3)
	v_cndmask_b32_e32 v146, 0, v146, vcc_lo
	v_cmp_eq_u32_e32 vcc_lo, 0, v54
	v_add_nc_u32_e32 v54, 0xffffff91, v54
	v_cndmask_b32_e64 v146, v146, 0x6f, vcc_lo
	v_cndmask_b32_e32 v132, v147, v132, vcc_lo
	s_delay_alu instid0(VALU_DEP_3) | instskip(NEXT) | instid1(VALU_DEP_3)
	v_cndmask_b32_e64 v54, v54, 0xffffff92, vcc_lo
	v_lshl_add_u32 v147, 0x200000, v146, -1
	s_delay_alu instid0(VALU_DEP_3) | instskip(SKIP_1) | instid1(VALU_DEP_4)
	v_lshrrev_b32_e32 v148, v146, v132
	v_lshlrev_b32_e64 v150, v146, 0x100000
	v_add_nc_u32_e32 v146, v146, v54
	s_delay_alu instid0(VALU_DEP_4) | instskip(NEXT) | instid1(VALU_DEP_4)
	v_and_b32_e32 v132, v147, v132
	v_bfe_u32 v149, v148, 21, 1
	s_delay_alu instid0(VALU_DEP_2) | instskip(NEXT) | instid1(VALU_DEP_2)
	v_cmp_eq_u32_e64 s13, v132, v150
	v_add_nc_u32_e32 v147, -1, v149
	s_delay_alu instid0(VALU_DEP_1) | instskip(SKIP_2) | instid1(VALU_DEP_2)
	v_cndmask_b32_e64 v132, 0, v147, s13
	v_lshrrev_b32_e32 v147, 23, v148
	s_mov_b32 s13, exec_lo
	v_add_nc_u32_e32 v132, v132, v148
	s_delay_alu instid0(VALU_DEP_2) | instskip(NEXT) | instid1(VALU_DEP_2)
	v_xor_b32_e32 v147, 1, v147
	v_and_b32_e32 v54, 0x1fffff, v132
	s_delay_alu instid0(VALU_DEP_1) | instskip(NEXT) | instid1(VALU_DEP_3)
	v_add_nc_u32_e32 v132, v54, v148
                                        ; implicit-def: $vgpr54
	v_cmpx_ne_u32_e64 v146, v147
	s_xor_b32 s13, exec_lo, s13
; %bb.6535:                             ;   in Loop: Header=BB2_6306 Depth=3
	s_delay_alu instid0(VALU_DEP_2) | instskip(SKIP_2) | instid1(VALU_DEP_2)
	v_cmp_lt_u32_e32 vcc_lo, 0xffffff, v132
	v_sub_nc_u32_e32 v54, v146, v147
	v_cndmask_b32_e64 v146, 0, 1, vcc_lo
	v_add_co_ci_u32_e32 v54, vcc_lo, 0, v54, vcc_lo
	s_delay_alu instid0(VALU_DEP_2)
	v_lshrrev_b32_e32 v132, v146, v132
; %bb.6536:                             ;   in Loop: Header=BB2_6306 Depth=3
	s_and_not1_saveexec_b32 s13, s13
; %bb.6537:                             ;   in Loop: Header=BB2_6306 Depth=3
	s_delay_alu instid0(VALU_DEP_1)
	v_bfe_u32 v54, v132, 23, 1
; %bb.6538:                             ;   in Loop: Header=BB2_6306 Depth=3
	s_or_b32 exec_lo, exec_lo, s13
	v_lshrrev_b32_e32 v132, 21, v132
	s_delay_alu instid0(VALU_DEP_2) | instskip(SKIP_2) | instid1(VALU_DEP_2)
	v_cmp_gt_i32_e32 vcc_lo, 32, v54
	v_lshrrev_b32_e32 v53, 24, v53
	v_min_i32_e32 v146, 31, v54
	v_dual_cndmask_b32 v132, 3, v132 :: v_dual_and_b32 v53, 0x80, v53
	s_delay_alu instid0(VALU_DEP_2) | instskip(NEXT) | instid1(VALU_DEP_2)
	v_lshlrev_b32_e32 v146, 2, v146
	v_or_b32_e32 v54, v54, v132
	s_delay_alu instid0(VALU_DEP_1) | instskip(SKIP_1) | instid1(VALU_DEP_1)
	v_cmp_ne_u32_e32 vcc_lo, 0, v54
	v_and_b32_e32 v147, 3, v132
	v_or3_b32 v53, v146, v53, v147
	s_delay_alu instid0(VALU_DEP_1)
	v_cndmask_b32_e32 v54, 0, v53, vcc_lo
.LBB2_6539:                             ;   in Loop: Header=BB2_6306 Depth=3
	s_or_b32 exec_lo, exec_lo, s30
.LBB2_6540:                             ;   in Loop: Header=BB2_6306 Depth=3
	s_delay_alu instid0(SALU_CYCLE_1)
	s_or_b32 exec_lo, exec_lo, s17
	v_add_co_u32 v146, vcc_lo, 0xffffff20, v51
	v_add_co_ci_u32_e32 v147, vcc_lo, -1, v52, vcc_lo
	v_add_co_u32 v148, vcc_lo, 0xffffff40, v51
	v_add_co_ci_u32_e32 v149, vcc_lo, -1, v52, vcc_lo
	v_sub_nc_u32_e32 v2, v2, v71
	flat_store_b8 v[146:147], v67 glc slc dlc
	flat_store_b8 v[148:149], v135 glc slc dlc
	v_add_co_u32 v146, vcc_lo, 0xffffff60, v51
	v_add_co_ci_u32_e32 v147, vcc_lo, -1, v52, vcc_lo
	v_add_co_u32 v148, vcc_lo, 0xffffff80, v51
	v_add_co_ci_u32_e32 v149, vcc_lo, -1, v52, vcc_lo
	;; [unrolled: 2-line block ×5, first 2 shown]
	v_add_co_u32 v8, vcc_lo, v8, v99
	v_add_co_ci_u32_e32 v9, vcc_lo, v9, v100, vcc_lo
	v_add_co_u32 v10, vcc_lo, v10, v99
	v_add_co_ci_u32_e32 v11, vcc_lo, v11, v100, vcc_lo
	flat_store_b8 v[146:147], v145 glc slc dlc
	flat_store_b8 v[148:149], v144 glc slc dlc
	;; [unrolled: 1-line block ×6, first 2 shown]
	v_cmp_gt_i32_e32 vcc_lo, 1, v2
	v_add_co_u32 v51, s13, v51, v99
	s_delay_alu instid0(VALU_DEP_1) | instskip(SKIP_1) | instid1(SALU_CYCLE_1)
	v_add_co_ci_u32_e64 v52, s13, v52, v100, s13
	s_or_b32 s16, vcc_lo, s16
	s_and_not1_b32 exec_lo, exec_lo, s16
	s_cbranch_execnz .LBB2_6306
	s_branch .LBB2_6637
.LBB2_6541:                             ;   in Loop: Header=BB2_6306 Depth=3
	s_mov_b32 s13, -1
	s_mov_b32 s31, exec_lo
                                        ; implicit-def: $sgpr17
	v_cmpx_eq_u16_e32 0x80, v53
; %bb.6542:                             ;   in Loop: Header=BB2_6306 Depth=3
	s_mov_b32 s17, 0x7f800001
	s_xor_b32 s13, exec_lo, -1
; %bb.6543:                             ;   in Loop: Header=BB2_6306 Depth=3
	s_or_b32 exec_lo, exec_lo, s31
	s_delay_alu instid0(SALU_CYCLE_1)
	s_and_b32 s13, s13, exec_lo
	s_or_saveexec_b32 s30, s30
	v_mov_b32_e32 v67, s17
	s_xor_b32 exec_lo, exec_lo, s30
	s_cbranch_execz .LBB2_6318
.LBB2_6544:                             ;   in Loop: Header=BB2_6306 Depth=3
	v_cmp_ne_u16_e32 vcc_lo, 0, v53
	v_mov_b32_e32 v67, 0
	s_and_not1_b32 s13, s13, exec_lo
	s_and_b32 s17, vcc_lo, exec_lo
	s_delay_alu instid0(SALU_CYCLE_1)
	s_or_b32 s13, s13, s17
	s_or_b32 exec_lo, exec_lo, s30
	s_and_saveexec_b32 s17, s13
	s_cbranch_execnz .LBB2_6319
	s_branch .LBB2_6320
.LBB2_6545:                             ;   in Loop: Header=BB2_6306 Depth=3
	s_mov_b32 s13, -1
	s_mov_b32 s31, exec_lo
                                        ; implicit-def: $sgpr17
	v_cmpx_eq_u16_e32 0x80, v53
; %bb.6546:                             ;   in Loop: Header=BB2_6306 Depth=3
	s_mov_b32 s17, 0x7f800001
	s_xor_b32 s13, exec_lo, -1
; %bb.6547:                             ;   in Loop: Header=BB2_6306 Depth=3
	s_or_b32 exec_lo, exec_lo, s31
	s_delay_alu instid0(SALU_CYCLE_1)
	s_and_b32 s13, s13, exec_lo
	s_or_saveexec_b32 s30, s30
	v_mov_b32_e32 v130, s17
	s_xor_b32 exec_lo, exec_lo, s30
	s_cbranch_execz .LBB2_6330
.LBB2_6548:                             ;   in Loop: Header=BB2_6306 Depth=3
	v_cmp_ne_u16_e32 vcc_lo, 0, v53
	v_mov_b32_e32 v130, 0
	s_and_not1_b32 s13, s13, exec_lo
	s_and_b32 s17, vcc_lo, exec_lo
	s_delay_alu instid0(SALU_CYCLE_1)
	s_or_b32 s13, s13, s17
	s_or_b32 exec_lo, exec_lo, s30
	s_and_saveexec_b32 s17, s13
	s_cbranch_execnz .LBB2_6331
	s_branch .LBB2_6332
.LBB2_6549:                             ;   in Loop: Header=BB2_6306 Depth=3
	s_mov_b32 s13, -1
	s_mov_b32 s31, exec_lo
                                        ; implicit-def: $sgpr17
	v_cmpx_eq_u16_e32 0x80, v53
; %bb.6550:                             ;   in Loop: Header=BB2_6306 Depth=3
	s_mov_b32 s17, 0x7f800001
	s_xor_b32 s13, exec_lo, -1
; %bb.6551:                             ;   in Loop: Header=BB2_6306 Depth=3
	s_or_b32 exec_lo, exec_lo, s31
	s_delay_alu instid0(SALU_CYCLE_1)
	s_and_b32 s13, s13, exec_lo
	s_or_saveexec_b32 s30, s30
	v_mov_b32_e32 v130, s17
	s_xor_b32 exec_lo, exec_lo, s30
	s_cbranch_execz .LBB2_6342
.LBB2_6552:                             ;   in Loop: Header=BB2_6306 Depth=3
	v_cmp_ne_u16_e32 vcc_lo, 0, v53
	v_mov_b32_e32 v130, 0
	s_and_not1_b32 s13, s13, exec_lo
	s_and_b32 s17, vcc_lo, exec_lo
	s_delay_alu instid0(SALU_CYCLE_1)
	s_or_b32 s13, s13, s17
	s_or_b32 exec_lo, exec_lo, s30
	s_and_saveexec_b32 s17, s13
	s_cbranch_execnz .LBB2_6343
	s_branch .LBB2_6344
.LBB2_6553:                             ;   in Loop: Header=BB2_6306 Depth=3
	s_mov_b32 s13, -1
	s_mov_b32 s31, exec_lo
                                        ; implicit-def: $sgpr17
	v_cmpx_eq_u16_e32 0x80, v53
; %bb.6554:                             ;   in Loop: Header=BB2_6306 Depth=3
	s_mov_b32 s17, 0x7f800001
	s_xor_b32 s13, exec_lo, -1
; %bb.6555:                             ;   in Loop: Header=BB2_6306 Depth=3
	s_or_b32 exec_lo, exec_lo, s31
	s_delay_alu instid0(SALU_CYCLE_1)
	s_and_b32 s13, s13, exec_lo
	s_or_saveexec_b32 s30, s30
	v_mov_b32_e32 v130, s17
	s_xor_b32 exec_lo, exec_lo, s30
	s_cbranch_execz .LBB2_6354
.LBB2_6556:                             ;   in Loop: Header=BB2_6306 Depth=3
	v_cmp_ne_u16_e32 vcc_lo, 0, v53
	v_mov_b32_e32 v130, 0
	s_and_not1_b32 s13, s13, exec_lo
	s_and_b32 s17, vcc_lo, exec_lo
	s_delay_alu instid0(SALU_CYCLE_1)
	s_or_b32 s13, s13, s17
	s_or_b32 exec_lo, exec_lo, s30
	s_and_saveexec_b32 s17, s13
	s_cbranch_execnz .LBB2_6355
	s_branch .LBB2_6356
.LBB2_6557:                             ;   in Loop: Header=BB2_6306 Depth=3
	s_mov_b32 s13, -1
	s_mov_b32 s31, exec_lo
                                        ; implicit-def: $sgpr17
	v_cmpx_eq_u16_e32 0x80, v53
; %bb.6558:                             ;   in Loop: Header=BB2_6306 Depth=3
	s_mov_b32 s17, 0x7f800001
	s_xor_b32 s13, exec_lo, -1
; %bb.6559:                             ;   in Loop: Header=BB2_6306 Depth=3
	s_or_b32 exec_lo, exec_lo, s31
	s_delay_alu instid0(SALU_CYCLE_1)
	s_and_b32 s13, s13, exec_lo
	s_or_saveexec_b32 s30, s30
	v_mov_b32_e32 v130, s17
	s_xor_b32 exec_lo, exec_lo, s30
	s_cbranch_execz .LBB2_6366
.LBB2_6560:                             ;   in Loop: Header=BB2_6306 Depth=3
	v_cmp_ne_u16_e32 vcc_lo, 0, v53
	v_mov_b32_e32 v130, 0
	s_and_not1_b32 s13, s13, exec_lo
	s_and_b32 s17, vcc_lo, exec_lo
	s_delay_alu instid0(SALU_CYCLE_1)
	s_or_b32 s13, s13, s17
	s_or_b32 exec_lo, exec_lo, s30
	s_and_saveexec_b32 s17, s13
	s_cbranch_execnz .LBB2_6367
	s_branch .LBB2_6368
.LBB2_6561:                             ;   in Loop: Header=BB2_6306 Depth=3
	s_mov_b32 s13, -1
	s_mov_b32 s31, exec_lo
                                        ; implicit-def: $sgpr17
	v_cmpx_eq_u16_e32 0x80, v53
; %bb.6562:                             ;   in Loop: Header=BB2_6306 Depth=3
	s_mov_b32 s17, 0x7f800001
	s_xor_b32 s13, exec_lo, -1
; %bb.6563:                             ;   in Loop: Header=BB2_6306 Depth=3
	s_or_b32 exec_lo, exec_lo, s31
	s_delay_alu instid0(SALU_CYCLE_1)
	s_and_b32 s13, s13, exec_lo
	s_or_saveexec_b32 s30, s30
	v_mov_b32_e32 v130, s17
	s_xor_b32 exec_lo, exec_lo, s30
	s_cbranch_execz .LBB2_6378
.LBB2_6564:                             ;   in Loop: Header=BB2_6306 Depth=3
	v_cmp_ne_u16_e32 vcc_lo, 0, v53
	v_mov_b32_e32 v130, 0
	s_and_not1_b32 s13, s13, exec_lo
	s_and_b32 s17, vcc_lo, exec_lo
	s_delay_alu instid0(SALU_CYCLE_1)
	s_or_b32 s13, s13, s17
	s_or_b32 exec_lo, exec_lo, s30
	s_and_saveexec_b32 s17, s13
	s_cbranch_execnz .LBB2_6379
	s_branch .LBB2_6380
.LBB2_6565:                             ;   in Loop: Header=BB2_6306 Depth=3
	s_mov_b32 s13, -1
	s_mov_b32 s31, exec_lo
                                        ; implicit-def: $sgpr17
	v_cmpx_eq_u16_e32 0x80, v53
; %bb.6566:                             ;   in Loop: Header=BB2_6306 Depth=3
	s_mov_b32 s17, 0x7f800001
	s_xor_b32 s13, exec_lo, -1
; %bb.6567:                             ;   in Loop: Header=BB2_6306 Depth=3
	s_or_b32 exec_lo, exec_lo, s31
	s_delay_alu instid0(SALU_CYCLE_1)
	s_and_b32 s13, s13, exec_lo
	s_or_saveexec_b32 s30, s30
	v_mov_b32_e32 v130, s17
	s_xor_b32 exec_lo, exec_lo, s30
	s_cbranch_execz .LBB2_6390
.LBB2_6568:                             ;   in Loop: Header=BB2_6306 Depth=3
	v_cmp_ne_u16_e32 vcc_lo, 0, v53
	v_mov_b32_e32 v130, 0
	s_and_not1_b32 s13, s13, exec_lo
	s_and_b32 s17, vcc_lo, exec_lo
	s_delay_alu instid0(SALU_CYCLE_1)
	s_or_b32 s13, s13, s17
	s_or_b32 exec_lo, exec_lo, s30
	s_and_saveexec_b32 s17, s13
	s_cbranch_execnz .LBB2_6391
	s_branch .LBB2_6392
.LBB2_6569:                             ;   in Loop: Header=BB2_6306 Depth=3
	s_mov_b32 s13, -1
	s_mov_b32 s31, exec_lo
                                        ; implicit-def: $sgpr17
	v_cmpx_eq_u16_e32 0x80, v53
; %bb.6570:                             ;   in Loop: Header=BB2_6306 Depth=3
	s_mov_b32 s17, 0x7f800001
	s_xor_b32 s13, exec_lo, -1
; %bb.6571:                             ;   in Loop: Header=BB2_6306 Depth=3
	s_or_b32 exec_lo, exec_lo, s31
	s_delay_alu instid0(SALU_CYCLE_1)
	s_and_b32 s13, s13, exec_lo
	s_or_saveexec_b32 s30, s30
	v_mov_b32_e32 v132, s17
	s_xor_b32 exec_lo, exec_lo, s30
	s_cbranch_execz .LBB2_6402
.LBB2_6572:                             ;   in Loop: Header=BB2_6306 Depth=3
	v_cmp_ne_u16_e32 vcc_lo, 0, v53
	v_mov_b32_e32 v132, 0
	s_and_not1_b32 s13, s13, exec_lo
	s_and_b32 s17, vcc_lo, exec_lo
	s_delay_alu instid0(SALU_CYCLE_1)
	s_or_b32 s13, s13, s17
	s_or_b32 exec_lo, exec_lo, s30
	s_and_saveexec_b32 s17, s13
	s_cbranch_execnz .LBB2_6403
	s_branch .LBB2_6404
.LBB2_6573:                             ;   in Loop: Header=BB2_6306 Depth=3
	s_mov_b32 s13, -1
	s_mov_b32 s31, exec_lo
                                        ; implicit-def: $sgpr17
	v_cmpx_eq_u16_e64 0x80, v161
; %bb.6574:                             ;   in Loop: Header=BB2_6306 Depth=3
	s_mov_b32 s17, 0x7f800001
	s_xor_b32 s13, exec_lo, -1
; %bb.6575:                             ;   in Loop: Header=BB2_6306 Depth=3
	s_or_b32 exec_lo, exec_lo, s31
	s_delay_alu instid0(SALU_CYCLE_1)
	s_and_b32 s13, s13, exec_lo
                                        ; implicit-def: $vgpr161
	s_or_saveexec_b32 s30, s30
	v_mov_b32_e32 v160, s17
	s_xor_b32 exec_lo, exec_lo, s30
	s_cbranch_execz .LBB2_6414
.LBB2_6576:                             ;   in Loop: Header=BB2_6306 Depth=3
	v_cmp_ne_u16_e64 vcc_lo, 0, v161
	v_mov_b32_e32 v160, 0
	s_and_not1_b32 s13, s13, exec_lo
	s_delay_alu instid0(VALU_DEP_2) | instskip(NEXT) | instid1(SALU_CYCLE_1)
	s_and_b32 s17, vcc_lo, exec_lo
	s_or_b32 s13, s13, s17
	s_or_b32 exec_lo, exec_lo, s30
	s_and_saveexec_b32 s17, s13
	s_cbranch_execnz .LBB2_6415
	s_branch .LBB2_6416
.LBB2_6577:                             ;   in Loop: Header=BB2_6306 Depth=3
	s_mov_b32 s13, -1
	s_mov_b32 s31, exec_lo
                                        ; implicit-def: $sgpr17
	v_cmpx_eq_u16_e64 0x80, v161
; %bb.6578:                             ;   in Loop: Header=BB2_6306 Depth=3
	s_mov_b32 s17, 0x7f800001
	s_xor_b32 s13, exec_lo, -1
; %bb.6579:                             ;   in Loop: Header=BB2_6306 Depth=3
	s_or_b32 exec_lo, exec_lo, s31
	s_delay_alu instid0(SALU_CYCLE_1)
	s_and_b32 s13, s13, exec_lo
                                        ; implicit-def: $vgpr161
	s_or_saveexec_b32 s30, s30
	v_mov_b32_e32 v67, s17
	s_xor_b32 exec_lo, exec_lo, s30
	s_cbranch_execz .LBB2_6418
.LBB2_6580:                             ;   in Loop: Header=BB2_6306 Depth=3
	v_cmp_ne_u16_e64 vcc_lo, 0, v161
	v_mov_b32_e32 v67, 0
	s_and_not1_b32 s13, s13, exec_lo
	s_delay_alu instid0(VALU_DEP_2) | instskip(NEXT) | instid1(SALU_CYCLE_1)
	s_and_b32 s17, vcc_lo, exec_lo
	s_or_b32 s13, s13, s17
	s_or_b32 exec_lo, exec_lo, s30
	s_and_saveexec_b32 s17, s13
	s_cbranch_execnz .LBB2_6419
	s_branch .LBB2_6420
.LBB2_6581:                             ;   in Loop: Header=BB2_6306 Depth=3
	s_mov_b32 s13, -1
	s_mov_b32 s31, exec_lo
                                        ; implicit-def: $sgpr17
	v_cmpx_eq_u16_e64 0x80, v160
; %bb.6582:                             ;   in Loop: Header=BB2_6306 Depth=3
	s_mov_b32 s17, 0x7f800001
	s_xor_b32 s13, exec_lo, -1
; %bb.6583:                             ;   in Loop: Header=BB2_6306 Depth=3
	s_or_b32 exec_lo, exec_lo, s31
	s_delay_alu instid0(SALU_CYCLE_1)
	s_and_b32 s13, s13, exec_lo
                                        ; implicit-def: $vgpr160
	s_or_saveexec_b32 s30, s30
	v_mov_b32_e32 v151, s17
	s_xor_b32 exec_lo, exec_lo, s30
	s_cbranch_execz .LBB2_6430
.LBB2_6584:                             ;   in Loop: Header=BB2_6306 Depth=3
	v_cmp_ne_u16_e64 vcc_lo, 0, v160
	v_mov_b32_e32 v151, 0
	s_and_not1_b32 s13, s13, exec_lo
	s_delay_alu instid0(VALU_DEP_2) | instskip(NEXT) | instid1(SALU_CYCLE_1)
	s_and_b32 s17, vcc_lo, exec_lo
	s_or_b32 s13, s13, s17
	s_or_b32 exec_lo, exec_lo, s30
	s_and_saveexec_b32 s17, s13
	s_cbranch_execnz .LBB2_6431
	s_branch .LBB2_6432
.LBB2_6585:                             ;   in Loop: Header=BB2_6306 Depth=3
	s_mov_b32 s13, -1
	s_mov_b32 s31, exec_lo
                                        ; implicit-def: $sgpr17
	v_cmpx_eq_u16_e64 0x80, v160
; %bb.6586:                             ;   in Loop: Header=BB2_6306 Depth=3
	s_mov_b32 s17, 0x7f800001
	s_xor_b32 s13, exec_lo, -1
; %bb.6587:                             ;   in Loop: Header=BB2_6306 Depth=3
	s_or_b32 exec_lo, exec_lo, s31
	s_delay_alu instid0(SALU_CYCLE_1)
	s_and_b32 s13, s13, exec_lo
                                        ; implicit-def: $vgpr160
	s_or_saveexec_b32 s30, s30
	v_mov_b32_e32 v135, s17
	s_xor_b32 exec_lo, exec_lo, s30
	s_cbranch_execz .LBB2_6434
.LBB2_6588:                             ;   in Loop: Header=BB2_6306 Depth=3
	v_cmp_ne_u16_e64 vcc_lo, 0, v160
	v_mov_b32_e32 v135, 0
	s_and_not1_b32 s13, s13, exec_lo
	s_delay_alu instid0(VALU_DEP_2) | instskip(NEXT) | instid1(SALU_CYCLE_1)
	s_and_b32 s17, vcc_lo, exec_lo
	s_or_b32 s13, s13, s17
	s_or_b32 exec_lo, exec_lo, s30
	s_and_saveexec_b32 s17, s13
	s_cbranch_execnz .LBB2_6435
	s_branch .LBB2_6436
.LBB2_6589:                             ;   in Loop: Header=BB2_6306 Depth=3
	s_mov_b32 s13, -1
	s_mov_b32 s31, exec_lo
                                        ; implicit-def: $sgpr17
	v_cmpx_eq_u16_e64 0x80, v151
; %bb.6590:                             ;   in Loop: Header=BB2_6306 Depth=3
	s_mov_b32 s17, 0x7f800001
	s_xor_b32 s13, exec_lo, -1
; %bb.6591:                             ;   in Loop: Header=BB2_6306 Depth=3
	s_or_b32 exec_lo, exec_lo, s31
	s_delay_alu instid0(SALU_CYCLE_1)
	s_and_b32 s13, s13, exec_lo
                                        ; implicit-def: $vgpr151
	s_or_saveexec_b32 s30, s30
	v_mov_b32_e32 v150, s17
	s_xor_b32 exec_lo, exec_lo, s30
	s_cbranch_execz .LBB2_6446
.LBB2_6592:                             ;   in Loop: Header=BB2_6306 Depth=3
	v_cmp_ne_u16_e64 vcc_lo, 0, v151
	v_mov_b32_e32 v150, 0
	s_and_not1_b32 s13, s13, exec_lo
	s_delay_alu instid0(VALU_DEP_2) | instskip(NEXT) | instid1(SALU_CYCLE_1)
	s_and_b32 s17, vcc_lo, exec_lo
	s_or_b32 s13, s13, s17
	s_or_b32 exec_lo, exec_lo, s30
	s_and_saveexec_b32 s17, s13
	s_cbranch_execnz .LBB2_6447
	s_branch .LBB2_6448
.LBB2_6593:                             ;   in Loop: Header=BB2_6306 Depth=3
	s_mov_b32 s13, -1
	s_mov_b32 s31, exec_lo
                                        ; implicit-def: $sgpr17
	v_cmpx_eq_u16_e64 0x80, v151
; %bb.6594:                             ;   in Loop: Header=BB2_6306 Depth=3
	s_mov_b32 s17, 0x7f800001
	s_xor_b32 s13, exec_lo, -1
; %bb.6595:                             ;   in Loop: Header=BB2_6306 Depth=3
	s_or_b32 exec_lo, exec_lo, s31
	s_delay_alu instid0(SALU_CYCLE_1)
	s_and_b32 s13, s13, exec_lo
                                        ; implicit-def: $vgpr151
	s_or_saveexec_b32 s30, s30
	v_mov_b32_e32 v145, s17
	s_xor_b32 exec_lo, exec_lo, s30
	s_cbranch_execz .LBB2_6450
.LBB2_6596:                             ;   in Loop: Header=BB2_6306 Depth=3
	v_cmp_ne_u16_e64 vcc_lo, 0, v151
	v_mov_b32_e32 v145, 0
	s_and_not1_b32 s13, s13, exec_lo
	s_delay_alu instid0(VALU_DEP_2) | instskip(NEXT) | instid1(SALU_CYCLE_1)
	s_and_b32 s17, vcc_lo, exec_lo
	s_or_b32 s13, s13, s17
	s_or_b32 exec_lo, exec_lo, s30
	s_and_saveexec_b32 s17, s13
	s_cbranch_execnz .LBB2_6451
	s_branch .LBB2_6452
.LBB2_6597:                             ;   in Loop: Header=BB2_6306 Depth=3
	s_mov_b32 s13, -1
	s_mov_b32 s31, exec_lo
                                        ; implicit-def: $sgpr17
	v_cmpx_eq_u16_e64 0x80, v150
; %bb.6598:                             ;   in Loop: Header=BB2_6306 Depth=3
	s_mov_b32 s17, 0x7f800001
	s_xor_b32 s13, exec_lo, -1
; %bb.6599:                             ;   in Loop: Header=BB2_6306 Depth=3
	s_or_b32 exec_lo, exec_lo, s31
	s_delay_alu instid0(SALU_CYCLE_1)
	s_and_b32 s13, s13, exec_lo
                                        ; implicit-def: $vgpr150
	s_or_saveexec_b32 s30, s30
	v_mov_b32_e32 v149, s17
	s_xor_b32 exec_lo, exec_lo, s30
	s_cbranch_execz .LBB2_6462
.LBB2_6600:                             ;   in Loop: Header=BB2_6306 Depth=3
	v_cmp_ne_u16_e64 vcc_lo, 0, v150
	v_mov_b32_e32 v149, 0
	s_and_not1_b32 s13, s13, exec_lo
	s_delay_alu instid0(VALU_DEP_2) | instskip(NEXT) | instid1(SALU_CYCLE_1)
	s_and_b32 s17, vcc_lo, exec_lo
	s_or_b32 s13, s13, s17
	s_or_b32 exec_lo, exec_lo, s30
	s_and_saveexec_b32 s17, s13
	s_cbranch_execnz .LBB2_6463
	s_branch .LBB2_6464
.LBB2_6601:                             ;   in Loop: Header=BB2_6306 Depth=3
	s_mov_b32 s13, -1
	s_mov_b32 s31, exec_lo
                                        ; implicit-def: $sgpr17
	v_cmpx_eq_u16_e64 0x80, v150
; %bb.6602:                             ;   in Loop: Header=BB2_6306 Depth=3
	s_mov_b32 s17, 0x7f800001
	s_xor_b32 s13, exec_lo, -1
; %bb.6603:                             ;   in Loop: Header=BB2_6306 Depth=3
	s_or_b32 exec_lo, exec_lo, s31
	s_delay_alu instid0(SALU_CYCLE_1)
	s_and_b32 s13, s13, exec_lo
                                        ; implicit-def: $vgpr150
	s_or_saveexec_b32 s30, s30
	v_mov_b32_e32 v144, s17
	s_xor_b32 exec_lo, exec_lo, s30
	s_cbranch_execz .LBB2_6466
.LBB2_6604:                             ;   in Loop: Header=BB2_6306 Depth=3
	v_cmp_ne_u16_e64 vcc_lo, 0, v150
	v_mov_b32_e32 v144, 0
	s_and_not1_b32 s13, s13, exec_lo
	s_delay_alu instid0(VALU_DEP_2) | instskip(NEXT) | instid1(SALU_CYCLE_1)
	s_and_b32 s17, vcc_lo, exec_lo
	s_or_b32 s13, s13, s17
	s_or_b32 exec_lo, exec_lo, s30
	s_and_saveexec_b32 s17, s13
	s_cbranch_execnz .LBB2_6467
	s_branch .LBB2_6468
.LBB2_6605:                             ;   in Loop: Header=BB2_6306 Depth=3
	s_mov_b32 s13, -1
	s_mov_b32 s31, exec_lo
                                        ; implicit-def: $sgpr17
	v_cmpx_eq_u16_e64 0x80, v149
; %bb.6606:                             ;   in Loop: Header=BB2_6306 Depth=3
	s_mov_b32 s17, 0x7f800001
	s_xor_b32 s13, exec_lo, -1
; %bb.6607:                             ;   in Loop: Header=BB2_6306 Depth=3
	s_or_b32 exec_lo, exec_lo, s31
	s_delay_alu instid0(SALU_CYCLE_1)
	s_and_b32 s13, s13, exec_lo
                                        ; implicit-def: $vgpr149
	s_or_saveexec_b32 s30, s30
	v_mov_b32_e32 v148, s17
	s_xor_b32 exec_lo, exec_lo, s30
	s_cbranch_execz .LBB2_6478
.LBB2_6608:                             ;   in Loop: Header=BB2_6306 Depth=3
	v_cmp_ne_u16_e64 vcc_lo, 0, v149
	v_mov_b32_e32 v148, 0
	s_and_not1_b32 s13, s13, exec_lo
	s_delay_alu instid0(VALU_DEP_2) | instskip(NEXT) | instid1(SALU_CYCLE_1)
	s_and_b32 s17, vcc_lo, exec_lo
	s_or_b32 s13, s13, s17
	s_or_b32 exec_lo, exec_lo, s30
	s_and_saveexec_b32 s17, s13
	s_cbranch_execnz .LBB2_6479
	s_branch .LBB2_6480
.LBB2_6609:                             ;   in Loop: Header=BB2_6306 Depth=3
	s_mov_b32 s13, -1
	s_mov_b32 s31, exec_lo
                                        ; implicit-def: $sgpr17
	v_cmpx_eq_u16_e64 0x80, v149
; %bb.6610:                             ;   in Loop: Header=BB2_6306 Depth=3
	s_mov_b32 s17, 0x7f800001
	s_xor_b32 s13, exec_lo, -1
; %bb.6611:                             ;   in Loop: Header=BB2_6306 Depth=3
	s_or_b32 exec_lo, exec_lo, s31
	s_delay_alu instid0(SALU_CYCLE_1)
	s_and_b32 s13, s13, exec_lo
                                        ; implicit-def: $vgpr149
	s_or_saveexec_b32 s30, s30
	v_mov_b32_e32 v134, s17
	s_xor_b32 exec_lo, exec_lo, s30
	s_cbranch_execz .LBB2_6482
.LBB2_6612:                             ;   in Loop: Header=BB2_6306 Depth=3
	v_cmp_ne_u16_e64 vcc_lo, 0, v149
	v_mov_b32_e32 v134, 0
	s_and_not1_b32 s13, s13, exec_lo
	s_delay_alu instid0(VALU_DEP_2) | instskip(NEXT) | instid1(SALU_CYCLE_1)
	s_and_b32 s17, vcc_lo, exec_lo
	s_or_b32 s13, s13, s17
	s_or_b32 exec_lo, exec_lo, s30
	s_and_saveexec_b32 s17, s13
	s_cbranch_execnz .LBB2_6483
	s_branch .LBB2_6484
.LBB2_6613:                             ;   in Loop: Header=BB2_6306 Depth=3
	s_mov_b32 s13, -1
	s_mov_b32 s31, exec_lo
                                        ; implicit-def: $sgpr17
	v_cmpx_eq_u16_e64 0x80, v148
; %bb.6614:                             ;   in Loop: Header=BB2_6306 Depth=3
	s_mov_b32 s17, 0x7f800001
	s_xor_b32 s13, exec_lo, -1
; %bb.6615:                             ;   in Loop: Header=BB2_6306 Depth=3
	s_or_b32 exec_lo, exec_lo, s31
	s_delay_alu instid0(SALU_CYCLE_1)
	s_and_b32 s13, s13, exec_lo
                                        ; implicit-def: $vgpr148
	s_or_saveexec_b32 s30, s30
	v_mov_b32_e32 v147, s17
	s_xor_b32 exec_lo, exec_lo, s30
	s_cbranch_execz .LBB2_6494
.LBB2_6616:                             ;   in Loop: Header=BB2_6306 Depth=3
	v_cmp_ne_u16_e64 vcc_lo, 0, v148
	v_mov_b32_e32 v147, 0
	s_and_not1_b32 s13, s13, exec_lo
	s_delay_alu instid0(VALU_DEP_2) | instskip(NEXT) | instid1(SALU_CYCLE_1)
	s_and_b32 s17, vcc_lo, exec_lo
	s_or_b32 s13, s13, s17
	s_or_b32 exec_lo, exec_lo, s30
	s_and_saveexec_b32 s17, s13
	s_cbranch_execnz .LBB2_6495
	s_branch .LBB2_6496
.LBB2_6617:                             ;   in Loop: Header=BB2_6306 Depth=3
	s_mov_b32 s13, -1
	s_mov_b32 s31, exec_lo
                                        ; implicit-def: $sgpr17
	v_cmpx_eq_u16_e64 0x80, v148
; %bb.6618:                             ;   in Loop: Header=BB2_6306 Depth=3
	s_mov_b32 s17, 0x7f800001
	s_xor_b32 s13, exec_lo, -1
; %bb.6619:                             ;   in Loop: Header=BB2_6306 Depth=3
	s_or_b32 exec_lo, exec_lo, s31
	s_delay_alu instid0(SALU_CYCLE_1)
	s_and_b32 s13, s13, exec_lo
                                        ; implicit-def: $vgpr148
	s_or_saveexec_b32 s30, s30
	v_mov_b32_e32 v131, s17
	s_xor_b32 exec_lo, exec_lo, s30
	s_cbranch_execz .LBB2_6498
.LBB2_6620:                             ;   in Loop: Header=BB2_6306 Depth=3
	v_cmp_ne_u16_e64 vcc_lo, 0, v148
	v_mov_b32_e32 v131, 0
	s_and_not1_b32 s13, s13, exec_lo
	s_delay_alu instid0(VALU_DEP_2) | instskip(NEXT) | instid1(SALU_CYCLE_1)
	s_and_b32 s17, vcc_lo, exec_lo
	s_or_b32 s13, s13, s17
	s_or_b32 exec_lo, exec_lo, s30
	s_and_saveexec_b32 s17, s13
	s_cbranch_execnz .LBB2_6499
	s_branch .LBB2_6500
.LBB2_6621:                             ;   in Loop: Header=BB2_6306 Depth=3
	s_mov_b32 s13, -1
	s_mov_b32 s31, exec_lo
                                        ; implicit-def: $sgpr17
	v_cmpx_eq_u16_e64 0x80, v147
; %bb.6622:                             ;   in Loop: Header=BB2_6306 Depth=3
	s_mov_b32 s17, 0x7f800001
	s_xor_b32 s13, exec_lo, -1
; %bb.6623:                             ;   in Loop: Header=BB2_6306 Depth=3
	s_or_b32 exec_lo, exec_lo, s31
	s_delay_alu instid0(SALU_CYCLE_1)
	s_and_b32 s13, s13, exec_lo
                                        ; implicit-def: $vgpr147
	s_or_saveexec_b32 s30, s30
	v_mov_b32_e32 v146, s17
	s_xor_b32 exec_lo, exec_lo, s30
	s_cbranch_execz .LBB2_6510
.LBB2_6624:                             ;   in Loop: Header=BB2_6306 Depth=3
	v_cmp_ne_u16_e64 vcc_lo, 0, v147
	v_mov_b32_e32 v146, 0
	s_and_not1_b32 s13, s13, exec_lo
	s_delay_alu instid0(VALU_DEP_2) | instskip(NEXT) | instid1(SALU_CYCLE_1)
	s_and_b32 s17, vcc_lo, exec_lo
	s_or_b32 s13, s13, s17
	s_or_b32 exec_lo, exec_lo, s30
	s_and_saveexec_b32 s17, s13
	s_cbranch_execnz .LBB2_6511
	s_branch .LBB2_6512
.LBB2_6625:                             ;   in Loop: Header=BB2_6306 Depth=3
	s_mov_b32 s13, -1
	s_mov_b32 s31, exec_lo
                                        ; implicit-def: $sgpr17
	v_cmpx_eq_u16_e64 0x80, v147
; %bb.6626:                             ;   in Loop: Header=BB2_6306 Depth=3
	s_mov_b32 s17, 0x7f800001
	s_xor_b32 s13, exec_lo, -1
; %bb.6627:                             ;   in Loop: Header=BB2_6306 Depth=3
	s_or_b32 exec_lo, exec_lo, s31
	s_delay_alu instid0(SALU_CYCLE_1)
	s_and_b32 s13, s13, exec_lo
                                        ; implicit-def: $vgpr147
	s_or_saveexec_b32 s30, s30
	v_mov_b32_e32 v130, s17
	s_xor_b32 exec_lo, exec_lo, s30
	s_cbranch_execz .LBB2_6514
.LBB2_6628:                             ;   in Loop: Header=BB2_6306 Depth=3
	v_cmp_ne_u16_e64 vcc_lo, 0, v147
	v_mov_b32_e32 v130, 0
	s_and_not1_b32 s13, s13, exec_lo
	s_delay_alu instid0(VALU_DEP_2) | instskip(NEXT) | instid1(SALU_CYCLE_1)
	s_and_b32 s17, vcc_lo, exec_lo
	s_or_b32 s13, s13, s17
	s_or_b32 exec_lo, exec_lo, s30
	s_and_saveexec_b32 s17, s13
	s_cbranch_execnz .LBB2_6515
	s_branch .LBB2_6516
.LBB2_6629:                             ;   in Loop: Header=BB2_6306 Depth=3
	s_mov_b32 s13, -1
	s_mov_b32 s31, exec_lo
                                        ; implicit-def: $sgpr17
	v_cmpx_eq_u16_e64 0x80, v146
; %bb.6630:                             ;   in Loop: Header=BB2_6306 Depth=3
	s_mov_b32 s17, 0x7f800001
	s_xor_b32 s13, exec_lo, -1
; %bb.6631:                             ;   in Loop: Header=BB2_6306 Depth=3
	s_or_b32 exec_lo, exec_lo, s31
	s_delay_alu instid0(SALU_CYCLE_1)
	s_and_b32 s13, s13, exec_lo
                                        ; implicit-def: $vgpr146
	s_or_saveexec_b32 s30, s30
	v_mov_b32_e32 v132, s17
	s_xor_b32 exec_lo, exec_lo, s30
	s_cbranch_execz .LBB2_6526
.LBB2_6632:                             ;   in Loop: Header=BB2_6306 Depth=3
	v_cmp_ne_u16_e64 vcc_lo, 0, v146
	v_mov_b32_e32 v132, 0
	s_and_not1_b32 s13, s13, exec_lo
	s_delay_alu instid0(VALU_DEP_2) | instskip(NEXT) | instid1(SALU_CYCLE_1)
	s_and_b32 s17, vcc_lo, exec_lo
	s_or_b32 s13, s13, s17
	s_or_b32 exec_lo, exec_lo, s30
	s_and_saveexec_b32 s17, s13
	s_cbranch_execnz .LBB2_6527
	s_branch .LBB2_6528
.LBB2_6633:                             ;   in Loop: Header=BB2_6306 Depth=3
	s_mov_b32 s13, -1
	s_mov_b32 s31, exec_lo
                                        ; implicit-def: $sgpr17
	v_cmpx_eq_u16_e64 0x80, v146
; %bb.6634:                             ;   in Loop: Header=BB2_6306 Depth=3
	s_mov_b32 s17, 0x7f800001
	s_xor_b32 s13, exec_lo, -1
; %bb.6635:                             ;   in Loop: Header=BB2_6306 Depth=3
	s_or_b32 exec_lo, exec_lo, s31
	s_delay_alu instid0(SALU_CYCLE_1)
	s_and_b32 s13, s13, exec_lo
                                        ; implicit-def: $vgpr146
	s_or_saveexec_b32 s30, s30
	v_mov_b32_e32 v54, s17
	s_xor_b32 exec_lo, exec_lo, s30
	s_cbranch_execz .LBB2_6530
.LBB2_6636:                             ;   in Loop: Header=BB2_6306 Depth=3
	v_cmp_ne_u16_e64 vcc_lo, 0, v146
	v_mov_b32_e32 v54, 0
	s_and_not1_b32 s13, s13, exec_lo
	s_delay_alu instid0(VALU_DEP_2) | instskip(NEXT) | instid1(SALU_CYCLE_1)
	s_and_b32 s17, vcc_lo, exec_lo
	s_or_b32 s13, s13, s17
	s_or_b32 exec_lo, exec_lo, s30
	s_and_saveexec_b32 s17, s13
	s_cbranch_execnz .LBB2_6531
	s_branch .LBB2_6532
.LBB2_6637:                             ;   in Loop: Header=BB2_3186 Depth=2
	s_or_b32 exec_lo, exec_lo, s16
.LBB2_6638:                             ;   in Loop: Header=BB2_3186 Depth=2
	s_delay_alu instid0(SALU_CYCLE_1) | instskip(SKIP_2) | instid1(VALU_DEP_1)
	s_or_b32 exec_lo, exec_lo, s15
	v_lshlrev_b32_e32 v8, 8, v66
	s_mov_b32 s15, exec_lo
	v_cmpx_ne_u32_e64 v65, v8
	s_cbranch_execz .LBB2_6693
; %bb.6639:                             ;   in Loop: Header=BB2_3186 Depth=2
	v_ashrrev_i32_e32 v9, 31, v133
	v_lshlrev_b32_e32 v2, 5, v2
	s_delay_alu instid0(VALU_DEP_2) | instskip(NEXT) | instid1(VALU_DEP_1)
	v_lshrrev_b32_e32 v9, 27, v9
	v_add_nc_u32_e32 v9, v133, v9
	s_delay_alu instid0(VALU_DEP_1) | instskip(NEXT) | instid1(VALU_DEP_1)
	v_and_b32_e32 v9, 0xffffffe0, v9
	v_sub_nc_u32_e32 v9, v133, v9
	s_delay_alu instid0(VALU_DEP_1) | instskip(NEXT) | instid1(VALU_DEP_1)
	v_sub_nc_u32_e32 v2, v9, v2
	v_add_nc_u32_e32 v8, v8, v2
	s_delay_alu instid0(VALU_DEP_1) | instskip(NEXT) | instid1(VALU_DEP_1)
	v_sub_nc_u32_e32 v2, v65, v8
	v_cmp_lt_i32_e32 vcc_lo, 0, v2
	s_and_b32 exec_lo, exec_lo, vcc_lo
	s_cbranch_execz .LBB2_6693
; %bb.6640:                             ;   in Loop: Header=BB2_3186 Depth=2
	s_cbranch_execnz .LBB2_7849
; %bb.6641:                             ;   in Loop: Header=BB2_3186 Depth=2
	ds_load_b128 v[51:54], v0
	ds_load_b64 v[65:66], v0
	v_add_nc_u32_e32 v64, v8, v64
	s_mov_b32 s16, 0
	s_delay_alu instid0(VALU_DEP_1) | instskip(SKIP_2) | instid1(VALU_DEP_2)
	v_ashrrev_i32_e32 v67, 31, v64
	s_waitcnt lgkmcnt(1)
	v_add_co_u32 v8, vcc_lo, v51, v64
	v_add_co_ci_u32_e32 v9, vcc_lo, v52, v67, vcc_lo
	v_add_co_u32 v10, vcc_lo, v53, v64
	v_add_co_ci_u32_e32 v11, vcc_lo, v54, v67, vcc_lo
	s_waitcnt lgkmcnt(0)
	v_add_co_u32 v51, vcc_lo, v65, v64
	v_add_co_ci_u32_e32 v52, vcc_lo, v66, v67, vcc_lo
.LBB2_6642:                             ;   Parent Loop BB2_51 Depth=1
                                        ;     Parent Loop BB2_3186 Depth=2
                                        ; =>    This Inner Loop Header: Depth=3
	s_cbranch_execnz .LBB2_7851
; %bb.6643:                             ;   in Loop: Header=BB2_6642 Depth=3
	ds_load_b64 v[53:54], v0
	s_waitcnt lgkmcnt(0)
	v_and_b32_e32 v54, 0xff, v53
	v_readfirstlane_b32 s13, v53
	s_delay_alu instid0(VALU_DEP_2)
	v_cmp_gt_i16_e32 vcc_lo, 0x80, v54
	s_cbranch_vccnz .LBB2_6647
; %bb.6644:                             ;   in Loop: Header=BB2_6642 Depth=3
	v_cmp_eq_u16_e32 vcc_lo, 0x80, v54
	s_mov_b32 s17, -1
                                        ; implicit-def: $sgpr30
	s_cbranch_vccz .LBB2_6646
; %bb.6645:                             ;   in Loop: Header=BB2_6642 Depth=3
	s_mov_b32 s17, 0
	s_mov_b32 s30, 0x7f800001
.LBB2_6646:                             ;   in Loop: Header=BB2_6642 Depth=3
	s_mov_b32 vcc_lo, 0
	s_branch .LBB2_6648
.LBB2_6647:                             ;   in Loop: Header=BB2_6642 Depth=3
	s_mov_b32 vcc_lo, -1
	s_mov_b32 s17, 0
                                        ; implicit-def: $sgpr30
.LBB2_6648:                             ;   in Loop: Header=BB2_6642 Depth=3
	s_and_b32 vcc_lo, exec_lo, vcc_lo
	s_cbranch_vccz .LBB2_6650
; %bb.6649:                             ;   in Loop: Header=BB2_6642 Depth=3
	v_cmp_ne_u16_e64 s17, 0, v54
	s_mov_b32 s30, 0
.LBB2_6650:                             ;   in Loop: Header=BB2_6642 Depth=3
	s_delay_alu instid0(SALU_CYCLE_1) | instskip(NEXT) | instid1(VALU_DEP_2)
	v_mov_b32_e32 v54, s30
	s_and_not1_b32 vcc_lo, exec_lo, s17
	s_cbranch_vccnz .LBB2_6652
; %bb.6651:                             ;   in Loop: Header=BB2_6642 Depth=3
	s_and_b32 s17, s13, 3
	s_bfe_u32 s30, s13, 0x50002
	s_clz_i32_u32 vcc_lo, s17
	v_lshlrev_b32_e32 v53, 24, v53
	s_min_u32 vcc_lo, vcc_lo, 32
	s_delay_alu instid0(SALU_CYCLE_1)
	s_sub_i32 s31, vcc_lo, 29
	s_sub_i32 vcc_lo, 30, vcc_lo
	s_lshl_b32 s13, s13, s31
	v_and_b32_e32 v53, 0x80000000, v53
	s_and_b32 s13, s13, 3
	s_cmp_eq_u32 s30, 0
	s_cselect_b32 vcc_lo, vcc_lo, s30
	s_cselect_b32 s13, s13, s17
	s_lshl_b32 s17, vcc_lo, 23
	s_lshl_b32 s13, s13, 21
	s_add_i32 s17, s17, 0x37800000
	s_delay_alu instid0(SALU_CYCLE_1) | instskip(NEXT) | instid1(VALU_DEP_1)
	v_or_b32_e32 v53, s17, v53
	v_or_b32_e32 v54, s13, v53
.LBB2_6652:                             ;   in Loop: Header=BB2_6642 Depth=3
	flat_load_u8 v53, v[8:9] slc dlc
	s_mov_b32 s13, 0
	s_mov_b32 s30, exec_lo
                                        ; implicit-def: $sgpr17
	s_waitcnt vmcnt(0) lgkmcnt(0)
	v_cmpx_lt_i16_e32 0x7f, v53
	s_xor_b32 s30, exec_lo, s30
	s_cbranch_execnz .LBB2_6681
; %bb.6653:                             ;   in Loop: Header=BB2_6642 Depth=3
	s_or_saveexec_b32 s30, s30
	v_mov_b32_e32 v64, s17
	s_xor_b32 exec_lo, exec_lo, s30
	s_cbranch_execnz .LBB2_6684
.LBB2_6654:                             ;   in Loop: Header=BB2_6642 Depth=3
	s_or_b32 exec_lo, exec_lo, s30
	s_and_saveexec_b32 s17, s13
	s_cbranch_execz .LBB2_6656
.LBB2_6655:                             ;   in Loop: Header=BB2_6642 Depth=3
	v_and_b32_e32 v64, 0xffff, v53
	v_lshlrev_b32_e32 v53, 24, v53
	s_delay_alu instid0(VALU_DEP_2) | instskip(NEXT) | instid1(VALU_DEP_2)
	v_and_b32_e32 v65, 3, v64
	v_and_b32_e32 v53, 0x80000000, v53
	s_delay_alu instid0(VALU_DEP_2) | instskip(NEXT) | instid1(VALU_DEP_1)
	v_clz_i32_u32_e32 v66, v65
	v_min_u32_e32 v66, 32, v66
	s_delay_alu instid0(VALU_DEP_1) | instskip(SKIP_1) | instid1(VALU_DEP_2)
	v_subrev_nc_u32_e32 v67, 29, v66
	v_sub_nc_u32_e32 v66, 30, v66
	v_lshlrev_b32_e32 v67, v67, v64
	v_bfe_u32 v64, v64, 2, 5
	s_delay_alu instid0(VALU_DEP_2) | instskip(NEXT) | instid1(VALU_DEP_2)
	v_and_b32_e32 v67, 3, v67
	v_cmp_eq_u32_e32 vcc_lo, 0, v64
	s_delay_alu instid0(VALU_DEP_2) | instskip(NEXT) | instid1(VALU_DEP_1)
	v_dual_cndmask_b32 v64, v64, v66 :: v_dual_cndmask_b32 v65, v65, v67
	v_lshl_add_u32 v64, v64, 23, 0x37800000
	s_delay_alu instid0(VALU_DEP_2) | instskip(NEXT) | instid1(VALU_DEP_1)
	v_lshlrev_b32_e32 v65, 21, v65
	v_or3_b32 v64, v53, v64, v65
.LBB2_6656:                             ;   in Loop: Header=BB2_6642 Depth=3
	s_or_b32 exec_lo, exec_lo, s17
	s_delay_alu instid0(VALU_DEP_1) | instskip(SKIP_1) | instid1(VALU_DEP_1)
	v_dual_mul_f32 v53, v54, v64 :: v_dual_mov_b32 v64, 0x80
	s_mov_b32 s17, exec_lo
	v_and_b32_e32 v54, 0x7f800000, v53
	s_delay_alu instid0(VALU_DEP_1)
	v_cmpx_ne_u32_e32 0x7f800000, v54
	s_cbranch_execz .LBB2_6664
; %bb.6657:                             ;   in Loop: Header=BB2_6642 Depth=3
	v_mov_b32_e32 v64, 0
	s_mov_b32 s30, exec_lo
	v_cmpx_ne_u32_e32 0, v53
	s_cbranch_execz .LBB2_6663
; %bb.6658:                             ;   in Loop: Header=BB2_6642 Depth=3
	v_bfe_u32 v54, v53, 23, 8
	v_and_b32_e32 v64, 0x7fffff, v53
	s_delay_alu instid0(VALU_DEP_2) | instskip(SKIP_1) | instid1(VALU_DEP_3)
	v_sub_nc_u32_e32 v65, 0x70, v54
	v_cmp_gt_u32_e32 vcc_lo, 0x71, v54
	v_or_b32_e32 v66, 0x800000, v64
	s_delay_alu instid0(VALU_DEP_3) | instskip(SKIP_2) | instid1(VALU_DEP_4)
	v_cndmask_b32_e32 v65, 0, v65, vcc_lo
	v_cmp_eq_u32_e32 vcc_lo, 0, v54
	v_add_nc_u32_e32 v54, 0xffffff91, v54
	v_cndmask_b32_e32 v64, v66, v64, vcc_lo
	s_delay_alu instid0(VALU_DEP_4) | instskip(NEXT) | instid1(VALU_DEP_3)
	v_cndmask_b32_e64 v65, v65, 0x6f, vcc_lo
	v_cndmask_b32_e64 v54, v54, 0xffffff92, vcc_lo
	s_delay_alu instid0(VALU_DEP_2) | instskip(SKIP_2) | instid1(VALU_DEP_4)
	v_lshrrev_b32_e32 v67, v65, v64
	v_lshl_add_u32 v66, 0x200000, v65, -1
	v_lshlrev_b32_e64 v131, v65, 0x100000
	v_add_nc_u32_e32 v65, v65, v54
	s_delay_alu instid0(VALU_DEP_4) | instskip(NEXT) | instid1(VALU_DEP_4)
	v_bfe_u32 v130, v67, 21, 1
	v_and_b32_e32 v64, v66, v64
	s_delay_alu instid0(VALU_DEP_2) | instskip(NEXT) | instid1(VALU_DEP_2)
	v_add_nc_u32_e32 v66, -1, v130
	v_cmp_eq_u32_e64 s13, v64, v131
	s_delay_alu instid0(VALU_DEP_1) | instskip(SKIP_2) | instid1(VALU_DEP_2)
	v_cndmask_b32_e64 v64, 0, v66, s13
	v_lshrrev_b32_e32 v66, 23, v67
	s_mov_b32 s13, exec_lo
	v_add_nc_u32_e32 v64, v64, v67
	s_delay_alu instid0(VALU_DEP_2) | instskip(NEXT) | instid1(VALU_DEP_2)
	v_xor_b32_e32 v66, 1, v66
	v_and_b32_e32 v54, 0x1fffff, v64
	s_delay_alu instid0(VALU_DEP_1) | instskip(NEXT) | instid1(VALU_DEP_3)
	v_add_nc_u32_e32 v64, v54, v67
                                        ; implicit-def: $vgpr54
	v_cmpx_ne_u32_e64 v65, v66
	s_xor_b32 s13, exec_lo, s13
; %bb.6659:                             ;   in Loop: Header=BB2_6642 Depth=3
	s_delay_alu instid0(VALU_DEP_2) | instskip(SKIP_2) | instid1(VALU_DEP_2)
	v_cmp_lt_u32_e32 vcc_lo, 0xffffff, v64
	v_sub_nc_u32_e32 v54, v65, v66
	v_cndmask_b32_e64 v65, 0, 1, vcc_lo
	v_add_co_ci_u32_e32 v54, vcc_lo, 0, v54, vcc_lo
	s_delay_alu instid0(VALU_DEP_2)
	v_lshrrev_b32_e32 v64, v65, v64
; %bb.6660:                             ;   in Loop: Header=BB2_6642 Depth=3
	s_and_not1_saveexec_b32 s13, s13
; %bb.6661:                             ;   in Loop: Header=BB2_6642 Depth=3
	s_delay_alu instid0(VALU_DEP_1)
	v_bfe_u32 v54, v64, 23, 1
; %bb.6662:                             ;   in Loop: Header=BB2_6642 Depth=3
	s_or_b32 exec_lo, exec_lo, s13
	v_lshrrev_b32_e32 v64, 21, v64
	s_delay_alu instid0(VALU_DEP_2) | instskip(SKIP_2) | instid1(VALU_DEP_2)
	v_cmp_gt_i32_e32 vcc_lo, 32, v54
	v_lshrrev_b32_e32 v53, 24, v53
	v_min_i32_e32 v65, 31, v54
	v_dual_cndmask_b32 v64, 3, v64 :: v_dual_and_b32 v53, 0x80, v53
	s_delay_alu instid0(VALU_DEP_2) | instskip(NEXT) | instid1(VALU_DEP_2)
	v_lshlrev_b32_e32 v65, 2, v65
	v_and_b32_e32 v66, 3, v64
	v_or_b32_e32 v54, v54, v64
	s_delay_alu instid0(VALU_DEP_2) | instskip(NEXT) | instid1(VALU_DEP_2)
	v_or3_b32 v53, v65, v53, v66
	v_cmp_ne_u32_e32 vcc_lo, 0, v54
	s_delay_alu instid0(VALU_DEP_2)
	v_cndmask_b32_e32 v64, 0, v53, vcc_lo
.LBB2_6663:                             ;   in Loop: Header=BB2_6642 Depth=3
	s_or_b32 exec_lo, exec_lo, s30
.LBB2_6664:                             ;   in Loop: Header=BB2_6642 Depth=3
	s_delay_alu instid0(SALU_CYCLE_1) | instskip(SKIP_4) | instid1(VALU_DEP_1)
	s_or_b32 exec_lo, exec_lo, s17
	flat_load_u8 v53, v[10:11] slc dlc
	v_and_b32_e32 v65, 0xff, v64
	s_mov_b32 s13, 0
	s_mov_b32 s30, exec_lo
                                        ; implicit-def: $sgpr17
	v_cmpx_lt_i16_e32 0x7f, v65
	s_xor_b32 s30, exec_lo, s30
	s_cbranch_execnz .LBB2_6685
; %bb.6665:                             ;   in Loop: Header=BB2_6642 Depth=3
	s_or_saveexec_b32 s30, s30
	v_mov_b32_e32 v54, s17
	s_xor_b32 exec_lo, exec_lo, s30
	s_cbranch_execnz .LBB2_6688
.LBB2_6666:                             ;   in Loop: Header=BB2_6642 Depth=3
	s_or_b32 exec_lo, exec_lo, s30
	s_and_saveexec_b32 s17, s13
	s_cbranch_execz .LBB2_6668
.LBB2_6667:                             ;   in Loop: Header=BB2_6642 Depth=3
	v_lshrrev_b16 v67, 2, v64
	s_delay_alu instid0(VALU_DEP_1) | instskip(NEXT) | instid1(VALU_DEP_1)
	v_and_b32_e32 v67, 31, v67
	v_cmp_eq_u32_e32 vcc_lo, 0, v67
	v_and_b32_e32 v54, 3, v64
	s_delay_alu instid0(VALU_DEP_1) | instskip(NEXT) | instid1(VALU_DEP_1)
	v_clz_i32_u32_e32 v65, v54
	v_min_u32_e32 v65, 32, v65
	s_delay_alu instid0(VALU_DEP_1) | instskip(SKIP_1) | instid1(VALU_DEP_1)
	v_subrev_nc_u32_e32 v66, 29, v65
	v_sub_nc_u32_e32 v65, 30, v65
	v_dual_cndmask_b32 v65, v67, v65 :: v_dual_lshlrev_b32 v66, v66, v64
	v_lshlrev_b32_e32 v64, 24, v64
	s_delay_alu instid0(VALU_DEP_2) | instskip(NEXT) | instid1(VALU_DEP_3)
	v_and_b32_e32 v66, 3, v66
	v_lshl_add_u32 v65, v65, 23, 0x37800000
	s_delay_alu instid0(VALU_DEP_3) | instskip(NEXT) | instid1(VALU_DEP_3)
	v_and_b32_e32 v64, 0x80000000, v64
	v_cndmask_b32_e32 v54, v54, v66, vcc_lo
	s_delay_alu instid0(VALU_DEP_1) | instskip(NEXT) | instid1(VALU_DEP_1)
	v_lshlrev_b32_e32 v54, 21, v54
	v_or3_b32 v54, v64, v65, v54
.LBB2_6668:                             ;   in Loop: Header=BB2_6642 Depth=3
	s_or_b32 exec_lo, exec_lo, s17
	s_waitcnt vmcnt(0) lgkmcnt(0)
	v_and_b32_e32 v65, 0xff, v53
	s_mov_b32 s13, 0
	s_mov_b32 s30, exec_lo
                                        ; implicit-def: $sgpr17
	s_delay_alu instid0(VALU_DEP_1)
	v_cmpx_lt_i16_e32 0x7f, v65
	s_xor_b32 s30, exec_lo, s30
	s_cbranch_execnz .LBB2_6689
; %bb.6669:                             ;   in Loop: Header=BB2_6642 Depth=3
	s_or_saveexec_b32 s30, s30
	v_mov_b32_e32 v64, s17
	s_xor_b32 exec_lo, exec_lo, s30
	s_cbranch_execnz .LBB2_6692
.LBB2_6670:                             ;   in Loop: Header=BB2_6642 Depth=3
	s_or_b32 exec_lo, exec_lo, s30
	s_and_saveexec_b32 s17, s13
	s_cbranch_execz .LBB2_6672
.LBB2_6671:                             ;   in Loop: Header=BB2_6642 Depth=3
	v_and_b32_e32 v64, 3, v53
	v_lshrrev_b16 v67, 2, v53
	s_delay_alu instid0(VALU_DEP_2) | instskip(NEXT) | instid1(VALU_DEP_1)
	v_clz_i32_u32_e32 v65, v64
	v_min_u32_e32 v65, 32, v65
	s_delay_alu instid0(VALU_DEP_1) | instskip(SKIP_1) | instid1(VALU_DEP_2)
	v_subrev_nc_u32_e32 v66, 29, v65
	v_sub_nc_u32_e32 v65, 30, v65
	v_lshlrev_b32_e32 v66, v66, v53
	v_lshlrev_b32_e32 v53, 24, v53
	s_delay_alu instid0(VALU_DEP_2) | instskip(SKIP_1) | instid1(VALU_DEP_3)
	v_and_b32_e32 v66, 3, v66
	v_and_b32_e32 v67, 31, v67
	;; [unrolled: 1-line block ×3, first 2 shown]
	s_delay_alu instid0(VALU_DEP_2) | instskip(NEXT) | instid1(VALU_DEP_4)
	v_cmp_eq_u32_e32 vcc_lo, 0, v67
	v_dual_cndmask_b32 v64, v64, v66 :: v_dual_cndmask_b32 v65, v67, v65
	s_delay_alu instid0(VALU_DEP_1) | instskip(NEXT) | instid1(VALU_DEP_2)
	v_lshlrev_b32_e32 v64, 21, v64
	v_lshl_add_u32 v65, v65, 23, 0x37800000
	s_delay_alu instid0(VALU_DEP_1)
	v_or3_b32 v64, v53, v65, v64
.LBB2_6672:                             ;   in Loop: Header=BB2_6642 Depth=3
	s_or_b32 exec_lo, exec_lo, s17
	s_delay_alu instid0(VALU_DEP_1) | instskip(NEXT) | instid1(VALU_DEP_1)
	v_add_f32_e32 v53, v54, v64
	v_and_b32_e32 v54, 0x7f800000, v53
	s_delay_alu instid0(VALU_DEP_1)
	v_cmp_ne_u32_e32 vcc_lo, 0x7f800000, v54
	v_mov_b32_e32 v54, 0x80
	s_and_saveexec_b32 s17, vcc_lo
	s_cbranch_execz .LBB2_6680
; %bb.6673:                             ;   in Loop: Header=BB2_6642 Depth=3
	v_mov_b32_e32 v54, 0
	s_mov_b32 s30, exec_lo
	v_cmpx_ne_u32_e32 0, v53
	s_cbranch_execz .LBB2_6679
; %bb.6674:                             ;   in Loop: Header=BB2_6642 Depth=3
	v_bfe_u32 v54, v53, 23, 8
	v_and_b32_e32 v64, 0x7fffff, v53
	s_delay_alu instid0(VALU_DEP_2) | instskip(SKIP_1) | instid1(VALU_DEP_3)
	v_sub_nc_u32_e32 v65, 0x70, v54
	v_cmp_gt_u32_e32 vcc_lo, 0x71, v54
	v_or_b32_e32 v66, 0x800000, v64
	s_delay_alu instid0(VALU_DEP_3) | instskip(SKIP_2) | instid1(VALU_DEP_4)
	v_cndmask_b32_e32 v65, 0, v65, vcc_lo
	v_cmp_eq_u32_e32 vcc_lo, 0, v54
	v_add_nc_u32_e32 v54, 0xffffff91, v54
	v_cndmask_b32_e32 v64, v66, v64, vcc_lo
	s_delay_alu instid0(VALU_DEP_4) | instskip(NEXT) | instid1(VALU_DEP_3)
	v_cndmask_b32_e64 v65, v65, 0x6f, vcc_lo
	v_cndmask_b32_e64 v54, v54, 0xffffff92, vcc_lo
	s_delay_alu instid0(VALU_DEP_2) | instskip(SKIP_2) | instid1(VALU_DEP_4)
	v_lshrrev_b32_e32 v67, v65, v64
	v_lshl_add_u32 v66, 0x200000, v65, -1
	v_lshlrev_b32_e64 v131, v65, 0x100000
	v_add_nc_u32_e32 v65, v65, v54
	s_delay_alu instid0(VALU_DEP_4) | instskip(NEXT) | instid1(VALU_DEP_4)
	v_bfe_u32 v130, v67, 21, 1
	v_and_b32_e32 v64, v66, v64
	s_delay_alu instid0(VALU_DEP_2) | instskip(NEXT) | instid1(VALU_DEP_2)
	v_add_nc_u32_e32 v66, -1, v130
	v_cmp_eq_u32_e64 s13, v64, v131
	s_delay_alu instid0(VALU_DEP_1) | instskip(SKIP_2) | instid1(VALU_DEP_2)
	v_cndmask_b32_e64 v64, 0, v66, s13
	v_lshrrev_b32_e32 v66, 23, v67
	s_mov_b32 s13, exec_lo
	v_add_nc_u32_e32 v64, v64, v67
	s_delay_alu instid0(VALU_DEP_2) | instskip(NEXT) | instid1(VALU_DEP_2)
	v_xor_b32_e32 v66, 1, v66
	v_and_b32_e32 v54, 0x1fffff, v64
	s_delay_alu instid0(VALU_DEP_1) | instskip(NEXT) | instid1(VALU_DEP_3)
	v_add_nc_u32_e32 v64, v54, v67
                                        ; implicit-def: $vgpr54
	v_cmpx_ne_u32_e64 v65, v66
	s_xor_b32 s13, exec_lo, s13
; %bb.6675:                             ;   in Loop: Header=BB2_6642 Depth=3
	s_delay_alu instid0(VALU_DEP_2) | instskip(SKIP_2) | instid1(VALU_DEP_2)
	v_cmp_lt_u32_e32 vcc_lo, 0xffffff, v64
	v_sub_nc_u32_e32 v54, v65, v66
	v_cndmask_b32_e64 v65, 0, 1, vcc_lo
	v_add_co_ci_u32_e32 v54, vcc_lo, 0, v54, vcc_lo
	s_delay_alu instid0(VALU_DEP_2)
	v_lshrrev_b32_e32 v64, v65, v64
; %bb.6676:                             ;   in Loop: Header=BB2_6642 Depth=3
	s_and_not1_saveexec_b32 s13, s13
; %bb.6677:                             ;   in Loop: Header=BB2_6642 Depth=3
	s_delay_alu instid0(VALU_DEP_1)
	v_bfe_u32 v54, v64, 23, 1
; %bb.6678:                             ;   in Loop: Header=BB2_6642 Depth=3
	s_or_b32 exec_lo, exec_lo, s13
	v_lshrrev_b32_e32 v64, 21, v64
	s_delay_alu instid0(VALU_DEP_2) | instskip(SKIP_2) | instid1(VALU_DEP_2)
	v_cmp_gt_i32_e32 vcc_lo, 32, v54
	v_lshrrev_b32_e32 v53, 24, v53
	v_min_i32_e32 v65, 31, v54
	v_dual_cndmask_b32 v64, 3, v64 :: v_dual_and_b32 v53, 0x80, v53
	s_delay_alu instid0(VALU_DEP_2) | instskip(NEXT) | instid1(VALU_DEP_2)
	v_lshlrev_b32_e32 v65, 2, v65
	v_and_b32_e32 v66, 3, v64
	v_or_b32_e32 v54, v54, v64
	s_delay_alu instid0(VALU_DEP_2) | instskip(NEXT) | instid1(VALU_DEP_2)
	v_or3_b32 v53, v65, v53, v66
	v_cmp_ne_u32_e32 vcc_lo, 0, v54
	s_delay_alu instid0(VALU_DEP_2)
	v_cndmask_b32_e32 v54, 0, v53, vcc_lo
.LBB2_6679:                             ;   in Loop: Header=BB2_6642 Depth=3
	s_or_b32 exec_lo, exec_lo, s30
.LBB2_6680:                             ;   in Loop: Header=BB2_6642 Depth=3
	s_delay_alu instid0(SALU_CYCLE_1)
	s_or_b32 exec_lo, exec_lo, s17
	v_add_co_u32 v8, vcc_lo, v8, v102
	v_sub_nc_u32_e32 v2, v2, v87
	v_add_co_ci_u32_e32 v9, vcc_lo, v9, v103, vcc_lo
	v_add_co_u32 v10, vcc_lo, v10, v102
	v_add_co_ci_u32_e32 v11, vcc_lo, v11, v103, vcc_lo
	flat_store_b8 v[51:52], v54 glc slc dlc
	v_cmp_gt_i32_e32 vcc_lo, 1, v2
	v_add_co_u32 v51, s13, v51, v102
	s_delay_alu instid0(VALU_DEP_1) | instskip(SKIP_1) | instid1(SALU_CYCLE_1)
	v_add_co_ci_u32_e64 v52, s13, v52, v103, s13
	s_or_b32 s16, vcc_lo, s16
	s_and_not1_b32 exec_lo, exec_lo, s16
	s_cbranch_execnz .LBB2_6642
	s_branch .LBB2_6693
.LBB2_6681:                             ;   in Loop: Header=BB2_6642 Depth=3
	s_mov_b32 s13, -1
	s_mov_b32 s31, exec_lo
                                        ; implicit-def: $sgpr17
	v_cmpx_eq_u16_e32 0x80, v53
; %bb.6682:                             ;   in Loop: Header=BB2_6642 Depth=3
	s_mov_b32 s17, 0x7f800001
	s_xor_b32 s13, exec_lo, -1
; %bb.6683:                             ;   in Loop: Header=BB2_6642 Depth=3
	s_or_b32 exec_lo, exec_lo, s31
	s_delay_alu instid0(SALU_CYCLE_1)
	s_and_b32 s13, s13, exec_lo
	s_or_saveexec_b32 s30, s30
	v_mov_b32_e32 v64, s17
	s_xor_b32 exec_lo, exec_lo, s30
	s_cbranch_execz .LBB2_6654
.LBB2_6684:                             ;   in Loop: Header=BB2_6642 Depth=3
	v_cmp_ne_u16_e32 vcc_lo, 0, v53
	v_mov_b32_e32 v64, 0
	s_and_not1_b32 s13, s13, exec_lo
	s_and_b32 s17, vcc_lo, exec_lo
	s_delay_alu instid0(SALU_CYCLE_1)
	s_or_b32 s13, s13, s17
	s_or_b32 exec_lo, exec_lo, s30
	s_and_saveexec_b32 s17, s13
	s_cbranch_execnz .LBB2_6655
	s_branch .LBB2_6656
.LBB2_6685:                             ;   in Loop: Header=BB2_6642 Depth=3
	s_mov_b32 s13, -1
	s_mov_b32 s31, exec_lo
                                        ; implicit-def: $sgpr17
	v_cmpx_eq_u16_e32 0x80, v65
; %bb.6686:                             ;   in Loop: Header=BB2_6642 Depth=3
	s_mov_b32 s17, 0x7f800001
	s_xor_b32 s13, exec_lo, -1
; %bb.6687:                             ;   in Loop: Header=BB2_6642 Depth=3
	s_or_b32 exec_lo, exec_lo, s31
	s_delay_alu instid0(SALU_CYCLE_1)
	s_and_b32 s13, s13, exec_lo
                                        ; implicit-def: $vgpr65
	s_or_saveexec_b32 s30, s30
	v_mov_b32_e32 v54, s17
	s_xor_b32 exec_lo, exec_lo, s30
	s_cbranch_execz .LBB2_6666
.LBB2_6688:                             ;   in Loop: Header=BB2_6642 Depth=3
	v_cmp_ne_u16_e32 vcc_lo, 0, v65
	v_mov_b32_e32 v54, 0
	s_and_not1_b32 s13, s13, exec_lo
	s_and_b32 s17, vcc_lo, exec_lo
	s_delay_alu instid0(SALU_CYCLE_1)
	s_or_b32 s13, s13, s17
	s_or_b32 exec_lo, exec_lo, s30
	s_and_saveexec_b32 s17, s13
	s_cbranch_execnz .LBB2_6667
	s_branch .LBB2_6668
.LBB2_6689:                             ;   in Loop: Header=BB2_6642 Depth=3
	s_mov_b32 s13, -1
	s_mov_b32 s31, exec_lo
                                        ; implicit-def: $sgpr17
	v_cmpx_eq_u16_e32 0x80, v65
; %bb.6690:                             ;   in Loop: Header=BB2_6642 Depth=3
	s_mov_b32 s17, 0x7f800001
	s_xor_b32 s13, exec_lo, -1
; %bb.6691:                             ;   in Loop: Header=BB2_6642 Depth=3
	s_or_b32 exec_lo, exec_lo, s31
	s_delay_alu instid0(SALU_CYCLE_1)
	s_and_b32 s13, s13, exec_lo
                                        ; implicit-def: $vgpr65
	s_or_saveexec_b32 s30, s30
	v_mov_b32_e32 v64, s17
	s_xor_b32 exec_lo, exec_lo, s30
	s_cbranch_execz .LBB2_6670
.LBB2_6692:                             ;   in Loop: Header=BB2_6642 Depth=3
	v_cmp_ne_u16_e32 vcc_lo, 0, v65
	v_mov_b32_e32 v64, 0
	s_and_not1_b32 s13, s13, exec_lo
	s_and_b32 s17, vcc_lo, exec_lo
	s_delay_alu instid0(SALU_CYCLE_1)
	s_or_b32 s13, s13, s17
	s_or_b32 exec_lo, exec_lo, s30
	s_and_saveexec_b32 s17, s13
	s_cbranch_execnz .LBB2_6671
	s_branch .LBB2_6672
.LBB2_6693:                             ;   in Loop: Header=BB2_3186 Depth=2
	s_or_b32 exec_lo, exec_lo, s15
.LBB2_6694:                             ;   in Loop: Header=BB2_3186 Depth=2
	s_delay_alu instid0(SALU_CYCLE_1)
	s_or_b32 exec_lo, exec_lo, s14
.LBB2_6695:                             ;   in Loop: Header=BB2_3186 Depth=2
	s_and_saveexec_b32 s13, s3
	s_cbranch_execz .LBB2_6717
; %bb.6696:                             ;   in Loop: Header=BB2_3186 Depth=2
	s_and_saveexec_b32 s14, s4
	s_delay_alu instid0(SALU_CYCLE_1)
	s_xor_b32 s14, exec_lo, s14
	s_cbranch_execz .LBB2_6714
; %bb.6697:                             ;   in Loop: Header=BB2_3186 Depth=2
	s_and_saveexec_b32 s15, s1
	s_cbranch_execz .LBB2_6713
; %bb.6698:                             ;   in Loop: Header=BB2_3186 Depth=2
	s_mov_b32 s17, exec_lo
	s_mov_b32 s16, exec_lo
	v_mbcnt_lo_u32_b32 v2, s17, 0
	s_waitcnt lgkmcnt(0)
	s_waitcnt_vscnt null, 0x0
	buffer_gl1_inv
	buffer_gl0_inv
	v_cmpx_eq_u32_e32 0, v2
	s_cbranch_execz .LBB2_6700
; %bb.6699:                             ;   in Loop: Header=BB2_3186 Depth=2
	s_bcnt1_i32_b32 s17, s17
	s_delay_alu instid0(SALU_CYCLE_1)
	v_mov_b32_e32 v2, s17
	ds_add_u64 v0, v[2:3]
	s_cbranch_execnz .LBB2_7729
.LBB2_6700:                             ;   in Loop: Header=BB2_3186 Depth=2
	s_or_b32 exec_lo, exec_lo, s16
	s_cbranch_execnz .LBB2_7703
; %bb.6701:                             ;   in Loop: Header=BB2_3186 Depth=2
	ds_load_b64 v[8:9], v0
	v_add_co_u32 v12, vcc_lo, v12, v71
	v_add_co_ci_u32_e32 v13, vcc_lo, 0, v13, vcc_lo
	s_mov_b32 s16, exec_lo
	s_waitcnt lgkmcnt(0)
	s_delay_alu instid0(VALU_DEP_1)
	v_cmpx_lt_u64_e64 v[8:9], v[12:13]
	s_cbranch_execz .LBB2_6712
; %bb.6702:                             ;   in Loop: Header=BB2_3186 Depth=2
	s_mov_b32 s17, 0
	s_mov_b32 s34, 0
                                        ; implicit-def: $sgpr30
                                        ; implicit-def: $sgpr31
	s_branch .LBB2_6704
.LBB2_6703:                             ;   in Loop: Header=BB2_6704 Depth=3
	s_or_b32 exec_lo, exec_lo, s36
	s_delay_alu instid0(SALU_CYCLE_1) | instskip(NEXT) | instid1(SALU_CYCLE_1)
	s_and_b32 vcc_lo, exec_lo, vcc_lo
	s_or_b32 s17, vcc_lo, s17
	s_and_not1_b32 vcc_lo, s30, exec_lo
	s_and_b32 s30, s31, exec_lo
	s_delay_alu instid0(SALU_CYCLE_1)
	s_or_b32 s30, vcc_lo, s30
	s_and_not1_b32 exec_lo, exec_lo, s17
	s_cbranch_execz .LBB2_6710
.LBB2_6704:                             ;   Parent Loop BB2_51 Depth=1
                                        ;     Parent Loop BB2_3186 Depth=2
                                        ; =>    This Inner Loop Header: Depth=3
	s_add_i32 s34, s34, 1
                                        ; implicit-def: $sgpr36
	s_delay_alu instid0(SALU_CYCLE_1) | instskip(SKIP_1) | instid1(SALU_CYCLE_1)
	s_cmpk_lg_i32 s34, 0x2710
	s_cselect_b32 s35, -1, 0
	s_and_b32 vcc_lo, exec_lo, s35
	s_cbranch_vccz .LBB2_6708
.LBB2_6705:                             ;   in Loop: Header=BB2_6704 Depth=3
	s_and_not1_b32 s31, s31, exec_lo
	s_and_b32 s36, s36, exec_lo
	s_mov_b32 vcc_lo, -1
	s_or_b32 s31, s31, s36
	s_and_saveexec_b32 s36, s35
	s_cbranch_execz .LBB2_6703
; %bb.6706:                             ;   in Loop: Header=BB2_6704 Depth=3
	s_sleep 1
	s_cbranch_execnz .LBB2_7795
; %bb.6707:                             ;   in Loop: Header=BB2_6704 Depth=3
	ds_load_b64 v[8:9], v0
	s_and_not1_b32 s31, s31, exec_lo
	s_waitcnt lgkmcnt(0)
	v_cmp_ge_u64_e32 vcc_lo, v[8:9], v[12:13]
	s_or_not1_b32 vcc_lo, vcc_lo, exec_lo
	s_branch .LBB2_6703
.LBB2_6708:                             ;   in Loop: Header=BB2_6704 Depth=3
	s_cbranch_execnz .LBB2_7809
; %bb.6709:                             ;   in Loop: Header=BB2_6704 Depth=3
	ds_load_b64 v[8:9], v0
	s_and_not1_b32 s35, s35, exec_lo
	s_mov_b32 s34, 0
	s_mov_b32 s36, -1
	s_waitcnt lgkmcnt(0)
	flat_load_b32 v2, v[8:9] glc
	s_waitcnt vmcnt(0) lgkmcnt(0)
	buffer_gl1_inv
	buffer_gl0_inv
	v_cmp_eq_u32_e32 vcc_lo, 0, v2
	s_and_b32 vcc_lo, vcc_lo, exec_lo
	s_delay_alu instid0(SALU_CYCLE_1)
	s_or_b32 s35, s35, vcc_lo
	s_branch .LBB2_6705
.LBB2_6710:                             ;   in Loop: Header=BB2_3186 Depth=2
	s_or_b32 exec_lo, exec_lo, s17
	s_and_saveexec_b32 s17, s30
	s_delay_alu instid0(SALU_CYCLE_1)
	s_xor_b32 s17, exec_lo, s17
	s_cbranch_execz .LBB2_6712
; %bb.6711:                             ;   in Loop: Header=BB2_3186 Depth=2
	ds_store_b32 v0, v115
	s_cbranch_execnz .LBB2_7917
.LBB2_6712:                             ;   in Loop: Header=BB2_3186 Depth=2
	s_or_b32 exec_lo, exec_lo, s16
	;;#ASMSTART
	s_wakeup
	;;#ASMEND
.LBB2_6713:                             ;   in Loop: Header=BB2_3186 Depth=2
	s_or_b32 exec_lo, exec_lo, s15
.LBB2_6714:                             ;   in Loop: Header=BB2_3186 Depth=2
	s_and_not1_saveexec_b32 s14, s14
	s_cbranch_execz .LBB2_6716
; %bb.6715:                             ;   in Loop: Header=BB2_3186 Depth=2
	s_waitcnt lgkmcnt(0)
	s_waitcnt_vscnt null, 0x0
	buffer_gl1_inv
	buffer_gl0_inv
	s_barrier
.LBB2_6716:                             ;   in Loop: Header=BB2_3186 Depth=2
	s_or_b32 exec_lo, exec_lo, s14
.LBB2_6717:                             ;   in Loop: Header=BB2_3186 Depth=2
	s_delay_alu instid0(SALU_CYCLE_1) | instskip(SKIP_1) | instid1(SALU_CYCLE_1)
	s_or_b32 exec_lo, exec_lo, s13
                                        ; implicit-def: $vgpr2
	s_and_saveexec_b32 s13, s7
	s_xor_b32 s14, exec_lo, s13
	s_cbranch_execz .LBB2_6721
; %bb.6718:                             ;   in Loop: Header=BB2_3186 Depth=2
	v_and_b32_e32 v2, 16, v30
	v_cmp_lt_i32_e32 vcc_lo, 0, v129
	s_delay_alu instid0(VALU_DEP_2) | instskip(SKIP_1) | instid1(VALU_DEP_2)
	v_cmp_ne_u32_e64 s13, 0, v2
	v_and_b32_e32 v2, 16, v30
	s_and_b32 s15, s13, vcc_lo
	s_delay_alu instid0(SALU_CYCLE_1)
	s_and_saveexec_b32 s13, s15
	s_cbranch_execz .LBB2_6720
; %bb.6719:                             ;   in Loop: Header=BB2_3186 Depth=2
	v_mov_b32_e32 v2, 1
	s_waitcnt lgkmcnt(0)
	s_waitcnt_vscnt null, 0x0
	buffer_gl1_inv
	buffer_gl0_inv
.LBB2_6720:                             ;   in Loop: Header=BB2_3186 Depth=2
	s_or_b32 exec_lo, exec_lo, s13
.LBB2_6721:                             ;   in Loop: Header=BB2_3186 Depth=2
	s_and_not1_saveexec_b32 s13, s14
	s_cbranch_execz .LBB2_6743
; %bb.6722:                             ;   in Loop: Header=BB2_3186 Depth=2
	s_and_saveexec_b32 s14, s4
	s_delay_alu instid0(SALU_CYCLE_1)
	s_xor_b32 s14, exec_lo, s14
	s_cbranch_execz .LBB2_6740
; %bb.6723:                             ;   in Loop: Header=BB2_3186 Depth=2
	s_and_saveexec_b32 s15, s1
	s_cbranch_execz .LBB2_6739
; %bb.6724:                             ;   in Loop: Header=BB2_3186 Depth=2
	s_mov_b32 s17, exec_lo
	s_mov_b32 s16, exec_lo
	v_mbcnt_lo_u32_b32 v2, s17, 0
	;;#ASMSTART
	s_waitcnt lgkmcnt(0) vmcnt(0)
	;;#ASMEND
	s_delay_alu instid0(VALU_DEP_1)
	v_cmpx_eq_u32_e32 0, v2
	s_cbranch_execz .LBB2_6726
; %bb.6725:                             ;   in Loop: Header=BB2_3186 Depth=2
	s_bcnt1_i32_b32 s17, s17
	s_delay_alu instid0(SALU_CYCLE_1)
	v_mov_b32_e32 v2, s17
	ds_add_u64 v0, v[2:3]
	s_cbranch_execnz .LBB2_7735
.LBB2_6726:                             ;   in Loop: Header=BB2_3186 Depth=2
	s_or_b32 exec_lo, exec_lo, s16
	s_cbranch_execnz .LBB2_7713
; %bb.6727:                             ;   in Loop: Header=BB2_3186 Depth=2
	ds_load_b64 v[8:9], v0
	v_add_co_u32 v12, vcc_lo, v12, v71
	v_add_co_ci_u32_e32 v13, vcc_lo, 0, v13, vcc_lo
	s_mov_b32 s16, exec_lo
	s_waitcnt lgkmcnt(0)
	s_delay_alu instid0(VALU_DEP_1)
	v_cmpx_lt_u64_e64 v[8:9], v[12:13]
	s_cbranch_execz .LBB2_6738
; %bb.6728:                             ;   in Loop: Header=BB2_3186 Depth=2
	s_mov_b32 s17, 0
	s_mov_b32 s34, 0
                                        ; implicit-def: $sgpr30
                                        ; implicit-def: $sgpr31
	s_branch .LBB2_6730
.LBB2_6729:                             ;   in Loop: Header=BB2_6730 Depth=3
	s_or_b32 exec_lo, exec_lo, s36
	s_delay_alu instid0(SALU_CYCLE_1) | instskip(NEXT) | instid1(SALU_CYCLE_1)
	s_and_b32 vcc_lo, exec_lo, vcc_lo
	s_or_b32 s17, vcc_lo, s17
	s_and_not1_b32 vcc_lo, s30, exec_lo
	s_and_b32 s30, s31, exec_lo
	s_delay_alu instid0(SALU_CYCLE_1)
	s_or_b32 s30, vcc_lo, s30
	s_and_not1_b32 exec_lo, exec_lo, s17
	s_cbranch_execz .LBB2_6736
.LBB2_6730:                             ;   Parent Loop BB2_51 Depth=1
                                        ;     Parent Loop BB2_3186 Depth=2
                                        ; =>    This Inner Loop Header: Depth=3
	s_add_i32 s34, s34, 1
                                        ; implicit-def: $sgpr36
	s_delay_alu instid0(SALU_CYCLE_1) | instskip(SKIP_1) | instid1(SALU_CYCLE_1)
	s_cmpk_lg_i32 s34, 0x2710
	s_cselect_b32 s35, -1, 0
	s_and_b32 vcc_lo, exec_lo, s35
	s_cbranch_vccz .LBB2_6734
.LBB2_6731:                             ;   in Loop: Header=BB2_6730 Depth=3
	s_and_not1_b32 s31, s31, exec_lo
	s_and_b32 s36, s36, exec_lo
	s_mov_b32 vcc_lo, -1
	s_or_b32 s31, s31, s36
	s_and_saveexec_b32 s36, s35
	s_cbranch_execz .LBB2_6729
; %bb.6732:                             ;   in Loop: Header=BB2_6730 Depth=3
	s_sleep 1
	s_cbranch_execnz .LBB2_7797
; %bb.6733:                             ;   in Loop: Header=BB2_6730 Depth=3
	ds_load_b64 v[8:9], v0
	s_and_not1_b32 s31, s31, exec_lo
	s_waitcnt lgkmcnt(0)
	v_cmp_ge_u64_e32 vcc_lo, v[8:9], v[12:13]
	s_or_not1_b32 vcc_lo, vcc_lo, exec_lo
	s_branch .LBB2_6729
.LBB2_6734:                             ;   in Loop: Header=BB2_6730 Depth=3
	s_cbranch_execnz .LBB2_7811
; %bb.6735:                             ;   in Loop: Header=BB2_6730 Depth=3
	ds_load_b64 v[8:9], v0
	s_and_not1_b32 s35, s35, exec_lo
	s_mov_b32 s34, 0
	s_mov_b32 s36, -1
	s_waitcnt lgkmcnt(0)
	s_waitcnt_vscnt null, 0x0
	flat_load_b32 v2, v[8:9] glc
	s_waitcnt vmcnt(0) lgkmcnt(0)
	buffer_gl1_inv
	buffer_gl0_inv
	v_cmp_eq_u32_e32 vcc_lo, 0, v2
	s_and_b32 vcc_lo, vcc_lo, exec_lo
	s_delay_alu instid0(SALU_CYCLE_1)
	s_or_b32 s35, s35, vcc_lo
	s_branch .LBB2_6731
.LBB2_6736:                             ;   in Loop: Header=BB2_3186 Depth=2
	s_or_b32 exec_lo, exec_lo, s17
	s_and_saveexec_b32 s17, s30
	s_delay_alu instid0(SALU_CYCLE_1)
	s_xor_b32 s17, exec_lo, s17
	s_cbranch_execz .LBB2_6738
; %bb.6737:                             ;   in Loop: Header=BB2_3186 Depth=2
	ds_store_b32 v0, v115
	s_cbranch_execnz .LBB2_7919
.LBB2_6738:                             ;   in Loop: Header=BB2_3186 Depth=2
	s_or_b32 exec_lo, exec_lo, s16
	;;#ASMSTART
	s_wakeup
	;;#ASMEND
.LBB2_6739:                             ;   in Loop: Header=BB2_3186 Depth=2
	s_or_b32 exec_lo, exec_lo, s15
.LBB2_6740:                             ;   in Loop: Header=BB2_3186 Depth=2
	s_and_not1_saveexec_b32 s14, s14
	s_cbranch_execz .LBB2_6742
; %bb.6741:                             ;   in Loop: Header=BB2_3186 Depth=2
	;;#ASMSTART
	s_waitcnt lgkmcnt(0) vmcnt(0)
	;;#ASMEND
	s_waitcnt lgkmcnt(0)
	s_waitcnt_vscnt null, 0x0
	s_barrier
.LBB2_6742:                             ;   in Loop: Header=BB2_3186 Depth=2
	s_or_b32 exec_lo, exec_lo, s14
	v_and_b32_e32 v2, 16, v30
.LBB2_6743:                             ;   in Loop: Header=BB2_3186 Depth=2
	s_or_b32 exec_lo, exec_lo, s13
	s_delay_alu instid0(VALU_DEP_1) | instskip(SKIP_1) | instid1(SALU_CYCLE_1)
	v_cmp_ne_u32_e32 vcc_lo, 0, v2
	s_xor_b32 s13, s10, -1
	s_and_b32 s14, vcc_lo, s13
	s_delay_alu instid0(SALU_CYCLE_1)
	s_and_saveexec_b32 s13, s14
	s_cbranch_execz .LBB2_6745
; %bb.6744:                             ;   in Loop: Header=BB2_3186 Depth=2
	s_waitcnt lgkmcnt(0)
	s_waitcnt_vscnt null, 0x0
	flat_store_b32 v[26:27], v115
.LBB2_6745:                             ;   in Loop: Header=BB2_3186 Depth=2
	s_or_b32 exec_lo, exec_lo, s13
	v_and_b32_e32 v2, 48, v30
	s_mov_b32 s13, exec_lo
	s_delay_alu instid0(VALU_DEP_1)
	v_cmpx_ne_u32_e32 0, v2
	s_cbranch_execz .LBB2_6747
; %bb.6746:                             ;   in Loop: Header=BB2_3186 Depth=2
	v_add_co_u32 v22, vcc_lo, v22, 2
	v_add_co_ci_u32_e32 v23, vcc_lo, 0, v23, vcc_lo
	s_waitcnt lgkmcnt(0)
	s_waitcnt_vscnt null, 0x0
	flat_store_b64 v[20:21], v[22:23]
.LBB2_6747:                             ;   in Loop: Header=BB2_3186 Depth=2
	s_or_b32 exec_lo, exec_lo, s13
	v_add_nc_u32_e32 v118, v50, v118
	v_readlane_b32 s13, v46, 7
	v_readlane_b32 s37, v46, 9
	;; [unrolled: 1-line block ×4, first 2 shown]
	v_cmp_ge_i32_e32 vcc_lo, v118, v55
	s_xor_b32 s13, s13, -1
	v_readlane_b32 s30, v46, 2
	v_readlane_b32 s31, v46, 1
	s_mov_b32 s16, 0
	s_or_b32 s13, s13, vcc_lo
	s_mov_b32 s17, 2
	s_and_b32 s14, exec_lo, s13
	v_readlane_b32 s13, v46, 8
	s_or_b32 s37, s14, s37
	v_readlane_b32 s14, v46, 3
	s_delay_alu instid0(VALU_DEP_2)
	v_mov_b32_e32 v2, s13
	s_and_not1_b32 exec_lo, exec_lo, s37
	s_cbranch_execz .LBB2_6748
; %bb.8195:                             ;   in Loop: Header=BB2_3186 Depth=2
	s_getpc_b64 s[48:49]
.Lpost_getpc130:
	s_add_u32 s48, s48, (.LBB2_3186-.Lpost_getpc130)&4294967295
	s_addc_u32 s49, s49, (.LBB2_3186-.Lpost_getpc130)>>32
	s_setpc_b64 s[48:49]
.LBB2_6748:                             ;   in Loop: Header=BB2_51 Depth=1
	s_or_b32 exec_lo, exec_lo, s37
	v_readlane_b32 s13, v46, 6
.LBB2_6749:                             ;   in Loop: Header=BB2_51 Depth=1
	s_delay_alu instid0(VALU_DEP_1) | instskip(NEXT) | instid1(SALU_CYCLE_1)
	s_or_b32 exec_lo, exec_lo, s13
	s_mov_b32 s15, exec_lo
	v_cmpx_gt_i32_e32 2, v2
	s_cbranch_execz .LBB2_6835
; %bb.6750:                             ;   in Loop: Header=BB2_51 Depth=1
	v_cmp_eq_u32_e64 s13, 0, v2
	s_mov_b32 s16, 0
.LBB2_6751:                             ;   Parent Loop BB2_51 Depth=1
                                        ; =>  This Loop Header: Depth=2
                                        ;       Child Loop BB2_6757 Depth 3
                                        ;       Child Loop BB2_6789 Depth 3
	;; [unrolled: 1-line block ×3, first 2 shown]
	v_and_b32_e32 v2, 12, v30
	s_mov_b32 s36, -1
	s_mov_b32 s17, exec_lo
	s_delay_alu instid0(VALU_DEP_1)
	v_cmpx_ne_u32_e32 0, v2
	s_cbranch_execz .LBB2_6765
; %bb.6752:                             ;   in Loop: Header=BB2_6751 Depth=2
	v_and_b32_e32 v2, 8, v30
	s_delay_alu instid0(VALU_DEP_1) | instskip(SKIP_3) | instid1(VALU_DEP_1)
	v_add_co_u32 v10, vcc_lo, v28, v2
	v_add_co_ci_u32_e32 v11, vcc_lo, 0, v29, vcc_lo
	v_add_co_u32 v8, vcc_lo, v22, 2
	v_add_co_ci_u32_e32 v9, vcc_lo, 0, v23, vcc_lo
	v_cmp_lt_u64_e32 vcc_lo, v[10:11], v[8:9]
	v_mov_b32_e32 v10, 1
	s_and_saveexec_b32 s36, vcc_lo
	s_cbranch_execz .LBB2_6764
; %bb.6753:                             ;   in Loop: Header=BB2_6751 Depth=2
	v_mov_b32_e32 v10, 0
	s_mov_b32 s37, 0
                                        ; implicit-def: $sgpr38
	s_branch .LBB2_6757
.LBB2_6754:                             ;   in Loop: Header=BB2_6757 Depth=3
	s_or_b32 exec_lo, exec_lo, s42
	v_mov_b32_e32 v11, 0
	s_or_not1_b32 s41, s41, exec_lo
.LBB2_6755:                             ;   in Loop: Header=BB2_6757 Depth=3
	s_or_b32 exec_lo, exec_lo, s40
	s_delay_alu instid0(VALU_DEP_1) | instskip(SKIP_2) | instid1(SALU_CYCLE_1)
	v_mov_b32_e32 v10, v11
	s_and_not1_b32 vcc_lo, s38, exec_lo
	s_and_b32 s38, s41, exec_lo
	s_or_b32 s38, vcc_lo, s38
.LBB2_6756:                             ;   in Loop: Header=BB2_6757 Depth=3
	s_or_b32 exec_lo, exec_lo, s39
	s_waitcnt vmcnt(0) lgkmcnt(0)
	v_add_co_u32 v51, vcc_lo, v28, v2
	v_add_co_ci_u32_e32 v52, vcc_lo, 0, v29, vcc_lo
	s_xor_b32 s39, s38, -1
	s_delay_alu instid0(VALU_DEP_1) | instskip(SKIP_1) | instid1(SALU_CYCLE_1)
	v_cmp_ge_u64_e32 vcc_lo, v[51:52], v[8:9]
	s_or_b32 vcc_lo, s39, vcc_lo
	s_and_b32 vcc_lo, exec_lo, vcc_lo
	s_delay_alu instid0(SALU_CYCLE_1) | instskip(NEXT) | instid1(SALU_CYCLE_1)
	s_or_b32 s37, vcc_lo, s37
	s_and_not1_b32 exec_lo, exec_lo, s37
	s_cbranch_execz .LBB2_6763
.LBB2_6757:                             ;   Parent Loop BB2_51 Depth=1
                                        ;     Parent Loop BB2_6751 Depth=2
                                        ; =>    This Inner Loop Header: Depth=3
	s_sleep 1
	flat_load_b64 v[28:29], v[20:21] glc
	v_and_b32_e32 v11, 64, v30
	s_and_not1_b32 s38, s38, exec_lo
	s_mov_b32 s39, exec_lo
	s_delay_alu instid0(VALU_DEP_1)
	v_cmpx_eq_u32_e32 0, v11
	s_cbranch_execz .LBB2_6756
; %bb.6758:                             ;   in Loop: Header=BB2_6757 Depth=3
	v_add_nc_u32_e32 v11, 1, v10
	s_mov_b32 s41, -1
	s_mov_b32 s40, exec_lo
	v_cmpx_lt_i32_e32 0x270e, v10
	s_cbranch_execz .LBB2_6755
; %bb.6759:                             ;   in Loop: Header=BB2_6757 Depth=3
	s_cbranch_execnz .LBB2_7499
; %bb.6760:                             ;   in Loop: Header=BB2_6757 Depth=3
	ds_load_b64 v[10:11], v0
	s_mov_b32 s42, exec_lo
	s_waitcnt vmcnt(0) lgkmcnt(0)
	s_waitcnt_vscnt null, 0x0
	flat_load_b32 v10, v[10:11] glc
	s_waitcnt vmcnt(0) lgkmcnt(0)
	buffer_gl1_inv
	buffer_gl0_inv
	v_cmpx_ne_u32_e32 0, v10
	s_cbranch_execz .LBB2_6754
; %bb.6761:                             ;   in Loop: Header=BB2_6757 Depth=3
	ds_store_b32 v0, v10
	s_cbranch_execnz .LBB2_7555
; %bb.6762:                             ;   in Loop: Header=BB2_6757 Depth=3
	v_or_b32_e32 v30, 64, v30
	s_xor_b32 s41, exec_lo, -1
	s_branch .LBB2_6754
.LBB2_6763:                             ;   in Loop: Header=BB2_6751 Depth=2
	s_or_b32 exec_lo, exec_lo, s37
	v_and_b32_e32 v10, 12, v30
.LBB2_6764:                             ;   in Loop: Header=BB2_6751 Depth=2
	s_or_b32 exec_lo, exec_lo, s36
	s_delay_alu instid0(VALU_DEP_1)
	v_cmp_eq_u32_e32 vcc_lo, 0, v10
	;;#ASMSTART
	s_wakeup
	;;#ASMEND
	s_or_not1_b32 s36, vcc_lo, exec_lo
.LBB2_6765:                             ;   in Loop: Header=BB2_6751 Depth=2
	s_or_b32 exec_lo, exec_lo, s17
	v_sub_nc_u32_e32 v2, v55, v118
	s_xor_b32 s13, s13, -1
	s_delay_alu instid0(SALU_CYCLE_1) | instskip(NEXT) | instid1(SALU_CYCLE_1)
	s_and_b32 s13, exec_lo, s13
	s_or_b32 s16, s13, s16
	s_delay_alu instid0(VALU_DEP_1) | instskip(SKIP_1) | instid1(SALU_CYCLE_1)
	v_min_i32_e32 v50, v50, v2
	s_xor_b32 s13, s36, -1
	s_and_saveexec_b32 s17, s13
	s_cbranch_execz .LBB2_6780
; %bb.6766:                             ;   in Loop: Header=BB2_6751 Depth=2
	v_and_b32_e32 v2, 0x108, v30
	s_mov_b32 s13, exec_lo
	s_delay_alu instid0(VALU_DEP_1)
	v_cmpx_ne_u32_e32 0x108, v2
	s_xor_b32 s13, exec_lo, s13
                                        ; implicit-def: $vgpr8_vgpr9
; %bb.6767:                             ;   in Loop: Header=BB2_6751 Depth=2
	v_and_b32_e32 v8, 7, v22
; %bb.6768:                             ;   in Loop: Header=BB2_6751 Depth=2
	s_and_not1_saveexec_b32 s13, s13
	s_cbranch_execz .LBB2_6770
; %bb.6769:                             ;   in Loop: Header=BB2_6751 Depth=2
	v_and_b32_e32 v8, 7, v22
	v_ashrrev_i32_e32 v51, 31, v50
	s_delay_alu instid0(VALU_DEP_2)
	v_mad_u64_u32 v[9:10], null, v8, 24, v[6:7]
	flat_store_b64 v[9:10], v[50:51] offset:8
.LBB2_6770:                             ;   in Loop: Header=BB2_6751 Depth=2
	s_or_b32 exec_lo, exec_lo, s13
	v_and_b32_e32 v2, 0x100, v30
	s_mov_b32 s13, -1
	s_mov_b32 s36, exec_lo
                                        ; implicit-def: $vgpr9_vgpr10
	s_delay_alu instid0(VALU_DEP_1)
	v_cmpx_ne_u32_e32 0, v2
	s_cbranch_execnz .LBB2_6773
; %bb.6771:                             ;   in Loop: Header=BB2_6751 Depth=2
	s_or_b32 exec_lo, exec_lo, s36
	s_and_saveexec_b32 vcc_lo, s13
	s_cbranch_execnz .LBB2_6776
.LBB2_6772:                             ;   in Loop: Header=BB2_6751 Depth=2
	s_or_b32 exec_lo, exec_lo, vcc_lo
	s_cbranch_execnz .LBB2_7495
	s_branch .LBB2_6777
.LBB2_6773:                             ;   in Loop: Header=BB2_6751 Depth=2
	v_mad_u64_u32 v[51:52], null, v8, 24, v[6:7]
	s_mov_b32 s37, exec_lo
	s_delay_alu instid0(VALU_DEP_1) | instskip(NEXT) | instid1(VALU_DEP_1)
	v_mov_b32_e32 v2, v52
	v_mad_u64_u32 v[9:10], null, v3, 24, v[2:3]
	s_delay_alu instid0(VALU_DEP_1)
	v_mov_b32_e32 v52, v9
                                        ; implicit-def: $vgpr9_vgpr10
	flat_load_b32 v2, v[51:52]
	s_waitcnt vmcnt(0) lgkmcnt(0)
	v_cmp_ne_u32_e32 vcc_lo, 1, v2
	v_cmpx_eq_u32_e32 1, v2
	s_cbranch_execz .LBB2_6775
; %bb.6774:                             ;   in Loop: Header=BB2_6751 Depth=2
	flat_load_b32 v9, v[51:52] offset:4 glc
	s_waitcnt vmcnt(0) lgkmcnt(0)
	v_ashrrev_i32_e32 v10, 31, v9
.LBB2_6775:                             ;   in Loop: Header=BB2_6751 Depth=2
	s_or_b32 exec_lo, exec_lo, s37
	s_delay_alu instid0(SALU_CYCLE_1)
	s_or_not1_b32 s13, vcc_lo, exec_lo
	s_or_b32 exec_lo, exec_lo, s36
	s_and_saveexec_b32 vcc_lo, s13
	s_cbranch_execz .LBB2_6772
.LBB2_6776:                             ;   in Loop: Header=BB2_6751 Depth=2
	v_mul_lo_u32 v2, v3, v68
	v_mul_lo_u32 v11, v8, v70
	v_mad_u64_u32 v[9:10], null, v8, v68, 0
	s_delay_alu instid0(VALU_DEP_1)
	v_add3_u32 v10, v10, v11, v2
	s_or_b32 exec_lo, exec_lo, vcc_lo
	s_cbranch_execnz .LBB2_7495
.LBB2_6777:                             ;   in Loop: Header=BB2_6751 Depth=2
	s_delay_alu instid0(VALU_DEP_2)
	v_add_co_u32 v8, vcc_lo, v24, v9
	v_and_b32_e32 v2, 0x2000, v30
	v_add_co_ci_u32_e32 v9, vcc_lo, v25, v10, vcc_lo
	s_mov_b32 s13, exec_lo
	ds_store_b64 v0, v[8:9]
	v_cmpx_ne_u32_e32 0, v2
	s_cbranch_execz .LBB2_6779
; %bb.6778:                             ;   in Loop: Header=BB2_6751 Depth=2
	ds_load_b64 v[8:9], v0 offset:584
	s_waitcnt lgkmcnt(0)
	v_add_co_u32 v8, vcc_lo, v8, 1
	v_add_co_ci_u32_e32 v9, vcc_lo, 0, v9, vcc_lo
	ds_store_b64 v0, v[8:9] offset:584
.LBB2_6779:                             ;   in Loop: Header=BB2_6751 Depth=2
	s_or_b32 exec_lo, exec_lo, s13
	v_add_co_u32 v22, vcc_lo, v22, 2
	v_add_co_ci_u32_e32 v23, vcc_lo, 0, v23, vcc_lo
.LBB2_6780:                             ;   in Loop: Header=BB2_6751 Depth=2
	s_or_b32 exec_lo, exec_lo, s17
	s_and_saveexec_b32 s13, s3
	s_cbranch_execz .LBB2_6802
; %bb.6781:                             ;   in Loop: Header=BB2_6751 Depth=2
	s_and_saveexec_b32 s17, s4
	s_delay_alu instid0(SALU_CYCLE_1)
	s_xor_b32 s17, exec_lo, s17
	s_cbranch_execz .LBB2_6799
; %bb.6782:                             ;   in Loop: Header=BB2_6751 Depth=2
	s_and_saveexec_b32 s36, s1
	s_cbranch_execz .LBB2_6798
; %bb.6783:                             ;   in Loop: Header=BB2_6751 Depth=2
	s_mov_b32 s38, exec_lo
	s_mov_b32 s37, exec_lo
	v_mbcnt_lo_u32_b32 v2, s38, 0
	s_waitcnt lgkmcnt(0)
	s_waitcnt_vscnt null, 0x0
	buffer_gl1_inv
	buffer_gl0_inv
	v_cmpx_eq_u32_e32 0, v2
	s_cbranch_execz .LBB2_6785
; %bb.6784:                             ;   in Loop: Header=BB2_6751 Depth=2
	s_bcnt1_i32_b32 vcc_lo, s38
	s_delay_alu instid0(SALU_CYCLE_1)
	v_mov_b32_e32 v2, vcc_lo
	ds_add_u64 v0, v[2:3]
	s_cbranch_execnz .LBB2_7609
.LBB2_6785:                             ;   in Loop: Header=BB2_6751 Depth=2
	s_or_b32 exec_lo, exec_lo, s37
	s_cbranch_execnz .LBB2_7585
; %bb.6786:                             ;   in Loop: Header=BB2_6751 Depth=2
	ds_load_b64 v[8:9], v0
	v_add_co_u32 v12, vcc_lo, v12, v71
	v_add_co_ci_u32_e32 v13, vcc_lo, 0, v13, vcc_lo
	s_mov_b32 s37, exec_lo
	s_waitcnt lgkmcnt(0)
	s_delay_alu instid0(VALU_DEP_1)
	v_cmpx_lt_u64_e64 v[8:9], v[12:13]
	s_cbranch_execz .LBB2_6797
; %bb.6787:                             ;   in Loop: Header=BB2_6751 Depth=2
	s_mov_b32 s38, 0
	s_mov_b32 s41, 0
                                        ; implicit-def: $sgpr39
                                        ; implicit-def: $sgpr40
	s_branch .LBB2_6789
.LBB2_6788:                             ;   in Loop: Header=BB2_6789 Depth=3
	s_or_b32 exec_lo, exec_lo, s43
	s_delay_alu instid0(SALU_CYCLE_1) | instskip(NEXT) | instid1(SALU_CYCLE_1)
	s_and_b32 vcc_lo, exec_lo, vcc_lo
	s_or_b32 s38, vcc_lo, s38
	s_and_not1_b32 vcc_lo, s39, exec_lo
	s_and_b32 s39, s40, exec_lo
	s_delay_alu instid0(SALU_CYCLE_1)
	s_or_b32 s39, vcc_lo, s39
	s_and_not1_b32 exec_lo, exec_lo, s38
	s_cbranch_execz .LBB2_6795
.LBB2_6789:                             ;   Parent Loop BB2_51 Depth=1
                                        ;     Parent Loop BB2_6751 Depth=2
                                        ; =>    This Inner Loop Header: Depth=3
	s_add_i32 s41, s41, 1
                                        ; implicit-def: $sgpr43
	s_delay_alu instid0(SALU_CYCLE_1) | instskip(SKIP_1) | instid1(SALU_CYCLE_1)
	s_cmpk_lg_i32 s41, 0x2710
	s_cselect_b32 s42, -1, 0
	s_and_b32 vcc_lo, exec_lo, s42
	s_cbranch_vccz .LBB2_6793
.LBB2_6790:                             ;   in Loop: Header=BB2_6789 Depth=3
	s_and_not1_b32 s40, s40, exec_lo
	s_and_b32 s43, s43, exec_lo
	s_mov_b32 vcc_lo, -1
	s_or_b32 s40, s40, s43
	s_and_saveexec_b32 s43, s42
	s_cbranch_execz .LBB2_6788
; %bb.6791:                             ;   in Loop: Header=BB2_6789 Depth=3
	s_sleep 1
	s_cbranch_execnz .LBB2_7663
; %bb.6792:                             ;   in Loop: Header=BB2_6789 Depth=3
	ds_load_b64 v[8:9], v0
	s_and_not1_b32 s40, s40, exec_lo
	s_waitcnt lgkmcnt(0)
	v_cmp_ge_u64_e32 vcc_lo, v[8:9], v[12:13]
	s_or_not1_b32 vcc_lo, vcc_lo, exec_lo
	s_branch .LBB2_6788
.LBB2_6793:                             ;   in Loop: Header=BB2_6789 Depth=3
	s_cbranch_execnz .LBB2_7677
; %bb.6794:                             ;   in Loop: Header=BB2_6789 Depth=3
	ds_load_b64 v[8:9], v0
	s_and_not1_b32 s42, s42, exec_lo
	s_mov_b32 s41, 0
	s_mov_b32 s43, -1
	s_waitcnt lgkmcnt(0)
	flat_load_b32 v2, v[8:9] glc
	s_waitcnt vmcnt(0) lgkmcnt(0)
	buffer_gl1_inv
	buffer_gl0_inv
	v_cmp_eq_u32_e32 vcc_lo, 0, v2
	s_and_b32 vcc_lo, vcc_lo, exec_lo
	s_delay_alu instid0(SALU_CYCLE_1)
	s_or_b32 s42, s42, vcc_lo
	s_branch .LBB2_6790
.LBB2_6795:                             ;   in Loop: Header=BB2_6751 Depth=2
	s_or_b32 exec_lo, exec_lo, s38
	s_and_saveexec_b32 vcc_lo, s39
	s_delay_alu instid0(SALU_CYCLE_1)
	s_xor_b32 vcc_lo, exec_lo, vcc_lo
	s_cbranch_execz .LBB2_6797
; %bb.6796:                             ;   in Loop: Header=BB2_6751 Depth=2
	ds_store_b32 v0, v115
	s_cbranch_execnz .LBB2_7879
.LBB2_6797:                             ;   in Loop: Header=BB2_6751 Depth=2
	s_or_b32 exec_lo, exec_lo, s37
	;;#ASMSTART
	s_wakeup
	;;#ASMEND
.LBB2_6798:                             ;   in Loop: Header=BB2_6751 Depth=2
	s_or_b32 exec_lo, exec_lo, s36
.LBB2_6799:                             ;   in Loop: Header=BB2_6751 Depth=2
	s_and_not1_saveexec_b32 s17, s17
	s_cbranch_execz .LBB2_6801
; %bb.6800:                             ;   in Loop: Header=BB2_6751 Depth=2
	s_waitcnt lgkmcnt(0)
	s_waitcnt_vscnt null, 0x0
	buffer_gl1_inv
	buffer_gl0_inv
	s_barrier
.LBB2_6801:                             ;   in Loop: Header=BB2_6751 Depth=2
	s_or_b32 exec_lo, exec_lo, s17
.LBB2_6802:                             ;   in Loop: Header=BB2_6751 Depth=2
	s_delay_alu instid0(SALU_CYCLE_1) | instskip(SKIP_1) | instid1(SALU_CYCLE_1)
	s_or_b32 exec_lo, exec_lo, s13
                                        ; implicit-def: $vgpr2
	s_and_saveexec_b32 s13, s7
	s_xor_b32 s17, exec_lo, s13
	s_cbranch_execz .LBB2_6807
; %bb.6803:                             ;   in Loop: Header=BB2_6751 Depth=2
	s_cbranch_execnz .LBB2_7509
; %bb.6804:                             ;   in Loop: Header=BB2_6751 Depth=2
	ds_load_b32 v2, v0
	v_cmp_lt_i32_e32 vcc_lo, 0, v50
	s_waitcnt lgkmcnt(0)
	v_readfirstlane_b32 s13, v2
	v_and_b32_e32 v2, 16, v30
	s_delay_alu instid0(VALU_DEP_2) | instskip(NEXT) | instid1(VALU_DEP_1)
	s_cmp_eq_u32 s13, 0
	v_cmp_ne_u32_e64 s13, 0, v2
	s_cselect_b32 s36, -1, 0
	v_and_b32_e32 v2, 16, v30
	s_and_b32 vcc_lo, vcc_lo, s36
	s_delay_alu instid0(VALU_DEP_2) | instid1(SALU_CYCLE_1)
	s_and_b32 vcc_lo, s13, vcc_lo
	s_delay_alu instid0(SALU_CYCLE_1)
	s_and_saveexec_b32 s13, vcc_lo
	s_cbranch_execz .LBB2_6806
; %bb.6805:                             ;   in Loop: Header=BB2_6751 Depth=2
	v_mov_b32_e32 v2, 1
	s_waitcnt_vscnt null, 0x0
	buffer_gl1_inv
	buffer_gl0_inv
.LBB2_6806:                             ;   in Loop: Header=BB2_6751 Depth=2
	s_or_b32 exec_lo, exec_lo, s13
.LBB2_6807:                             ;   in Loop: Header=BB2_6751 Depth=2
	s_and_not1_saveexec_b32 s13, s17
	s_cbranch_execz .LBB2_6829
; %bb.6808:                             ;   in Loop: Header=BB2_6751 Depth=2
	s_and_saveexec_b32 s17, s4
	s_delay_alu instid0(SALU_CYCLE_1)
	s_xor_b32 s17, exec_lo, s17
	s_cbranch_execz .LBB2_6826
; %bb.6809:                             ;   in Loop: Header=BB2_6751 Depth=2
	s_and_saveexec_b32 s36, s1
	s_cbranch_execz .LBB2_6825
; %bb.6810:                             ;   in Loop: Header=BB2_6751 Depth=2
	s_mov_b32 s38, exec_lo
	s_mov_b32 s37, exec_lo
	v_mbcnt_lo_u32_b32 v2, s38, 0
	;;#ASMSTART
	s_waitcnt lgkmcnt(0) vmcnt(0)
	;;#ASMEND
	s_delay_alu instid0(VALU_DEP_1)
	v_cmpx_eq_u32_e32 0, v2
	s_cbranch_execz .LBB2_6812
; %bb.6811:                             ;   in Loop: Header=BB2_6751 Depth=2
	s_bcnt1_i32_b32 vcc_lo, s38
	s_delay_alu instid0(SALU_CYCLE_1)
	v_mov_b32_e32 v2, vcc_lo
	ds_add_u64 v0, v[2:3]
	s_cbranch_execnz .LBB2_7621
.LBB2_6812:                             ;   in Loop: Header=BB2_6751 Depth=2
	s_or_b32 exec_lo, exec_lo, s37
	s_cbranch_execnz .LBB2_7607
; %bb.6813:                             ;   in Loop: Header=BB2_6751 Depth=2
	ds_load_b64 v[8:9], v0
	v_add_co_u32 v12, vcc_lo, v12, v71
	v_add_co_ci_u32_e32 v13, vcc_lo, 0, v13, vcc_lo
	s_mov_b32 s37, exec_lo
	s_waitcnt lgkmcnt(0)
	s_delay_alu instid0(VALU_DEP_1)
	v_cmpx_lt_u64_e64 v[8:9], v[12:13]
	s_cbranch_execz .LBB2_6824
; %bb.6814:                             ;   in Loop: Header=BB2_6751 Depth=2
	s_mov_b32 s38, 0
	s_mov_b32 s41, 0
                                        ; implicit-def: $sgpr39
                                        ; implicit-def: $sgpr40
	s_branch .LBB2_6816
.LBB2_6815:                             ;   in Loop: Header=BB2_6816 Depth=3
	s_or_b32 exec_lo, exec_lo, s43
	s_delay_alu instid0(SALU_CYCLE_1) | instskip(NEXT) | instid1(SALU_CYCLE_1)
	s_and_b32 vcc_lo, exec_lo, vcc_lo
	s_or_b32 s38, vcc_lo, s38
	s_and_not1_b32 vcc_lo, s39, exec_lo
	s_and_b32 s39, s40, exec_lo
	s_delay_alu instid0(SALU_CYCLE_1)
	s_or_b32 s39, vcc_lo, s39
	s_and_not1_b32 exec_lo, exec_lo, s38
	s_cbranch_execz .LBB2_6822
.LBB2_6816:                             ;   Parent Loop BB2_51 Depth=1
                                        ;     Parent Loop BB2_6751 Depth=2
                                        ; =>    This Inner Loop Header: Depth=3
	s_add_i32 s41, s41, 1
                                        ; implicit-def: $sgpr43
	s_delay_alu instid0(SALU_CYCLE_1) | instskip(SKIP_1) | instid1(SALU_CYCLE_1)
	s_cmpk_lg_i32 s41, 0x2710
	s_cselect_b32 s42, -1, 0
	s_and_b32 vcc_lo, exec_lo, s42
	s_cbranch_vccz .LBB2_6820
.LBB2_6817:                             ;   in Loop: Header=BB2_6816 Depth=3
	s_and_not1_b32 s40, s40, exec_lo
	s_and_b32 s43, s43, exec_lo
	s_mov_b32 vcc_lo, -1
	s_or_b32 s40, s40, s43
	s_and_saveexec_b32 s43, s42
	s_cbranch_execz .LBB2_6815
; %bb.6818:                             ;   in Loop: Header=BB2_6816 Depth=3
	s_sleep 1
	s_cbranch_execnz .LBB2_7687
; %bb.6819:                             ;   in Loop: Header=BB2_6816 Depth=3
	ds_load_b64 v[8:9], v0
	s_and_not1_b32 s40, s40, exec_lo
	s_waitcnt lgkmcnt(0)
	v_cmp_ge_u64_e32 vcc_lo, v[8:9], v[12:13]
	s_or_not1_b32 vcc_lo, vcc_lo, exec_lo
	s_branch .LBB2_6815
.LBB2_6820:                             ;   in Loop: Header=BB2_6816 Depth=3
	s_cbranch_execnz .LBB2_7697
; %bb.6821:                             ;   in Loop: Header=BB2_6816 Depth=3
	ds_load_b64 v[8:9], v0
	s_and_not1_b32 s42, s42, exec_lo
	s_mov_b32 s41, 0
	s_mov_b32 s43, -1
	s_waitcnt lgkmcnt(0)
	s_waitcnt_vscnt null, 0x0
	flat_load_b32 v2, v[8:9] glc
	s_waitcnt vmcnt(0) lgkmcnt(0)
	buffer_gl1_inv
	buffer_gl0_inv
	v_cmp_eq_u32_e32 vcc_lo, 0, v2
	s_and_b32 vcc_lo, vcc_lo, exec_lo
	s_delay_alu instid0(SALU_CYCLE_1)
	s_or_b32 s42, s42, vcc_lo
	s_branch .LBB2_6817
.LBB2_6822:                             ;   in Loop: Header=BB2_6751 Depth=2
	s_or_b32 exec_lo, exec_lo, s38
	s_and_saveexec_b32 vcc_lo, s39
	s_delay_alu instid0(SALU_CYCLE_1)
	s_xor_b32 vcc_lo, exec_lo, vcc_lo
	s_cbranch_execz .LBB2_6824
; %bb.6823:                             ;   in Loop: Header=BB2_6751 Depth=2
	ds_store_b32 v0, v115
	s_cbranch_execnz .LBB2_7891
.LBB2_6824:                             ;   in Loop: Header=BB2_6751 Depth=2
	s_or_b32 exec_lo, exec_lo, s37
	;;#ASMSTART
	s_wakeup
	;;#ASMEND
.LBB2_6825:                             ;   in Loop: Header=BB2_6751 Depth=2
	s_or_b32 exec_lo, exec_lo, s36
.LBB2_6826:                             ;   in Loop: Header=BB2_6751 Depth=2
	s_and_not1_saveexec_b32 s17, s17
	s_cbranch_execz .LBB2_6828
; %bb.6827:                             ;   in Loop: Header=BB2_6751 Depth=2
	;;#ASMSTART
	s_waitcnt lgkmcnt(0) vmcnt(0)
	;;#ASMEND
	s_waitcnt lgkmcnt(0)
	s_waitcnt_vscnt null, 0x0
	s_barrier
.LBB2_6828:                             ;   in Loop: Header=BB2_6751 Depth=2
	s_or_b32 exec_lo, exec_lo, s17
	v_and_b32_e32 v2, 16, v30
.LBB2_6829:                             ;   in Loop: Header=BB2_6751 Depth=2
	s_or_b32 exec_lo, exec_lo, s13
	s_delay_alu instid0(VALU_DEP_1) | instskip(SKIP_1) | instid1(SALU_CYCLE_1)
	v_cmp_ne_u32_e32 vcc_lo, 0, v2
	s_xor_b32 s13, s10, -1
	s_and_b32 s17, vcc_lo, s13
	s_delay_alu instid0(SALU_CYCLE_1)
	s_and_saveexec_b32 s13, s17
	s_cbranch_execz .LBB2_6831
; %bb.6830:                             ;   in Loop: Header=BB2_6751 Depth=2
	s_waitcnt lgkmcnt(0)
	s_waitcnt_vscnt null, 0x0
	flat_store_b32 v[26:27], v115
.LBB2_6831:                             ;   in Loop: Header=BB2_6751 Depth=2
	s_or_b32 exec_lo, exec_lo, s13
	v_and_b32_e32 v2, 48, v30
	s_mov_b32 s13, exec_lo
	s_delay_alu instid0(VALU_DEP_1)
	v_cmpx_ne_u32_e32 0, v2
	s_cbranch_execz .LBB2_6833
; %bb.6832:                             ;   in Loop: Header=BB2_6751 Depth=2
	v_add_co_u32 v22, vcc_lo, v22, 2
	v_add_co_ci_u32_e32 v23, vcc_lo, 0, v23, vcc_lo
	s_waitcnt lgkmcnt(0)
	s_waitcnt_vscnt null, 0x0
	flat_store_b64 v[20:21], v[22:23]
.LBB2_6833:                             ;   in Loop: Header=BB2_6751 Depth=2
	s_or_b32 exec_lo, exec_lo, s13
	v_add_nc_u32_e32 v118, v50, v118
	s_mov_b32 s13, 0
	s_and_not1_b32 exec_lo, exec_lo, s16
	s_cbranch_execnz .LBB2_6751
; %bb.6834:                             ;   in Loop: Header=BB2_51 Depth=1
	s_or_b32 exec_lo, exec_lo, s16
.LBB2_6835:                             ;   in Loop: Header=BB2_51 Depth=1
	v_writelane_b32 v46, s14, 3
	v_writelane_b32 v46, s31, 1
	s_or_b32 exec_lo, exec_lo, s15
	s_delay_alu instid0(SALU_CYCLE_1)
	s_and_not1_b32 vcc_lo, exec_lo, s29
	s_cbranch_vccnz .LBB2_7133
; %bb.6836:                             ;   in Loop: Header=BB2_51 Depth=1
	s_mov_b32 s13, 1
.LBB2_6837:                             ;   Parent Loop BB2_51 Depth=1
                                        ; =>  This Loop Header: Depth=2
                                        ;       Child Loop BB2_6839 Depth 3
                                        ;         Child Loop BB2_6848 Depth 4
                                        ;         Child Loop BB2_6880 Depth 4
	;; [unrolled: 1-line block ×4, first 2 shown]
                                        ;           Child Loop BB2_6929 Depth 5
                                        ;         Child Loop BB2_6936 Depth 4
                                        ;           Child Loop BB2_6937 Depth 5
                                        ;         Child Loop BB2_6948 Depth 4
                                        ;         Child Loop BB2_6954 Depth 4
                                        ;           Child Loop BB2_6955 Depth 5
                                        ;         Child Loop BB2_6969 Depth 4
                                        ;         Child Loop BB2_6975 Depth 4
	;; [unrolled: 1-line block ×6, first 2 shown]
                                        ;       Child Loop BB2_7050 Depth 3
                                        ;         Child Loop BB2_7056 Depth 4
                                        ;         Child Loop BB2_7086 Depth 4
	;; [unrolled: 1-line block ×3, first 2 shown]
	s_delay_alu instid0(SALU_CYCLE_1)
	s_mov_b32 s31, s13
	s_sub_i32 s13, s25, s13
	v_mov_b32_e32 v54, 0
	s_cmp_le_i32 s19, s13
	s_mov_b32 s37, 0
	s_cselect_b32 s14, s19, 0
	s_delay_alu instid0(SALU_CYCLE_1) | instskip(NEXT) | instid1(SALU_CYCLE_1)
	s_sub_i32 s13, s13, s14
	s_ashr_i32 s14, s13, 31
	v_mul_lo_u32 v2, v39, s13
	v_mad_u64_u32 v[8:9], null, v38, s13, 0
	v_mul_lo_u32 v10, v38, s14
	s_delay_alu instid0(VALU_DEP_1) | instskip(NEXT) | instid1(VALU_DEP_3)
	v_add3_u32 v9, v9, v10, v2
	v_sub_co_u32 v10, vcc_lo, v48, v8
	s_delay_alu instid0(VALU_DEP_2) | instskip(NEXT) | instid1(VALU_DEP_1)
	v_sub_co_ci_u32_e32 v11, vcc_lo, v49, v9, vcc_lo
	v_cmp_lt_i64_e32 vcc_lo, v[38:39], v[10:11]
	v_cndmask_b32_e32 v10, v10, v38, vcc_lo
	s_delay_alu instid0(VALU_DEP_1) | instskip(SKIP_1) | instid1(VALU_DEP_2)
	v_max_i32_e32 v53, 0, v10
	v_cmp_lt_i32_e32 vcc_lo, 0, v10
	v_add_nc_u32_e32 v2, 31, v53
	s_and_b32 s13, s30, vcc_lo
	s_delay_alu instid0(VALU_DEP_1) | instskip(NEXT) | instid1(VALU_DEP_1)
	v_lshrrev_b32_e32 v2, 1, v2
	v_dual_mov_b32 v2, 0 :: v_dual_and_b32 v11, 0x3ffffff0, v2
	s_delay_alu instid0(VALU_DEP_1)
	v_max_i32_e32 v50, s28, v11
	s_and_saveexec_b32 s36, s13
	s_cbranch_execz .LBB2_7048
; %bb.6838:                             ;   in Loop: Header=BB2_6837 Depth=2
	v_add_co_u32 v55, vcc_lo, v8, v116
	v_add_co_ci_u32_e32 v64, vcc_lo, v9, v117, vcc_lo
	v_mov_b32_e32 v54, 0
	s_mov_b32 s39, 1
	s_mov_b32 s38, -1
.LBB2_6839:                             ;   Parent Loop BB2_51 Depth=1
                                        ;     Parent Loop BB2_6837 Depth=2
                                        ; =>    This Loop Header: Depth=3
                                        ;         Child Loop BB2_6848 Depth 4
                                        ;         Child Loop BB2_6880 Depth 4
	;; [unrolled: 1-line block ×4, first 2 shown]
                                        ;           Child Loop BB2_6929 Depth 5
                                        ;         Child Loop BB2_6936 Depth 4
                                        ;           Child Loop BB2_6937 Depth 5
                                        ;         Child Loop BB2_6948 Depth 4
                                        ;         Child Loop BB2_6954 Depth 4
                                        ;           Child Loop BB2_6955 Depth 5
                                        ;         Child Loop BB2_6969 Depth 4
                                        ;         Child Loop BB2_6975 Depth 4
	;; [unrolled: 1-line block ×6, first 2 shown]
	s_and_saveexec_b32 s14, s0
	s_cbranch_execz .LBB2_6842
; %bb.6840:                             ;   in Loop: Header=BB2_6839 Depth=3
	s_cbranch_execnz .LBB2_7537
; %bb.6841:                             ;   in Loop: Header=BB2_6839 Depth=3
	ds_load_b128 v[8:11], v0
	v_ashrrev_i32_e32 v2, 31, v54
	s_waitcnt lgkmcnt(0)
	v_add_co_u32 v51, vcc_lo, v10, v55
	v_add_co_ci_u32_e32 v52, vcc_lo, v11, v64, vcc_lo
	v_add_co_u32 v8, vcc_lo, v8, v55
	v_add_co_ci_u32_e32 v9, vcc_lo, v9, v64, vcc_lo
	s_delay_alu instid0(VALU_DEP_4) | instskip(NEXT) | instid1(VALU_DEP_4)
	v_add_co_u32 v51, vcc_lo, v51, v54
	v_add_co_ci_u32_e32 v52, vcc_lo, v52, v2, vcc_lo
	v_cmp_ne_u64_e32 vcc_lo, 0, v[10:11]
	v_add_co_u32 v8, s13, v8, v54
	s_delay_alu instid0(VALU_DEP_1) | instskip(NEXT) | instid1(VALU_DEP_4)
	v_add_co_ci_u32_e64 v9, s13, v9, v2, s13
	v_dual_cndmask_b32 v11, 0, v52 :: v_dual_cndmask_b32 v10, 0, v51
	ds_store_b64 v0, v[8:9]
	ds_store_b64 v0, v[10:11]
.LBB2_6842:                             ;   in Loop: Header=BB2_6839 Depth=3
	s_or_b32 exec_lo, exec_lo, s14
	v_and_b32_e32 v2, 12, v30
	s_mov_b32 s14, -1
	s_mov_b32 s13, exec_lo
	s_delay_alu instid0(VALU_DEP_1)
	v_cmpx_ne_u32_e32 0, v2
	s_cbranch_execz .LBB2_6856
; %bb.6843:                             ;   in Loop: Header=BB2_6839 Depth=3
	v_and_b32_e32 v2, 8, v30
	s_delay_alu instid0(VALU_DEP_1) | instskip(SKIP_3) | instid1(VALU_DEP_1)
	v_add_co_u32 v10, vcc_lo, v28, v2
	v_add_co_ci_u32_e32 v11, vcc_lo, 0, v29, vcc_lo
	v_add_co_u32 v8, vcc_lo, v22, 2
	v_add_co_ci_u32_e32 v9, vcc_lo, 0, v23, vcc_lo
	v_cmp_lt_u64_e32 vcc_lo, v[10:11], v[8:9]
	v_mov_b32_e32 v10, 1
	s_and_saveexec_b32 s14, vcc_lo
	s_cbranch_execz .LBB2_6855
; %bb.6844:                             ;   in Loop: Header=BB2_6839 Depth=3
	v_mov_b32_e32 v10, 0
	s_mov_b32 s15, 0
                                        ; implicit-def: $sgpr16
	s_branch .LBB2_6848
.LBB2_6845:                             ;   in Loop: Header=BB2_6848 Depth=4
	s_or_b32 exec_lo, exec_lo, s42
	v_mov_b32_e32 v11, 0
	s_or_not1_b32 s41, s41, exec_lo
.LBB2_6846:                             ;   in Loop: Header=BB2_6848 Depth=4
	s_or_b32 exec_lo, exec_lo, s40
	s_delay_alu instid0(VALU_DEP_1) | instskip(SKIP_2) | instid1(SALU_CYCLE_1)
	v_mov_b32_e32 v10, v11
	s_and_not1_b32 s16, s16, exec_lo
	s_and_b32 vcc_lo, s41, exec_lo
	s_or_b32 s16, s16, vcc_lo
.LBB2_6847:                             ;   in Loop: Header=BB2_6848 Depth=4
	s_or_b32 exec_lo, exec_lo, s17
	s_waitcnt vmcnt(0) lgkmcnt(0)
	v_add_co_u32 v51, vcc_lo, v28, v2
	v_add_co_ci_u32_e32 v52, vcc_lo, 0, v29, vcc_lo
	s_xor_b32 s17, s16, -1
	s_delay_alu instid0(VALU_DEP_1) | instskip(SKIP_1) | instid1(SALU_CYCLE_1)
	v_cmp_ge_u64_e32 vcc_lo, v[51:52], v[8:9]
	s_or_b32 s17, s17, vcc_lo
	s_and_b32 s17, exec_lo, s17
	s_delay_alu instid0(SALU_CYCLE_1) | instskip(NEXT) | instid1(SALU_CYCLE_1)
	s_or_b32 s15, s17, s15
	s_and_not1_b32 exec_lo, exec_lo, s15
	s_cbranch_execz .LBB2_6854
.LBB2_6848:                             ;   Parent Loop BB2_51 Depth=1
                                        ;     Parent Loop BB2_6837 Depth=2
                                        ;       Parent Loop BB2_6839 Depth=3
                                        ; =>      This Inner Loop Header: Depth=4
	s_sleep 1
	flat_load_b64 v[28:29], v[20:21] glc
	v_and_b32_e32 v11, 64, v30
	s_and_not1_b32 s16, s16, exec_lo
	s_mov_b32 s17, exec_lo
	s_delay_alu instid0(VALU_DEP_1)
	v_cmpx_eq_u32_e32 0, v11
	s_cbranch_execz .LBB2_6847
; %bb.6849:                             ;   in Loop: Header=BB2_6848 Depth=4
	v_add_nc_u32_e32 v11, 1, v10
	s_mov_b32 s41, -1
	s_mov_b32 s40, exec_lo
	v_cmpx_lt_i32_e32 0x270e, v10
	s_cbranch_execz .LBB2_6846
; %bb.6850:                             ;   in Loop: Header=BB2_6848 Depth=4
	s_cbranch_execnz .LBB2_7573
; %bb.6851:                             ;   in Loop: Header=BB2_6848 Depth=4
	ds_load_b64 v[10:11], v0
	s_mov_b32 s42, exec_lo
	s_waitcnt vmcnt(0) lgkmcnt(0)
	s_waitcnt_vscnt null, 0x0
	flat_load_b32 v10, v[10:11] glc
	s_waitcnt vmcnt(0) lgkmcnt(0)
	buffer_gl1_inv
	buffer_gl0_inv
	v_cmpx_ne_u32_e32 0, v10
	s_cbranch_execz .LBB2_6845
; %bb.6852:                             ;   in Loop: Header=BB2_6848 Depth=4
	ds_store_b32 v0, v10
	s_cbranch_execnz .LBB2_7661
; %bb.6853:                             ;   in Loop: Header=BB2_6848 Depth=4
	v_or_b32_e32 v30, 64, v30
	s_xor_b32 s41, exec_lo, -1
	s_branch .LBB2_6845
.LBB2_6854:                             ;   in Loop: Header=BB2_6839 Depth=3
	s_or_b32 exec_lo, exec_lo, s15
	v_and_b32_e32 v10, 12, v30
.LBB2_6855:                             ;   in Loop: Header=BB2_6839 Depth=3
	s_or_b32 exec_lo, exec_lo, s14
	s_delay_alu instid0(VALU_DEP_1)
	v_cmp_eq_u32_e32 vcc_lo, 0, v10
	;;#ASMSTART
	s_wakeup
	;;#ASMEND
	s_or_not1_b32 s14, vcc_lo, exec_lo
.LBB2_6856:                             ;   in Loop: Header=BB2_6839 Depth=3
	s_or_b32 exec_lo, exec_lo, s13
	v_sub_nc_u32_e32 v2, v53, v54
	s_xor_b32 s13, s14, -1
	s_delay_alu instid0(VALU_DEP_1)
	v_min_i32_e32 v50, v50, v2
	s_and_saveexec_b32 s14, s13
	s_cbranch_execz .LBB2_6871
; %bb.6857:                             ;   in Loop: Header=BB2_6839 Depth=3
	v_and_b32_e32 v2, 0x108, v30
	s_mov_b32 s13, exec_lo
	s_delay_alu instid0(VALU_DEP_1)
	v_cmpx_ne_u32_e32 0x108, v2
	s_xor_b32 s13, exec_lo, s13
                                        ; implicit-def: $vgpr8_vgpr9
; %bb.6858:                             ;   in Loop: Header=BB2_6839 Depth=3
	v_and_b32_e32 v8, 7, v22
; %bb.6859:                             ;   in Loop: Header=BB2_6839 Depth=3
	s_and_not1_saveexec_b32 s13, s13
	s_cbranch_execz .LBB2_6861
; %bb.6860:                             ;   in Loop: Header=BB2_6839 Depth=3
	v_and_b32_e32 v8, 7, v22
	v_ashrrev_i32_e32 v51, 31, v50
	s_delay_alu instid0(VALU_DEP_2)
	v_mad_u64_u32 v[9:10], null, v8, 24, v[6:7]
	flat_store_b64 v[9:10], v[50:51] offset:8
.LBB2_6861:                             ;   in Loop: Header=BB2_6839 Depth=3
	s_or_b32 exec_lo, exec_lo, s13
	v_and_b32_e32 v2, 0x100, v30
	s_mov_b32 s13, -1
	s_mov_b32 s15, exec_lo
                                        ; implicit-def: $vgpr9_vgpr10
	s_delay_alu instid0(VALU_DEP_1)
	v_cmpx_ne_u32_e32 0, v2
	s_cbranch_execnz .LBB2_6864
; %bb.6862:                             ;   in Loop: Header=BB2_6839 Depth=3
	s_or_b32 exec_lo, exec_lo, s15
	s_and_saveexec_b32 s15, s13
	s_cbranch_execnz .LBB2_6867
.LBB2_6863:                             ;   in Loop: Header=BB2_6839 Depth=3
	s_or_b32 exec_lo, exec_lo, s15
	s_cbranch_execnz .LBB2_7563
	s_branch .LBB2_6868
.LBB2_6864:                             ;   in Loop: Header=BB2_6839 Depth=3
	v_mad_u64_u32 v[51:52], null, v8, 24, v[6:7]
	s_mov_b32 s16, exec_lo
	s_delay_alu instid0(VALU_DEP_1) | instskip(NEXT) | instid1(VALU_DEP_1)
	v_mov_b32_e32 v2, v52
	v_mad_u64_u32 v[9:10], null, v3, 24, v[2:3]
	s_delay_alu instid0(VALU_DEP_1)
	v_mov_b32_e32 v52, v9
                                        ; implicit-def: $vgpr9_vgpr10
	flat_load_b32 v2, v[51:52]
	s_waitcnt vmcnt(0) lgkmcnt(0)
	v_cmp_ne_u32_e32 vcc_lo, 1, v2
	v_cmpx_eq_u32_e32 1, v2
	s_cbranch_execz .LBB2_6866
; %bb.6865:                             ;   in Loop: Header=BB2_6839 Depth=3
	flat_load_b32 v9, v[51:52] offset:4 glc
	s_waitcnt vmcnt(0) lgkmcnt(0)
	v_ashrrev_i32_e32 v10, 31, v9
.LBB2_6866:                             ;   in Loop: Header=BB2_6839 Depth=3
	s_or_b32 exec_lo, exec_lo, s16
	s_delay_alu instid0(SALU_CYCLE_1)
	s_or_not1_b32 s13, vcc_lo, exec_lo
	s_or_b32 exec_lo, exec_lo, s15
	s_and_saveexec_b32 s15, s13
	s_cbranch_execz .LBB2_6863
.LBB2_6867:                             ;   in Loop: Header=BB2_6839 Depth=3
	v_mul_lo_u32 v2, v3, v68
	v_mul_lo_u32 v11, v8, v70
	v_mad_u64_u32 v[9:10], null, v8, v68, 0
	s_delay_alu instid0(VALU_DEP_1)
	v_add3_u32 v10, v10, v11, v2
	s_or_b32 exec_lo, exec_lo, s15
	s_cbranch_execnz .LBB2_7563
.LBB2_6868:                             ;   in Loop: Header=BB2_6839 Depth=3
	s_delay_alu instid0(VALU_DEP_2)
	v_add_co_u32 v8, vcc_lo, v24, v9
	v_and_b32_e32 v2, 0x2000, v30
	v_add_co_ci_u32_e32 v9, vcc_lo, v25, v10, vcc_lo
	s_mov_b32 s13, exec_lo
	ds_store_b64 v0, v[8:9]
	v_cmpx_ne_u32_e32 0, v2
	s_cbranch_execz .LBB2_6870
; %bb.6869:                             ;   in Loop: Header=BB2_6839 Depth=3
	ds_load_b64 v[8:9], v0 offset:584
	s_waitcnt lgkmcnt(0)
	v_add_co_u32 v8, vcc_lo, v8, 1
	v_add_co_ci_u32_e32 v9, vcc_lo, 0, v9, vcc_lo
	ds_store_b64 v0, v[8:9] offset:584
.LBB2_6870:                             ;   in Loop: Header=BB2_6839 Depth=3
	s_or_b32 exec_lo, exec_lo, s13
	v_add_co_u32 v22, vcc_lo, v22, 2
	v_add_co_ci_u32_e32 v23, vcc_lo, 0, v23, vcc_lo
.LBB2_6871:                             ;   in Loop: Header=BB2_6839 Depth=3
	s_or_b32 exec_lo, exec_lo, s14
	s_and_saveexec_b32 s13, s3
	s_cbranch_execz .LBB2_6893
; %bb.6872:                             ;   in Loop: Header=BB2_6839 Depth=3
	s_and_saveexec_b32 s14, s4
	s_delay_alu instid0(SALU_CYCLE_1)
	s_xor_b32 s14, exec_lo, s14
	s_cbranch_execz .LBB2_6890
; %bb.6873:                             ;   in Loop: Header=BB2_6839 Depth=3
	s_and_saveexec_b32 s15, s1
	s_cbranch_execz .LBB2_6889
; %bb.6874:                             ;   in Loop: Header=BB2_6839 Depth=3
	s_mov_b32 s17, exec_lo
	s_mov_b32 s16, exec_lo
	v_mbcnt_lo_u32_b32 v2, s17, 0
	s_waitcnt lgkmcnt(0)
	s_waitcnt_vscnt null, 0x0
	buffer_gl1_inv
	buffer_gl0_inv
	v_cmpx_eq_u32_e32 0, v2
	s_cbranch_execz .LBB2_6876
; %bb.6875:                             ;   in Loop: Header=BB2_6839 Depth=3
	s_bcnt1_i32_b32 s17, s17
	s_delay_alu instid0(SALU_CYCLE_1)
	v_mov_b32_e32 v2, s17
	ds_add_u64 v0, v[2:3]
	s_cbranch_execnz .LBB2_7715
.LBB2_6876:                             ;   in Loop: Header=BB2_6839 Depth=3
	s_or_b32 exec_lo, exec_lo, s16
	s_cbranch_execnz .LBB2_7689
; %bb.6877:                             ;   in Loop: Header=BB2_6839 Depth=3
	ds_load_b64 v[8:9], v0
	v_add_co_u32 v12, vcc_lo, v12, v71
	v_add_co_ci_u32_e32 v13, vcc_lo, 0, v13, vcc_lo
	s_mov_b32 s16, exec_lo
	s_waitcnt lgkmcnt(0)
	s_delay_alu instid0(VALU_DEP_1)
	v_cmpx_lt_u64_e64 v[8:9], v[12:13]
	s_cbranch_execz .LBB2_6888
; %bb.6878:                             ;   in Loop: Header=BB2_6839 Depth=3
	s_mov_b32 s17, 0
	s_mov_b32 s42, 0
                                        ; implicit-def: $sgpr40
                                        ; implicit-def: $sgpr41
	s_branch .LBB2_6880
.LBB2_6879:                             ;   in Loop: Header=BB2_6880 Depth=4
	s_or_b32 exec_lo, exec_lo, s44
	s_delay_alu instid0(SALU_CYCLE_1) | instskip(NEXT) | instid1(SALU_CYCLE_1)
	s_and_b32 vcc_lo, exec_lo, vcc_lo
	s_or_b32 s17, vcc_lo, s17
	s_and_not1_b32 vcc_lo, s40, exec_lo
	s_and_b32 s40, s41, exec_lo
	s_delay_alu instid0(SALU_CYCLE_1)
	s_or_b32 s40, vcc_lo, s40
	s_and_not1_b32 exec_lo, exec_lo, s17
	s_cbranch_execz .LBB2_6886
.LBB2_6880:                             ;   Parent Loop BB2_51 Depth=1
                                        ;     Parent Loop BB2_6837 Depth=2
                                        ;       Parent Loop BB2_6839 Depth=3
                                        ; =>      This Inner Loop Header: Depth=4
	s_add_i32 s42, s42, 1
                                        ; implicit-def: $sgpr44
	s_delay_alu instid0(SALU_CYCLE_1) | instskip(SKIP_1) | instid1(SALU_CYCLE_1)
	s_cmpk_lg_i32 s42, 0x2710
	s_cselect_b32 s43, -1, 0
	s_and_b32 vcc_lo, exec_lo, s43
	s_cbranch_vccz .LBB2_6884
.LBB2_6881:                             ;   in Loop: Header=BB2_6880 Depth=4
	s_and_not1_b32 s41, s41, exec_lo
	s_and_b32 s44, s44, exec_lo
	s_mov_b32 vcc_lo, -1
	s_or_b32 s41, s41, s44
	s_and_saveexec_b32 s44, s43
	s_cbranch_execz .LBB2_6879
; %bb.6882:                             ;   in Loop: Header=BB2_6880 Depth=4
	s_sleep 1
	s_cbranch_execnz .LBB2_7769
; %bb.6883:                             ;   in Loop: Header=BB2_6880 Depth=4
	ds_load_b64 v[8:9], v0
	s_and_not1_b32 s41, s41, exec_lo
	s_waitcnt lgkmcnt(0)
	v_cmp_ge_u64_e32 vcc_lo, v[8:9], v[12:13]
	s_or_not1_b32 vcc_lo, vcc_lo, exec_lo
	s_branch .LBB2_6879
.LBB2_6884:                             ;   in Loop: Header=BB2_6880 Depth=4
	s_cbranch_execnz .LBB2_7791
; %bb.6885:                             ;   in Loop: Header=BB2_6880 Depth=4
	ds_load_b64 v[8:9], v0
	s_and_not1_b32 s43, s43, exec_lo
	s_mov_b32 s42, 0
	s_mov_b32 s44, -1
	s_waitcnt lgkmcnt(0)
	flat_load_b32 v2, v[8:9] glc
	s_waitcnt vmcnt(0) lgkmcnt(0)
	buffer_gl1_inv
	buffer_gl0_inv
	v_cmp_eq_u32_e32 vcc_lo, 0, v2
	s_and_b32 vcc_lo, vcc_lo, exec_lo
	s_delay_alu instid0(SALU_CYCLE_1)
	s_or_b32 s43, s43, vcc_lo
	s_branch .LBB2_6881
.LBB2_6886:                             ;   in Loop: Header=BB2_6839 Depth=3
	s_or_b32 exec_lo, exec_lo, s17
	s_and_saveexec_b32 s17, s40
	s_delay_alu instid0(SALU_CYCLE_1)
	s_xor_b32 s17, exec_lo, s17
	s_cbranch_execz .LBB2_6888
; %bb.6887:                             ;   in Loop: Header=BB2_6839 Depth=3
	ds_store_b32 v0, v115
	s_cbranch_execnz .LBB2_7911
.LBB2_6888:                             ;   in Loop: Header=BB2_6839 Depth=3
	s_or_b32 exec_lo, exec_lo, s16
	;;#ASMSTART
	s_wakeup
	;;#ASMEND
.LBB2_6889:                             ;   in Loop: Header=BB2_6839 Depth=3
	s_or_b32 exec_lo, exec_lo, s15
.LBB2_6890:                             ;   in Loop: Header=BB2_6839 Depth=3
	s_and_not1_saveexec_b32 s14, s14
	s_cbranch_execz .LBB2_6892
; %bb.6891:                             ;   in Loop: Header=BB2_6839 Depth=3
	s_waitcnt lgkmcnt(0)
	s_waitcnt_vscnt null, 0x0
	buffer_gl1_inv
	buffer_gl0_inv
	s_barrier
.LBB2_6892:                             ;   in Loop: Header=BB2_6839 Depth=3
	s_or_b32 exec_lo, exec_lo, s14
.LBB2_6893:                             ;   in Loop: Header=BB2_6839 Depth=3
	s_delay_alu instid0(SALU_CYCLE_1)
	s_or_b32 exec_lo, exec_lo, s13
	s_cbranch_execnz .LBB2_7547
; %bb.6894:                             ;   in Loop: Header=BB2_6839 Depth=3
	ds_load_b32 v8, v0
	v_and_b32_e32 v2, 0x4000, v30
	s_xor_b32 s13, s2, -1
	s_delay_alu instid0(VALU_DEP_1) | instskip(SKIP_1) | instid1(SALU_CYCLE_1)
	v_cmp_ne_u32_e32 vcc_lo, 0, v2
	s_and_b32 s14, s13, vcc_lo
	s_and_saveexec_b32 s13, s14
	s_cbranch_execz .LBB2_6916
; %bb.6895:                             ;   in Loop: Header=BB2_6839 Depth=3
	s_and_saveexec_b32 s14, s4
	s_delay_alu instid0(SALU_CYCLE_1)
	s_xor_b32 s14, exec_lo, s14
	s_cbranch_execz .LBB2_6913
; %bb.6896:                             ;   in Loop: Header=BB2_6839 Depth=3
	s_and_saveexec_b32 s15, s1
	s_cbranch_execz .LBB2_6912
; %bb.6897:                             ;   in Loop: Header=BB2_6839 Depth=3
	s_mov_b32 s17, exec_lo
	s_mov_b32 s16, exec_lo
	v_mbcnt_lo_u32_b32 v2, s17, 0
	s_waitcnt lgkmcnt(0)
	s_waitcnt_vscnt null, 0x0
	buffer_gl1_inv
	buffer_gl0_inv
	v_cmpx_eq_u32_e32 0, v2
	s_cbranch_execz .LBB2_6899
; %bb.6898:                             ;   in Loop: Header=BB2_6839 Depth=3
	s_bcnt1_i32_b32 s17, s17
	s_delay_alu instid0(SALU_CYCLE_1)
	v_mov_b32_e32 v2, s17
	ds_add_u64 v0, v[2:3]
	s_cbranch_execnz .LBB2_7761
.LBB2_6899:                             ;   in Loop: Header=BB2_6839 Depth=3
	s_or_b32 exec_lo, exec_lo, s16
	s_cbranch_execnz .LBB2_7739
; %bb.6900:                             ;   in Loop: Header=BB2_6839 Depth=3
	ds_load_b64 v[9:10], v0
	v_add_co_u32 v12, vcc_lo, v12, v71
	v_add_co_ci_u32_e32 v13, vcc_lo, 0, v13, vcc_lo
	s_mov_b32 s16, exec_lo
	s_waitcnt lgkmcnt(0)
	s_delay_alu instid0(VALU_DEP_1)
	v_cmpx_lt_u64_e64 v[9:10], v[12:13]
	s_cbranch_execz .LBB2_6911
; %bb.6901:                             ;   in Loop: Header=BB2_6839 Depth=3
	s_mov_b32 s17, 0
	s_mov_b32 s42, 0
                                        ; implicit-def: $sgpr40
                                        ; implicit-def: $sgpr41
	s_branch .LBB2_6903
.LBB2_6902:                             ;   in Loop: Header=BB2_6903 Depth=4
	s_or_b32 exec_lo, exec_lo, s44
	s_delay_alu instid0(SALU_CYCLE_1) | instskip(NEXT) | instid1(SALU_CYCLE_1)
	s_and_b32 vcc_lo, exec_lo, vcc_lo
	s_or_b32 s17, vcc_lo, s17
	s_and_not1_b32 vcc_lo, s40, exec_lo
	s_and_b32 s40, s41, exec_lo
	s_delay_alu instid0(SALU_CYCLE_1)
	s_or_b32 s40, vcc_lo, s40
	s_and_not1_b32 exec_lo, exec_lo, s17
	s_cbranch_execz .LBB2_6909
.LBB2_6903:                             ;   Parent Loop BB2_51 Depth=1
                                        ;     Parent Loop BB2_6837 Depth=2
                                        ;       Parent Loop BB2_6839 Depth=3
                                        ; =>      This Inner Loop Header: Depth=4
	s_add_i32 s42, s42, 1
                                        ; implicit-def: $sgpr44
	s_delay_alu instid0(SALU_CYCLE_1) | instskip(SKIP_1) | instid1(SALU_CYCLE_1)
	s_cmpk_lg_i32 s42, 0x2710
	s_cselect_b32 s43, -1, 0
	s_and_b32 vcc_lo, exec_lo, s43
	s_cbranch_vccz .LBB2_6907
.LBB2_6904:                             ;   in Loop: Header=BB2_6903 Depth=4
	s_and_not1_b32 s41, s41, exec_lo
	s_and_b32 s44, s44, exec_lo
	s_mov_b32 vcc_lo, -1
	s_or_b32 s41, s41, s44
	s_and_saveexec_b32 s44, s43
	s_cbranch_execz .LBB2_6902
; %bb.6905:                             ;   in Loop: Header=BB2_6903 Depth=4
	s_sleep 1
	s_cbranch_execnz .LBB2_7825
; %bb.6906:                             ;   in Loop: Header=BB2_6903 Depth=4
	ds_load_b64 v[9:10], v0
	s_and_not1_b32 s41, s41, exec_lo
	s_waitcnt lgkmcnt(0)
	v_cmp_ge_u64_e32 vcc_lo, v[9:10], v[12:13]
	s_or_not1_b32 vcc_lo, vcc_lo, exec_lo
	s_branch .LBB2_6902
.LBB2_6907:                             ;   in Loop: Header=BB2_6903 Depth=4
	s_cbranch_execnz .LBB2_7835
; %bb.6908:                             ;   in Loop: Header=BB2_6903 Depth=4
	ds_load_b64 v[9:10], v0
	s_and_not1_b32 s43, s43, exec_lo
	s_mov_b32 s42, 0
	s_mov_b32 s44, -1
	s_waitcnt lgkmcnt(0)
	flat_load_b32 v2, v[9:10] glc
	s_waitcnt vmcnt(0) lgkmcnt(0)
	buffer_gl1_inv
	buffer_gl0_inv
	v_cmp_eq_u32_e32 vcc_lo, 0, v2
	s_and_b32 vcc_lo, vcc_lo, exec_lo
	s_delay_alu instid0(SALU_CYCLE_1)
	s_or_b32 s43, s43, vcc_lo
	s_branch .LBB2_6904
.LBB2_6909:                             ;   in Loop: Header=BB2_6839 Depth=3
	s_or_b32 exec_lo, exec_lo, s17
	s_and_saveexec_b32 s17, s40
	s_delay_alu instid0(SALU_CYCLE_1)
	s_xor_b32 s17, exec_lo, s17
	s_cbranch_execz .LBB2_6911
; %bb.6910:                             ;   in Loop: Header=BB2_6839 Depth=3
	ds_store_b32 v0, v115
	s_cbranch_execnz .LBB2_7925
.LBB2_6911:                             ;   in Loop: Header=BB2_6839 Depth=3
	s_or_b32 exec_lo, exec_lo, s16
	;;#ASMSTART
	s_wakeup
	;;#ASMEND
.LBB2_6912:                             ;   in Loop: Header=BB2_6839 Depth=3
	s_or_b32 exec_lo, exec_lo, s15
.LBB2_6913:                             ;   in Loop: Header=BB2_6839 Depth=3
	s_and_not1_saveexec_b32 s14, s14
	s_cbranch_execz .LBB2_6915
; %bb.6914:                             ;   in Loop: Header=BB2_6839 Depth=3
	s_waitcnt lgkmcnt(0)
	s_waitcnt_vscnt null, 0x0
	buffer_gl1_inv
	buffer_gl0_inv
	s_barrier
.LBB2_6915:                             ;   in Loop: Header=BB2_6839 Depth=3
	s_or_b32 exec_lo, exec_lo, s14
.LBB2_6916:                             ;   in Loop: Header=BB2_6839 Depth=3
	s_delay_alu instid0(SALU_CYCLE_1)
	s_or_b32 exec_lo, exec_lo, s13
	s_cbranch_execnz .LBB2_7603
; %bb.6917:                             ;   in Loop: Header=BB2_6839 Depth=3
	ds_load_b64 v[9:10], v0
	v_mov_b32_e32 v65, 0
	s_waitcnt lgkmcnt(0)
	v_cmp_eq_u64_e32 vcc_lo, 0, v[9:10]
	s_or_b32 s13, vcc_lo, vcc_lo
	s_delay_alu instid0(SALU_CYCLE_1)
	s_and_b32 vcc_lo, exec_lo, s13
	s_cbranch_vccnz .LBB2_6994
; %bb.6918:                             ;   in Loop: Header=BB2_6839 Depth=3
	v_cmp_eq_u32_e32 vcc_lo, 0, v8
	s_cbranch_execnz .LBB2_7683
; %bb.6919:                             ;   in Loop: Header=BB2_6839 Depth=3
	ds_load_b64 v[8:9], v0
	v_cndmask_b32_e32 v65, 0, v50, vcc_lo
	s_waitcnt lgkmcnt(0)
	v_cmp_ne_u64_e64 s13, 0, v[8:9]
	s_delay_alu instid0(VALU_DEP_1)
	s_and_b32 vcc_lo, exec_lo, s13
	s_cbranch_vccz .LBB2_6959
; %bb.6920:                             ;   in Loop: Header=BB2_6839 Depth=3
	s_mov_b32 s13, -1
	s_and_saveexec_b32 s14, s6
	s_cbranch_execz .LBB2_6922
; %bb.6921:                             ;   in Loop: Header=BB2_6839 Depth=3
	ds_load_b32 v2, v0 offset:720
	s_waitcnt lgkmcnt(0)
	v_and_b32_e32 v2, 15, v2
	s_delay_alu instid0(VALU_DEP_1)
	v_cmp_eq_u32_e32 vcc_lo, 0, v2
	s_or_not1_b32 s13, vcc_lo, exec_lo
.LBB2_6922:                             ;   in Loop: Header=BB2_6839 Depth=3
	s_or_b32 exec_lo, exec_lo, s14
	s_and_saveexec_b32 s14, s12
	s_cbranch_execz .LBB2_6924
; %bb.6923:                             ;   in Loop: Header=BB2_6839 Depth=3
	ds_load_b32 v2, v0 offset:784
	s_waitcnt lgkmcnt(0)
	v_and_b32_e32 v2, 15, v2
	s_delay_alu instid0(VALU_DEP_1) | instskip(SKIP_3) | instid1(SALU_CYCLE_1)
	v_cmp_eq_u32_e32 vcc_lo, 0, v2
	s_and_b32 s15, s13, vcc_lo
	s_and_not1_b32 s13, s13, exec_lo
	s_and_b32 s15, s15, exec_lo
	s_or_b32 s13, s13, s15
.LBB2_6924:                             ;   in Loop: Header=BB2_6839 Depth=3
	s_or_b32 exec_lo, exec_lo, s14
	s_xor_b32 s13, s13, -1
	v_mov_b32_e32 v66, v65
	v_cndmask_b32_e64 v2, 0, 1, s13
	;;#ASMSTART
	;;#ASMEND
	s_delay_alu instid0(VALU_DEP_1)
	v_cmp_ne_u32_e32 vcc_lo, 0, v2
	v_dual_mov_b32 v2, 0 :: v_dual_mov_b32 v67, v0
	v_mov_b32_e32 v8, v80
	s_mov_b32 s14, -1
	s_cbranch_vccnz .LBB2_6944
; %bb.6925:                             ;   in Loop: Header=BB2_6839 Depth=3
	v_ashrrev_i32_e32 v2, 31, v65
	s_mov_b32 s16, exec_lo
	s_delay_alu instid0(VALU_DEP_1) | instskip(NEXT) | instid1(VALU_DEP_1)
	v_lshrrev_b32_e32 v2, 23, v2
	v_add_nc_u32_e32 v2, v65, v2
	s_delay_alu instid0(VALU_DEP_1) | instskip(SKIP_2) | instid1(VALU_DEP_3)
	v_and_b32_e32 v118, 0xfffffe00, v2
	v_ashrrev_i32_e32 v8, 9, v2
	v_sub_nc_u32_e32 v2, v65, v112
	v_sub_nc_u32_e32 v128, v65, v118
	s_delay_alu instid0(VALU_DEP_1) | instskip(NEXT) | instid1(VALU_DEP_1)
	v_cmp_lt_i32_e64 s13, 15, v128
	v_add_co_ci_u32_e64 v129, vcc_lo, v8, v113, s13
	s_delay_alu instid0(VALU_DEP_4)
	v_cmpx_lt_i32_e32 15, v2
	s_cbranch_execz .LBB2_6932
; %bb.6926:                             ;   in Loop: Header=BB2_6839 Depth=3
	s_cbranch_execnz .LBB2_7853
; %bb.6927:                             ;   in Loop: Header=BB2_6839 Depth=3
	ds_load_b64 v[51:52], v0
	ds_load_b128 v[8:11], v0
	s_mov_b32 s17, 0
	s_waitcnt lgkmcnt(1)
	v_add_co_u32 v51, vcc_lo, v51, v112
	v_add_co_ci_u32_e32 v52, vcc_lo, v52, v114, vcc_lo
	s_waitcnt lgkmcnt(0)
	v_add_co_u32 v66, vcc_lo, v8, v112
	v_add_co_ci_u32_e32 v67, vcc_lo, v9, v114, vcc_lo
	v_add_co_u32 v119, vcc_lo, v10, v112
	v_add_co_ci_u32_e32 v130, vcc_lo, v11, v114, vcc_lo
.LBB2_6928:                             ;   Parent Loop BB2_51 Depth=1
                                        ;     Parent Loop BB2_6837 Depth=2
                                        ;       Parent Loop BB2_6839 Depth=3
                                        ; =>      This Loop Header: Depth=4
                                        ;           Child Loop BB2_6929 Depth 5
	global_load_b128 v[8:11], v[51:52], off slc dlc
	s_mov_b64 s[14:15], 0
	s_mov_b32 s40, -1
.LBB2_6929:                             ;   Parent Loop BB2_51 Depth=1
                                        ;     Parent Loop BB2_6837 Depth=2
                                        ;       Parent Loop BB2_6839 Depth=3
                                        ;         Parent Loop BB2_6928 Depth=4
                                        ; =>        This Inner Loop Header: Depth=5
	s_cmp_eq_u32 s14, 0
	v_cndmask_b32_e64 v133, 0, 1, s40
	s_cselect_b32 vcc_lo, -1, 0
	s_cmp_eq_u32 s14, 1
	s_mov_b32 s40, 0
	s_cselect_b32 s14, -1, 0
	s_delay_alu instid0(SALU_CYCLE_1) | instskip(SKIP_1) | instid1(VALU_DEP_2)
	v_cndmask_b32_e64 v131, v66, v119, s14
	v_cndmask_b32_e64 v132, v67, v130, s14
	v_add_co_u32 v134, s15, 0x200, v131
	s_delay_alu instid0(VALU_DEP_1) | instskip(SKIP_1) | instid1(VALU_DEP_3)
	v_add_co_ci_u32_e64 v135, s15, 0, v132, s15
	v_cmp_ne_u32_e64 s15, 1, v133
	v_cndmask_b32_e64 v119, v119, v134, s14
	v_cndmask_b32_e32 v66, v66, v134, vcc_lo
	s_delay_alu instid0(VALU_DEP_4)
	v_cndmask_b32_e64 v130, v130, v135, s14
	v_cndmask_b32_e32 v67, v67, v135, vcc_lo
	s_and_b32 vcc_lo, exec_lo, s15
	s_mov_b64 s[14:15], 1
	s_waitcnt vmcnt(0)
	global_store_b128 v[131:132], v[8:11], off glc slc dlc
	s_cbranch_vccz .LBB2_6929
; %bb.6930:                             ;   in Loop: Header=BB2_6928 Depth=4
	v_add_co_u32 v66, vcc_lo, v66, v83
	v_sub_nc_u32_e32 v2, v2, v82
	v_add_co_ci_u32_e32 v67, vcc_lo, v67, v86, vcc_lo
	v_add_co_u32 v119, vcc_lo, v119, v83
	v_add_co_ci_u32_e32 v130, vcc_lo, v130, v86, vcc_lo
	s_delay_alu instid0(VALU_DEP_4) | instskip(SKIP_1) | instid1(VALU_DEP_1)
	v_cmp_gt_i32_e32 vcc_lo, 16, v2
	v_add_co_u32 v51, s14, v96, v51
	v_add_co_ci_u32_e64 v52, s14, v97, v52, s14
	v_sub_nc_u32_e32 v129, v129, v71
	s_or_b32 s17, vcc_lo, s17
	s_delay_alu instid0(SALU_CYCLE_1)
	s_and_not1_b32 exec_lo, exec_lo, s17
	s_cbranch_execnz .LBB2_6928
; %bb.6931:                             ;   in Loop: Header=BB2_6839 Depth=3
	s_or_b32 exec_lo, exec_lo, s17
.LBB2_6932:                             ;   in Loop: Header=BB2_6839 Depth=3
	s_delay_alu instid0(SALU_CYCLE_1) | instskip(SKIP_3) | instid1(VALU_DEP_1)
	s_or_b32 exec_lo, exec_lo, s16
	v_dual_mov_b32 v2, 0 :: v_dual_and_b32 v9, 15, v65
	s_mov_b32 s14, 0
	s_mov_b32 s16, exec_lo
                                        ; implicit-def: $vgpr66
                                        ; implicit-def: $vgpr67
                                        ; implicit-def: $vgpr8
	v_cndmask_b32_e64 v119, v128, v9, s13
	s_delay_alu instid0(VALU_DEP_1)
	v_cmpx_ne_u32_e32 0, v119
	s_cbranch_execz .LBB2_6943
; %bb.6933:                             ;   in Loop: Header=BB2_6839 Depth=3
	v_cmp_lt_i32_e32 vcc_lo, 0, v129
	v_ashrrev_i32_e32 v10, 31, v119
	v_sub_nc_u32_e32 v9, v128, v9
	s_mov_b32 s17, exec_lo
	v_cndmask_b32_e32 v2, 0, v71, vcc_lo
	s_delay_alu instid0(VALU_DEP_3) | instskip(NEXT) | instid1(VALU_DEP_3)
	v_lshrrev_b32_e32 v10, 23, v10
	v_cndmask_b32_e64 v9, 0, v9, s13
	s_delay_alu instid0(VALU_DEP_3) | instskip(NEXT) | instid1(VALU_DEP_3)
	v_sub_nc_u32_e32 v2, v2, v129
	v_add_nc_u32_e32 v10, v119, v10
	s_delay_alu instid0(VALU_DEP_3) | instskip(NEXT) | instid1(VALU_DEP_3)
	v_add_nc_u32_e32 v118, v9, v118
	v_lshl_add_u32 v2, v2, 5, v81
	s_delay_alu instid0(VALU_DEP_3) | instskip(SKIP_1) | instid1(VALU_DEP_3)
	v_and_b32_e32 v129, 0xfffffe00, v10
	v_ashrrev_i32_e32 v10, 9, v10
	v_ashrrev_i32_e32 v8, 31, v2
	s_delay_alu instid0(VALU_DEP_3) | instskip(NEXT) | instid1(VALU_DEP_2)
	v_sub_nc_u32_e32 v128, v119, v129
	v_lshrrev_b32_e32 v8, 27, v8
	s_delay_alu instid0(VALU_DEP_2) | instskip(NEXT) | instid1(VALU_DEP_2)
	v_cmp_lt_i32_e64 s13, 15, v128
	v_add_nc_u32_e32 v8, v2, v8
	s_delay_alu instid0(VALU_DEP_2) | instskip(NEXT) | instid1(VALU_DEP_2)
	v_add_co_ci_u32_e64 v10, vcc_lo, 0, v10, s13
	v_and_b32_e32 v11, 0xffffffe0, v8
	s_delay_alu instid0(VALU_DEP_1) | instskip(SKIP_1) | instid1(VALU_DEP_2)
	v_sub_nc_u32_e32 v130, v2, v11
	v_ashrrev_i32_e32 v11, 5, v8
	v_lshlrev_b32_e32 v2, 4, v130
	s_delay_alu instid0(VALU_DEP_2) | instskip(NEXT) | instid1(VALU_DEP_2)
	v_sub_nc_u32_e32 v131, v10, v11
	v_lshl_add_u32 v8, v11, 9, v2
	s_delay_alu instid0(VALU_DEP_1) | instskip(NEXT) | instid1(VALU_DEP_1)
	v_sub_nc_u32_e32 v2, v119, v8
	v_cmpx_lt_i32_e32 15, v2
	s_cbranch_execz .LBB2_6940
; %bb.6934:                             ;   in Loop: Header=BB2_6839 Depth=3
	s_cbranch_execnz .LBB2_7893
; %bb.6935:                             ;   in Loop: Header=BB2_6839 Depth=3
	ds_load_b64 v[9:10], v0
	ds_load_b128 v[132:135], v0
	v_add_nc_u32_e32 v8, v8, v118
	s_mov_b32 s40, 0
	s_delay_alu instid0(VALU_DEP_1) | instskip(SKIP_2) | instid1(VALU_DEP_2)
	v_ashrrev_i32_e32 v11, 31, v8
	s_waitcnt lgkmcnt(1)
	v_add_co_u32 v51, vcc_lo, v9, v8
	v_add_co_ci_u32_e32 v52, vcc_lo, v10, v11, vcc_lo
	s_waitcnt lgkmcnt(0)
	v_add_co_u32 v66, vcc_lo, v132, v8
	v_add_co_ci_u32_e32 v67, vcc_lo, v133, v11, vcc_lo
	v_add_co_u32 v132, vcc_lo, v134, v8
	v_add_co_ci_u32_e32 v133, vcc_lo, v135, v11, vcc_lo
.LBB2_6936:                             ;   Parent Loop BB2_51 Depth=1
                                        ;     Parent Loop BB2_6837 Depth=2
                                        ;       Parent Loop BB2_6839 Depth=3
                                        ; =>      This Loop Header: Depth=4
                                        ;           Child Loop BB2_6937 Depth 5
	global_load_b128 v[8:11], v[51:52], off slc dlc
	s_mov_b64 s[14:15], 0
	s_mov_b32 s41, -1
.LBB2_6937:                             ;   Parent Loop BB2_51 Depth=1
                                        ;     Parent Loop BB2_6837 Depth=2
                                        ;       Parent Loop BB2_6839 Depth=3
                                        ;         Parent Loop BB2_6936 Depth=4
                                        ; =>        This Inner Loop Header: Depth=5
	s_cmp_eq_u32 s14, 0
	v_cndmask_b32_e64 v144, 0, 1, s41
	s_cselect_b32 vcc_lo, -1, 0
	s_cmp_eq_u32 s14, 1
	s_mov_b32 s41, 0
	s_cselect_b32 s14, -1, 0
	s_delay_alu instid0(SALU_CYCLE_1) | instskip(SKIP_1) | instid1(VALU_DEP_2)
	v_cndmask_b32_e64 v134, v66, v132, s14
	v_cndmask_b32_e64 v135, v67, v133, s14
	v_add_co_u32 v145, s15, 0x200, v134
	s_delay_alu instid0(VALU_DEP_1) | instskip(SKIP_1) | instid1(VALU_DEP_3)
	v_add_co_ci_u32_e64 v146, s15, 0, v135, s15
	v_cmp_ne_u32_e64 s15, 1, v144
	v_cndmask_b32_e64 v132, v132, v145, s14
	v_cndmask_b32_e32 v66, v66, v145, vcc_lo
	s_delay_alu instid0(VALU_DEP_4)
	v_cndmask_b32_e64 v133, v133, v146, s14
	v_cndmask_b32_e32 v67, v67, v146, vcc_lo
	s_and_b32 vcc_lo, exec_lo, s15
	s_mov_b64 s[14:15], 1
	s_waitcnt vmcnt(0)
	global_store_b128 v[134:135], v[8:11], off glc slc dlc
	s_cbranch_vccz .LBB2_6937
; %bb.6938:                             ;   in Loop: Header=BB2_6936 Depth=4
	v_add_co_u32 v66, vcc_lo, v66, v83
	v_sub_nc_u32_e32 v2, v2, v82
	v_add_co_ci_u32_e32 v67, vcc_lo, v67, v86, vcc_lo
	v_add_co_u32 v132, vcc_lo, v132, v83
	v_add_co_ci_u32_e32 v133, vcc_lo, v133, v86, vcc_lo
	s_delay_alu instid0(VALU_DEP_4) | instskip(SKIP_1) | instid1(VALU_DEP_1)
	v_cmp_gt_i32_e32 vcc_lo, 16, v2
	v_add_co_u32 v51, s14, v96, v51
	v_add_co_ci_u32_e64 v52, s14, v97, v52, s14
	v_sub_nc_u32_e32 v131, v131, v71
	s_or_b32 s40, vcc_lo, s40
	s_delay_alu instid0(SALU_CYCLE_1)
	s_and_not1_b32 exec_lo, exec_lo, s40
	s_cbranch_execnz .LBB2_6936
; %bb.6939:                             ;   in Loop: Header=BB2_6839 Depth=3
	s_or_b32 exec_lo, exec_lo, s40
.LBB2_6940:                             ;   in Loop: Header=BB2_6839 Depth=3
	s_delay_alu instid0(SALU_CYCLE_1) | instskip(SKIP_3) | instid1(VALU_DEP_1)
	s_or_b32 exec_lo, exec_lo, s17
	v_dual_mov_b32 v2, 0 :: v_dual_and_b32 v9, 15, v119
	s_mov_b32 s14, 0
	s_mov_b32 s15, exec_lo
                                        ; implicit-def: $vgpr67
                                        ; implicit-def: $vgpr8
	v_cndmask_b32_e64 v66, v128, v9, s13
	s_delay_alu instid0(VALU_DEP_1)
	v_cmpx_ne_u32_e32 0, v66
	s_cbranch_execz .LBB2_6942
; %bb.6941:                             ;   in Loop: Header=BB2_6839 Depth=3
	v_cmp_lt_i32_e32 vcc_lo, 0, v131
	v_sub_nc_u32_e32 v8, v128, v9
	s_mov_b32 s14, exec_lo
	v_cndmask_b32_e32 v2, 0, v71, vcc_lo
	s_delay_alu instid0(VALU_DEP_2) | instskip(NEXT) | instid1(VALU_DEP_2)
	v_cndmask_b32_e64 v8, 0, v8, s13
	v_sub_nc_u32_e32 v2, v2, v131
	s_delay_alu instid0(VALU_DEP_1) | instskip(NEXT) | instid1(VALU_DEP_1)
	v_lshl_add_u32 v67, v2, 5, v130
	v_ashrrev_i32_e32 v2, 31, v67
	s_delay_alu instid0(VALU_DEP_1) | instskip(NEXT) | instid1(VALU_DEP_1)
	v_lshrrev_b32_e32 v2, 27, v2
	v_add_nc_u32_e32 v9, v67, v2
	v_add3_u32 v2, v129, v118, v8
	s_delay_alu instid0(VALU_DEP_2)
	v_ashrrev_i32_e32 v8, 5, v9
.LBB2_6942:                             ;   in Loop: Header=BB2_6839 Depth=3
	s_or_b32 exec_lo, exec_lo, s15
	s_delay_alu instid0(SALU_CYCLE_1)
	s_and_b32 s14, s14, exec_lo
.LBB2_6943:                             ;   in Loop: Header=BB2_6839 Depth=3
	s_or_b32 exec_lo, exec_lo, s16
.LBB2_6944:                             ;   in Loop: Header=BB2_6839 Depth=3
	s_and_saveexec_b32 s15, s14
	s_cbranch_execz .LBB2_6958
; %bb.6945:                             ;   in Loop: Header=BB2_6839 Depth=3
	v_ashrrev_i32_e32 v9, 31, v66
	s_mov_b32 s14, exec_lo
	s_delay_alu instid0(VALU_DEP_1) | instskip(NEXT) | instid1(VALU_DEP_1)
	v_lshrrev_b32_e32 v9, 24, v9
	v_add_nc_u32_e32 v9, v66, v9
	s_delay_alu instid0(VALU_DEP_1) | instskip(NEXT) | instid1(VALU_DEP_1)
	v_ashrrev_i32_e32 v119, 8, v9
	v_sub_nc_u32_e32 v118, v119, v8
	s_delay_alu instid0(VALU_DEP_1)
	v_cmpx_lt_i32_e32 0, v118
	s_cbranch_execz .LBB2_6950
; %bb.6946:                             ;   in Loop: Header=BB2_6839 Depth=3
	s_cbranch_execnz .LBB2_7847
; %bb.6947:                             ;   in Loop: Header=BB2_6839 Depth=3
	v_ashrrev_i32_e32 v9, 31, v67
	v_lshlrev_b32_e32 v8, 8, v8
	s_mov_b32 s16, 0
	ds_load_b128 v[128:131], v0
	v_lshrrev_b32_e32 v9, 27, v9
	s_delay_alu instid0(VALU_DEP_1) | instskip(SKIP_2) | instid1(VALU_DEP_1)
	v_add_nc_u32_e32 v11, v67, v9
	ds_load_b64 v[9:10], v0
	v_and_b32_e32 v11, 0xffffffe0, v11
	v_sub_nc_u32_e32 v11, v67, v11
	s_delay_alu instid0(VALU_DEP_1) | instskip(NEXT) | instid1(VALU_DEP_1)
	v_add3_u32 v51, v2, v11, v8
	v_ashrrev_i32_e32 v52, 31, v51
	s_waitcnt lgkmcnt(0)
	v_add_co_u32 v132, vcc_lo, 0xe0, v9
	v_add_co_ci_u32_e32 v133, vcc_lo, 0, v10, vcc_lo
	v_add_co_u32 v8, vcc_lo, v128, v51
	v_add_co_ci_u32_e32 v9, vcc_lo, v129, v52, vcc_lo
	;; [unrolled: 2-line block ×4, first 2 shown]
.LBB2_6948:                             ;   Parent Loop BB2_51 Depth=1
                                        ;     Parent Loop BB2_6837 Depth=2
                                        ;       Parent Loop BB2_6839 Depth=3
                                        ; =>      This Inner Loop Header: Depth=4
	s_delay_alu instid0(VALU_DEP_2) | instskip(NEXT) | instid1(VALU_DEP_2)
	v_add_co_u32 v128, vcc_lo, 0xffffff20, v51
	v_add_co_ci_u32_e32 v129, vcc_lo, -1, v52, vcc_lo
	v_add_co_u32 v130, vcc_lo, 0xffffff40, v51
	v_add_co_ci_u32_e32 v131, vcc_lo, -1, v52, vcc_lo
	;; [unrolled: 2-line block ×7, first 2 shown]
	flat_load_u8 v150, v[51:52] slc dlc
	flat_load_u8 v128, v[128:129] slc dlc
	;; [unrolled: 1-line block ×8, first 2 shown]
	v_sub_nc_u32_e32 v118, v118, v71
	v_add_co_u32 v51, vcc_lo, v51, v99
	v_add_co_ci_u32_e32 v52, vcc_lo, v52, v100, vcc_lo
	s_delay_alu instid0(VALU_DEP_3)
	v_cmp_gt_i32_e32 vcc_lo, 1, v118
	s_waitcnt vmcnt(6) lgkmcnt(6)
	flat_store_b8 v[8:9], v128 glc slc dlc
	s_waitcnt vmcnt(5) lgkmcnt(6)
	flat_store_b8 v[8:9], v129 offset:32 glc slc dlc
	s_waitcnt vmcnt(4) lgkmcnt(6)
	flat_store_b8 v[8:9], v130 offset:64 glc slc dlc
	;; [unrolled: 2-line block ×5, first 2 shown]
	s_waitcnt vmcnt(0) lgkmcnt(6)
	s_clause 0x1
	flat_store_b8 v[8:9], v134 offset:192 glc slc dlc
	flat_store_b8 v[8:9], v150 offset:224 glc slc dlc
	s_clause 0x7
	flat_store_b8 v[10:11], v128 glc slc dlc
	flat_store_b8 v[10:11], v129 offset:32 glc slc dlc
	flat_store_b8 v[10:11], v130 offset:64 glc slc dlc
	flat_store_b8 v[10:11], v131 offset:96 glc slc dlc
	flat_store_b8 v[10:11], v132 offset:128 glc slc dlc
	flat_store_b8 v[10:11], v133 offset:160 glc slc dlc
	flat_store_b8 v[10:11], v134 offset:192 glc slc dlc
	flat_store_b8 v[10:11], v150 offset:224 glc slc dlc
	v_add_co_u32 v8, s13, v8, v99
	s_delay_alu instid0(VALU_DEP_1) | instskip(SKIP_1) | instid1(VALU_DEP_1)
	v_add_co_ci_u32_e64 v9, s13, v9, v100, s13
	v_add_co_u32 v10, s13, v10, v99
	v_add_co_ci_u32_e64 v11, s13, v11, v100, s13
	s_or_b32 s16, vcc_lo, s16
	s_delay_alu instid0(SALU_CYCLE_1)
	s_and_not1_b32 exec_lo, exec_lo, s16
	s_cbranch_execnz .LBB2_6948
; %bb.6949:                             ;   in Loop: Header=BB2_6839 Depth=3
	s_or_b32 exec_lo, exec_lo, s16
.LBB2_6950:                             ;   in Loop: Header=BB2_6839 Depth=3
	s_delay_alu instid0(SALU_CYCLE_1) | instskip(SKIP_2) | instid1(VALU_DEP_1)
	s_or_b32 exec_lo, exec_lo, s14
	v_lshlrev_b32_e32 v8, 8, v119
	s_mov_b32 s40, exec_lo
	v_cmpx_ne_u32_e64 v66, v8
	s_cbranch_execz .LBB2_6957
; %bb.6951:                             ;   in Loop: Header=BB2_6839 Depth=3
	v_ashrrev_i32_e32 v9, 31, v67
	v_lshlrev_b32_e32 v10, 5, v118
	s_delay_alu instid0(VALU_DEP_2) | instskip(NEXT) | instid1(VALU_DEP_1)
	v_lshrrev_b32_e32 v9, 27, v9
	v_add_nc_u32_e32 v9, v67, v9
	s_delay_alu instid0(VALU_DEP_1) | instskip(NEXT) | instid1(VALU_DEP_1)
	v_and_b32_e32 v9, 0xffffffe0, v9
	v_sub_nc_u32_e32 v9, v67, v9
	s_delay_alu instid0(VALU_DEP_1) | instskip(NEXT) | instid1(VALU_DEP_1)
	v_sub_nc_u32_e32 v9, v9, v10
	v_add_nc_u32_e32 v8, v8, v9
	s_delay_alu instid0(VALU_DEP_1) | instskip(NEXT) | instid1(VALU_DEP_1)
	v_sub_nc_u32_e32 v10, v66, v8
	v_cmp_lt_i32_e32 vcc_lo, 0, v10
	s_and_b32 exec_lo, exec_lo, vcc_lo
	s_cbranch_execz .LBB2_6957
; %bb.6952:                             ;   in Loop: Header=BB2_6839 Depth=3
	s_cbranch_execnz .LBB2_7887
; %bb.6953:                             ;   in Loop: Header=BB2_6839 Depth=3
	ds_load_b64 v[51:52], v0
	ds_load_b128 v[128:131], v0
	v_add_nc_u32_e32 v66, v8, v2
	s_mov_b32 s41, 0
	s_delay_alu instid0(VALU_DEP_1) | instskip(SKIP_2) | instid1(VALU_DEP_2)
	v_ashrrev_i32_e32 v67, 31, v66
	s_waitcnt lgkmcnt(1)
	v_add_co_u32 v8, vcc_lo, v51, v66
	v_add_co_ci_u32_e32 v9, vcc_lo, v52, v67, vcc_lo
	s_waitcnt lgkmcnt(0)
	v_add_co_u32 v2, vcc_lo, v128, v66
	v_add_co_ci_u32_e32 v11, vcc_lo, v129, v67, vcc_lo
	v_add_co_u32 v51, vcc_lo, v130, v66
	v_add_co_ci_u32_e32 v52, vcc_lo, v131, v67, vcc_lo
	s_set_inst_prefetch_distance 0x1
.LBB2_6954:                             ;   Parent Loop BB2_51 Depth=1
                                        ;     Parent Loop BB2_6837 Depth=2
                                        ;       Parent Loop BB2_6839 Depth=3
                                        ; =>      This Loop Header: Depth=4
                                        ;           Child Loop BB2_6955 Depth 5
	flat_load_u8 v66, v[8:9] slc dlc
	s_mov_b64 s[16:17], 0
	s_mov_b32 s42, -1
.LBB2_6955:                             ;   Parent Loop BB2_51 Depth=1
                                        ;     Parent Loop BB2_6837 Depth=2
                                        ;       Parent Loop BB2_6839 Depth=3
                                        ;         Parent Loop BB2_6954 Depth=4
                                        ; =>        This Inner Loop Header: Depth=5
	s_cmp_eq_u32 s16, 1
	s_cselect_b32 vcc_lo, -1, 0
	s_cmp_eq_u32 s16, 0
	v_dual_cndmask_b32 v119, v11, v52 :: v_dual_cndmask_b32 v118, v2, v51
	s_mov_b64 s[16:17], 1
	s_delay_alu instid0(VALU_DEP_1) | instskip(NEXT) | instid1(VALU_DEP_1)
	v_add_co_u32 v67, s13, v118, 32
	v_add_co_ci_u32_e64 v128, s13, 0, v119, s13
	s_cselect_b32 s13, -1, 0
	s_and_b32 s14, exec_lo, s42
	s_delay_alu instid0(VALU_DEP_1)
	v_dual_cndmask_b32 v51, v51, v67 :: v_dual_cndmask_b32 v52, v52, v128
	v_cndmask_b32_e64 v11, v11, v128, s13
	v_cndmask_b32_e64 v2, v2, v67, s13
	s_mov_b32 s42, 0
	s_mov_b32 vcc_lo, s14
	s_waitcnt vmcnt(0) lgkmcnt(0)
	flat_store_b8 v[118:119], v66 glc slc dlc
	s_cbranch_vccnz .LBB2_6955
; %bb.6956:                             ;   in Loop: Header=BB2_6954 Depth=4
	v_add_co_u32 v2, vcc_lo, v2, v98
	v_sub_nc_u32_e32 v10, v10, v87
	v_add_co_ci_u32_e32 v11, vcc_lo, v11, v101, vcc_lo
	v_add_co_u32 v51, vcc_lo, v51, v98
	v_add_co_ci_u32_e32 v52, vcc_lo, v52, v101, vcc_lo
	s_delay_alu instid0(VALU_DEP_4) | instskip(SKIP_1) | instid1(VALU_DEP_1)
	v_cmp_gt_i32_e32 vcc_lo, 1, v10
	v_add_co_u32 v8, s13, v102, v8
	v_add_co_ci_u32_e64 v9, s13, v103, v9, s13
	s_or_b32 s41, vcc_lo, s41
	s_delay_alu instid0(SALU_CYCLE_1)
	s_and_not1_b32 exec_lo, exec_lo, s41
	s_cbranch_execnz .LBB2_6954
.LBB2_6957:                             ;   in Loop: Header=BB2_6839 Depth=3
	s_set_inst_prefetch_distance 0x2
	s_or_b32 exec_lo, exec_lo, s40
.LBB2_6958:                             ;   in Loop: Header=BB2_6839 Depth=3
	s_delay_alu instid0(SALU_CYCLE_1)
	s_or_b32 exec_lo, exec_lo, s15
	s_mov_b32 s13, 0
	s_branch .LBB2_6960
.LBB2_6959:                             ;   in Loop: Header=BB2_6839 Depth=3
	s_mov_b32 s13, -1
.LBB2_6960:                             ;   in Loop: Header=BB2_6839 Depth=3
	s_delay_alu instid0(SALU_CYCLE_1)
	s_and_b32 vcc_lo, exec_lo, s13
	s_cbranch_vccz .LBB2_6994
; %bb.6961:                             ;   in Loop: Header=BB2_6839 Depth=3
	s_mov_b32 s13, -1
	s_and_saveexec_b32 s14, s6
	s_cbranch_execz .LBB2_6963
; %bb.6962:                             ;   in Loop: Header=BB2_6839 Depth=3
	ds_load_b32 v2, v0 offset:720
	s_waitcnt lgkmcnt(0)
	v_and_b32_e32 v2, 15, v2
	s_delay_alu instid0(VALU_DEP_1)
	v_cmp_eq_u32_e32 vcc_lo, 0, v2
	s_or_not1_b32 s13, vcc_lo, exec_lo
.LBB2_6963:                             ;   in Loop: Header=BB2_6839 Depth=3
	s_or_b32 exec_lo, exec_lo, s14
	s_and_saveexec_b32 s14, s5
	s_cbranch_execz .LBB2_6965
; %bb.6964:                             ;   in Loop: Header=BB2_6839 Depth=3
	ds_load_b32 v2, v0 offset:784
	s_waitcnt lgkmcnt(0)
	v_and_b32_e32 v2, 15, v2
	s_delay_alu instid0(VALU_DEP_1) | instskip(SKIP_3) | instid1(SALU_CYCLE_1)
	v_cmp_eq_u32_e32 vcc_lo, 0, v2
	s_and_b32 s15, s13, vcc_lo
	s_and_not1_b32 s13, s13, exec_lo
	s_and_b32 s15, s15, exec_lo
	s_or_b32 s13, s13, s15
.LBB2_6965:                             ;   in Loop: Header=BB2_6839 Depth=3
	s_or_b32 exec_lo, exec_lo, s14
	s_xor_b32 s13, s13, -1
	v_mov_b32_e32 v52, v0
	v_cndmask_b32_e64 v2, 0, 1, s13
	;;#ASMSTART
	;;#ASMEND
	s_delay_alu instid0(VALU_DEP_1)
	v_cmp_ne_u32_e32 vcc_lo, 0, v2
	v_dual_mov_b32 v2, 0 :: v_dual_mov_b32 v51, v65
	v_mov_b32_e32 v118, v80
	s_mov_b32 s13, -1
	s_cbranch_vccnz .LBB2_6981
; %bb.6966:                             ;   in Loop: Header=BB2_6839 Depth=3
	v_ashrrev_i32_e32 v2, 31, v65
	s_mov_b32 s14, exec_lo
	s_delay_alu instid0(VALU_DEP_1) | instskip(NEXT) | instid1(VALU_DEP_1)
	v_lshrrev_b32_e32 v2, 22, v2
	v_add_nc_u32_e32 v2, v65, v2
	s_delay_alu instid0(VALU_DEP_1) | instskip(NEXT) | instid1(VALU_DEP_1)
	v_ashrrev_i32_e32 v2, 10, v2
	v_sub_nc_u32_e32 v66, v2, v80
	s_delay_alu instid0(VALU_DEP_1)
	v_cmpx_lt_i32_e32 0, v66
	s_cbranch_execz .LBB2_6971
; %bb.6967:                             ;   in Loop: Header=BB2_6839 Depth=3
	s_cbranch_execnz .LBB2_7871
; %bb.6968:                             ;   in Loop: Header=BB2_6839 Depth=3
	ds_load_b64 v[8:9], v0
	v_dual_mov_b32 v10, v34 :: v_dual_mov_b32 v11, v35
	s_mov_b32 s15, 0
.LBB2_6969:                             ;   Parent Loop BB2_51 Depth=1
                                        ;     Parent Loop BB2_6837 Depth=2
                                        ;       Parent Loop BB2_6839 Depth=3
                                        ; =>      This Inner Loop Header: Depth=4
	s_waitcnt lgkmcnt(0)
	s_delay_alu instid0(VALU_DEP_1) | instskip(NEXT) | instid1(VALU_DEP_2)
	v_add_co_u32 v51, vcc_lo, v8, v10
	v_add_co_ci_u32_e32 v52, vcc_lo, v9, v11, vcc_lo
	v_sub_nc_u32_e32 v66, v66, v71
	v_add_co_u32 v10, s13, v10, v84
	s_clause 0x1
	global_load_b128 v[128:131], v[51:52], off slc dlc
	global_load_b128 v[132:135], v[51:52], off offset:512 slc dlc
	v_add_co_ci_u32_e64 v11, s13, v11, v85, s13
	v_cmp_gt_i32_e32 vcc_lo, 1, v66
	s_waitcnt vmcnt(1)
	global_store_b128 v[51:52], v[128:131], off glc slc dlc
	s_waitcnt vmcnt(0)
	global_store_b128 v[51:52], v[132:135], off offset:512 glc slc dlc
	s_or_b32 s15, vcc_lo, s15
	s_delay_alu instid0(SALU_CYCLE_1)
	s_and_not1_b32 exec_lo, exec_lo, s15
	s_cbranch_execnz .LBB2_6969
; %bb.6970:                             ;   in Loop: Header=BB2_6839 Depth=3
	s_or_b32 exec_lo, exec_lo, s15
.LBB2_6971:                             ;   in Loop: Header=BB2_6839 Depth=3
	s_delay_alu instid0(SALU_CYCLE_1) | instskip(SKIP_4) | instid1(VALU_DEP_2)
	s_or_b32 exec_lo, exec_lo, s14
	v_lshlrev_b32_e32 v10, 10, v2
	v_mov_b32_e32 v2, 0
	s_mov_b32 s13, 0
	s_mov_b32 s15, exec_lo
                                        ; implicit-def: $vgpr51
                                        ; implicit-def: $vgpr52
                                        ; implicit-def: $vgpr118
	v_cmpx_ne_u32_e64 v65, v10
	s_cbranch_execz .LBB2_6980
; %bb.6972:                             ;   in Loop: Header=BB2_6839 Depth=3
	v_lshlrev_b32_e32 v2, 5, v66
	v_sub_nc_u32_e32 v9, v65, v10
	s_mov_b32 s16, exec_lo
	s_delay_alu instid0(VALU_DEP_2) | instskip(NEXT) | instid1(VALU_DEP_2)
	v_sub_nc_u32_e32 v2, v81, v2
	v_ashrrev_i32_e32 v11, 31, v9
	s_delay_alu instid0(VALU_DEP_2) | instskip(NEXT) | instid1(VALU_DEP_2)
	v_ashrrev_i32_e32 v8, 31, v2
	v_lshrrev_b32_e32 v11, 23, v11
	s_delay_alu instid0(VALU_DEP_2) | instskip(NEXT) | instid1(VALU_DEP_2)
	v_lshrrev_b32_e32 v8, 27, v8
	v_add_nc_u32_e32 v52, v9, v11
	s_delay_alu instid0(VALU_DEP_2) | instskip(NEXT) | instid1(VALU_DEP_2)
	v_add_nc_u32_e32 v8, v2, v8
	v_and_b32_e32 v11, 0xfffffe00, v52
	v_ashrrev_i32_e32 v52, 9, v52
	s_delay_alu instid0(VALU_DEP_3) | instskip(NEXT) | instid1(VALU_DEP_3)
	v_and_b32_e32 v51, 0xffffffe0, v8
	v_sub_nc_u32_e32 v67, v9, v11
	v_ashrrev_i32_e32 v8, 5, v8
	s_delay_alu instid0(VALU_DEP_3) | instskip(NEXT) | instid1(VALU_DEP_3)
	v_sub_nc_u32_e32 v66, v2, v51
	v_cmp_lt_i32_e32 vcc_lo, 15, v67
	s_delay_alu instid0(VALU_DEP_2) | instskip(SKIP_1) | instid1(VALU_DEP_2)
	v_lshlrev_b32_e32 v2, 4, v66
	v_add_co_ci_u32_e64 v52, s13, 0, v52, vcc_lo
	v_lshl_add_u32 v51, v8, 9, v2
	s_delay_alu instid0(VALU_DEP_2) | instskip(NEXT) | instid1(VALU_DEP_2)
	v_sub_nc_u32_e32 v119, v52, v8
	v_sub_nc_u32_e32 v2, v9, v51
	s_delay_alu instid0(VALU_DEP_1)
	v_cmpx_lt_i32_e32 15, v2
	s_cbranch_execz .LBB2_6977
; %bb.6973:                             ;   in Loop: Header=BB2_6839 Depth=3
	s_cbranch_execnz .LBB2_7901
; %bb.6974:                             ;   in Loop: Header=BB2_6839 Depth=3
	ds_load_b64 v[8:9], v0
	v_add_nc_u32_e32 v51, v51, v10
	s_mov_b32 s17, 0
	s_delay_alu instid0(VALU_DEP_1)
	v_ashrrev_i32_e32 v52, 31, v51
.LBB2_6975:                             ;   Parent Loop BB2_51 Depth=1
                                        ;     Parent Loop BB2_6837 Depth=2
                                        ;       Parent Loop BB2_6839 Depth=3
                                        ; =>      This Inner Loop Header: Depth=4
	s_waitcnt lgkmcnt(0)
	v_add_co_u32 v132, s13, v8, v51
	s_delay_alu instid0(VALU_DEP_1)
	v_add_co_ci_u32_e64 v133, s13, v9, v52, s13
	v_sub_nc_u32_e32 v2, v2, v82
	v_add_co_u32 v51, s14, v51, v96
	global_load_b128 v[128:131], v[132:133], off slc dlc
	v_sub_nc_u32_e32 v119, v119, v71
	v_cmp_gt_i32_e64 s13, 16, v2
	v_add_co_ci_u32_e64 v52, s14, v52, v97, s14
	s_delay_alu instid0(VALU_DEP_2)
	s_or_b32 s17, s13, s17
	s_waitcnt vmcnt(0)
	global_store_b128 v[132:133], v[128:131], off glc slc dlc
	s_and_not1_b32 exec_lo, exec_lo, s17
	s_cbranch_execnz .LBB2_6975
; %bb.6976:                             ;   in Loop: Header=BB2_6839 Depth=3
	s_or_b32 exec_lo, exec_lo, s17
.LBB2_6977:                             ;   in Loop: Header=BB2_6839 Depth=3
	s_delay_alu instid0(SALU_CYCLE_1) | instskip(SKIP_3) | instid1(VALU_DEP_1)
	s_or_b32 exec_lo, exec_lo, s16
	v_and_b32_e32 v8, 15, v65
	s_mov_b32 s14, 0
	s_mov_b32 s16, exec_lo
                                        ; implicit-def: $vgpr52
                                        ; implicit-def: $vgpr118
	v_dual_mov_b32 v2, 0 :: v_dual_cndmask_b32 v51, v67, v8
	s_delay_alu instid0(VALU_DEP_1)
	v_cmpx_ne_u32_e32 0, v51
; %bb.6978:                             ;   in Loop: Header=BB2_6839 Depth=3
	v_cmp_lt_i32_e64 s13, 0, v119
	v_sub_nc_u32_e32 v8, v67, v8
	s_mov_b32 s14, exec_lo
	s_delay_alu instid0(VALU_DEP_2) | instskip(NEXT) | instid1(VALU_DEP_1)
	v_cndmask_b32_e64 v2, 0, v71, s13
	v_sub_nc_u32_e32 v2, v2, v119
	s_delay_alu instid0(VALU_DEP_1) | instskip(NEXT) | instid1(VALU_DEP_1)
	v_lshl_add_u32 v52, v2, 5, v66
	v_ashrrev_i32_e32 v2, 31, v52
	s_delay_alu instid0(VALU_DEP_1) | instskip(NEXT) | instid1(VALU_DEP_1)
	v_lshrrev_b32_e32 v2, 27, v2
	v_dual_cndmask_b32 v8, 0, v8 :: v_dual_add_nc_u32 v9, v52, v2
	s_delay_alu instid0(VALU_DEP_1) | instskip(NEXT) | instid1(VALU_DEP_2)
	v_add3_u32 v2, v11, v10, v8
	v_ashrrev_i32_e32 v118, 5, v9
; %bb.6979:                             ;   in Loop: Header=BB2_6839 Depth=3
	s_or_b32 exec_lo, exec_lo, s16
	s_delay_alu instid0(SALU_CYCLE_1)
	s_and_b32 s13, s14, exec_lo
.LBB2_6980:                             ;   in Loop: Header=BB2_6839 Depth=3
	s_or_b32 exec_lo, exec_lo, s15
.LBB2_6981:                             ;   in Loop: Header=BB2_6839 Depth=3
	s_and_saveexec_b32 s14, s13
	s_cbranch_execz .LBB2_6993
; %bb.6982:                             ;   in Loop: Header=BB2_6839 Depth=3
	v_ashrrev_i32_e32 v8, 31, v51
	s_mov_b32 s13, exec_lo
	s_delay_alu instid0(VALU_DEP_1) | instskip(NEXT) | instid1(VALU_DEP_1)
	v_lshrrev_b32_e32 v8, 24, v8
	v_add_nc_u32_e32 v8, v51, v8
	s_delay_alu instid0(VALU_DEP_1) | instskip(NEXT) | instid1(VALU_DEP_1)
	v_ashrrev_i32_e32 v67, 8, v8
	v_sub_nc_u32_e32 v66, v67, v118
	s_delay_alu instid0(VALU_DEP_1)
	v_cmpx_lt_i32_e32 0, v66
	s_cbranch_execz .LBB2_6987
; %bb.6983:                             ;   in Loop: Header=BB2_6839 Depth=3
	s_cbranch_execnz .LBB2_7861
; %bb.6984:                             ;   in Loop: Header=BB2_6839 Depth=3
	v_ashrrev_i32_e32 v8, 31, v52
	s_mov_b32 s15, 0
	s_delay_alu instid0(VALU_DEP_1) | instskip(NEXT) | instid1(VALU_DEP_1)
	v_lshrrev_b32_e32 v8, 27, v8
	v_add_nc_u32_e32 v10, v52, v8
	ds_load_b64 v[8:9], v0
	v_lshlrev_b32_e32 v11, 8, v118
	v_and_b32_e32 v10, 0xffffffe0, v10
	s_delay_alu instid0(VALU_DEP_1) | instskip(NEXT) | instid1(VALU_DEP_1)
	v_sub_nc_u32_e32 v10, v52, v10
	v_add3_u32 v118, v2, v10, v11
	s_delay_alu instid0(VALU_DEP_1)
	v_ashrrev_i32_e32 v119, 31, v118
	s_waitcnt lgkmcnt(0)
	v_dual_mov_b32 v11, v9 :: v_dual_mov_b32 v10, v8
.LBB2_6985:                             ;   Parent Loop BB2_51 Depth=1
                                        ;     Parent Loop BB2_6837 Depth=2
                                        ;       Parent Loop BB2_6839 Depth=3
                                        ; =>      This Inner Loop Header: Depth=4
	s_delay_alu instid0(VALU_DEP_1) | instskip(NEXT) | instid1(VALU_DEP_2)
	v_add_co_u32 v128, vcc_lo, v118, v10
	v_add_co_ci_u32_e32 v129, vcc_lo, v119, v11, vcc_lo
	v_sub_nc_u32_e32 v66, v66, v71
	s_clause 0x7
	flat_load_u8 v130, v[128:129] slc dlc
	flat_load_u8 v131, v[128:129] offset:32 slc dlc
	flat_load_u8 v132, v[128:129] offset:64 slc dlc
	;; [unrolled: 1-line block ×7, first 2 shown]
	v_add_co_u32 v128, vcc_lo, v118, v8
	v_add_co_ci_u32_e32 v129, vcc_lo, v119, v9, vcc_lo
	v_add_co_u32 v10, vcc_lo, v10, v99
	v_add_co_ci_u32_e32 v11, vcc_lo, v11, v100, vcc_lo
	;; [unrolled: 2-line block ×3, first 2 shown]
	v_cmp_gt_i32_e32 vcc_lo, 1, v66
	s_waitcnt vmcnt(7) lgkmcnt(7)
	flat_store_b8 v[128:129], v130 glc slc dlc
	s_waitcnt vmcnt(6) lgkmcnt(7)
	flat_store_b8 v[128:129], v131 offset:32 glc slc dlc
	s_waitcnt vmcnt(5) lgkmcnt(7)
	flat_store_b8 v[128:129], v132 offset:64 glc slc dlc
	;; [unrolled: 2-line block ×7, first 2 shown]
	s_or_b32 s15, vcc_lo, s15
	s_delay_alu instid0(SALU_CYCLE_1)
	s_and_not1_b32 exec_lo, exec_lo, s15
	s_cbranch_execnz .LBB2_6985
; %bb.6986:                             ;   in Loop: Header=BB2_6839 Depth=3
	s_or_b32 exec_lo, exec_lo, s15
.LBB2_6987:                             ;   in Loop: Header=BB2_6839 Depth=3
	s_delay_alu instid0(SALU_CYCLE_1) | instskip(SKIP_2) | instid1(VALU_DEP_1)
	s_or_b32 exec_lo, exec_lo, s13
	v_lshlrev_b32_e32 v8, 8, v67
	s_mov_b32 s15, exec_lo
	v_cmpx_ne_u32_e64 v51, v8
	s_cbranch_execz .LBB2_6992
; %bb.6988:                             ;   in Loop: Header=BB2_6839 Depth=3
	v_ashrrev_i32_e32 v9, 31, v52
	v_lshlrev_b32_e32 v10, 5, v66
	s_delay_alu instid0(VALU_DEP_2) | instskip(NEXT) | instid1(VALU_DEP_1)
	v_lshrrev_b32_e32 v9, 27, v9
	v_add_nc_u32_e32 v9, v52, v9
	s_delay_alu instid0(VALU_DEP_1) | instskip(NEXT) | instid1(VALU_DEP_1)
	v_and_b32_e32 v9, 0xffffffe0, v9
	v_sub_nc_u32_e32 v9, v52, v9
	s_delay_alu instid0(VALU_DEP_1) | instskip(NEXT) | instid1(VALU_DEP_1)
	v_sub_nc_u32_e32 v9, v9, v10
	v_add_nc_u32_e32 v11, v8, v9
	s_delay_alu instid0(VALU_DEP_1) | instskip(NEXT) | instid1(VALU_DEP_1)
	v_sub_nc_u32_e32 v10, v51, v11
	v_cmp_lt_i32_e32 vcc_lo, 0, v10
	s_and_b32 exec_lo, exec_lo, vcc_lo
	s_cbranch_execz .LBB2_6992
; %bb.6989:                             ;   in Loop: Header=BB2_6839 Depth=3
	s_cbranch_execnz .LBB2_7897
; %bb.6990:                             ;   in Loop: Header=BB2_6839 Depth=3
	ds_load_b64 v[8:9], v0
	v_add_nc_u32_e32 v2, v11, v2
	s_mov_b32 s16, 0
	s_delay_alu instid0(VALU_DEP_1)
	v_ashrrev_i32_e32 v11, 31, v2
.LBB2_6991:                             ;   Parent Loop BB2_51 Depth=1
                                        ;     Parent Loop BB2_6837 Depth=2
                                        ;       Parent Loop BB2_6839 Depth=3
                                        ; =>      This Inner Loop Header: Depth=4
	s_waitcnt lgkmcnt(0)
	v_add_co_u32 v51, vcc_lo, v8, v2
	s_delay_alu instid0(VALU_DEP_2)
	v_add_co_ci_u32_e32 v52, vcc_lo, v9, v11, vcc_lo
	v_sub_nc_u32_e32 v10, v10, v87
	v_add_co_u32 v2, s13, v2, v102
	flat_load_u8 v66, v[51:52] slc dlc
	v_add_co_ci_u32_e64 v11, s13, v11, v103, s13
	v_cmp_gt_i32_e32 vcc_lo, 1, v10
	s_or_b32 s16, vcc_lo, s16
	s_waitcnt vmcnt(0) lgkmcnt(0)
	flat_store_b8 v[51:52], v66 glc slc dlc
	s_and_not1_b32 exec_lo, exec_lo, s16
	s_cbranch_execnz .LBB2_6991
.LBB2_6992:                             ;   in Loop: Header=BB2_6839 Depth=3
	s_or_b32 exec_lo, exec_lo, s15
.LBB2_6993:                             ;   in Loop: Header=BB2_6839 Depth=3
	s_delay_alu instid0(SALU_CYCLE_1)
	s_or_b32 exec_lo, exec_lo, s14
.LBB2_6994:                             ;   in Loop: Header=BB2_6839 Depth=3
	s_and_saveexec_b32 s13, s3
	s_cbranch_execz .LBB2_7016
; %bb.6995:                             ;   in Loop: Header=BB2_6839 Depth=3
	s_and_saveexec_b32 s14, s4
	s_delay_alu instid0(SALU_CYCLE_1)
	s_xor_b32 s14, exec_lo, s14
	s_cbranch_execz .LBB2_7013
; %bb.6996:                             ;   in Loop: Header=BB2_6839 Depth=3
	s_and_saveexec_b32 s15, s1
	s_cbranch_execz .LBB2_7012
; %bb.6997:                             ;   in Loop: Header=BB2_6839 Depth=3
	s_mov_b32 s17, exec_lo
	s_mov_b32 s16, exec_lo
	v_mbcnt_lo_u32_b32 v2, s17, 0
	s_waitcnt lgkmcnt(0)
	s_waitcnt_vscnt null, 0x0
	buffer_gl1_inv
	buffer_gl0_inv
	v_cmpx_eq_u32_e32 0, v2
	s_cbranch_execz .LBB2_6999
; %bb.6998:                             ;   in Loop: Header=BB2_6839 Depth=3
	s_bcnt1_i32_b32 s17, s17
	s_delay_alu instid0(SALU_CYCLE_1)
	v_mov_b32_e32 v2, s17
	ds_add_u64 v0, v[2:3]
	s_cbranch_execnz .LBB2_7839
.LBB2_6999:                             ;   in Loop: Header=BB2_6839 Depth=3
	s_or_b32 exec_lo, exec_lo, s16
	s_cbranch_execnz .LBB2_7817
; %bb.7000:                             ;   in Loop: Header=BB2_6839 Depth=3
	ds_load_b64 v[8:9], v0
	v_add_co_u32 v12, vcc_lo, v12, v71
	v_add_co_ci_u32_e32 v13, vcc_lo, 0, v13, vcc_lo
	s_mov_b32 s16, exec_lo
	s_waitcnt lgkmcnt(0)
	s_delay_alu instid0(VALU_DEP_1)
	v_cmpx_lt_u64_e64 v[8:9], v[12:13]
	s_cbranch_execz .LBB2_7011
; %bb.7001:                             ;   in Loop: Header=BB2_6839 Depth=3
	s_mov_b32 s17, 0
	s_mov_b32 s42, 0
                                        ; implicit-def: $sgpr40
                                        ; implicit-def: $sgpr41
	s_branch .LBB2_7003
.LBB2_7002:                             ;   in Loop: Header=BB2_7003 Depth=4
	s_or_b32 exec_lo, exec_lo, s44
	s_delay_alu instid0(SALU_CYCLE_1) | instskip(NEXT) | instid1(SALU_CYCLE_1)
	s_and_b32 vcc_lo, exec_lo, vcc_lo
	s_or_b32 s17, vcc_lo, s17
	s_and_not1_b32 vcc_lo, s40, exec_lo
	s_and_b32 s40, s41, exec_lo
	s_delay_alu instid0(SALU_CYCLE_1)
	s_or_b32 s40, vcc_lo, s40
	s_and_not1_b32 exec_lo, exec_lo, s17
	s_cbranch_execz .LBB2_7009
.LBB2_7003:                             ;   Parent Loop BB2_51 Depth=1
                                        ;     Parent Loop BB2_6837 Depth=2
                                        ;       Parent Loop BB2_6839 Depth=3
                                        ; =>      This Inner Loop Header: Depth=4
	s_add_i32 s42, s42, 1
                                        ; implicit-def: $sgpr44
	s_delay_alu instid0(SALU_CYCLE_1) | instskip(SKIP_1) | instid1(SALU_CYCLE_1)
	s_cmpk_lg_i32 s42, 0x2710
	s_cselect_b32 s43, -1, 0
	s_and_b32 vcc_lo, exec_lo, s43
	s_cbranch_vccz .LBB2_7007
.LBB2_7004:                             ;   in Loop: Header=BB2_7003 Depth=4
	s_and_not1_b32 s41, s41, exec_lo
	s_and_b32 s44, s44, exec_lo
	s_mov_b32 vcc_lo, -1
	s_or_b32 s41, s41, s44
	s_and_saveexec_b32 s44, s43
	s_cbranch_execz .LBB2_7002
; %bb.7005:                             ;   in Loop: Header=BB2_7003 Depth=4
	s_sleep 1
	s_cbranch_execnz .LBB2_7877
; %bb.7006:                             ;   in Loop: Header=BB2_7003 Depth=4
	ds_load_b64 v[8:9], v0
	s_and_not1_b32 s41, s41, exec_lo
	s_waitcnt lgkmcnt(0)
	v_cmp_ge_u64_e32 vcc_lo, v[8:9], v[12:13]
	s_or_not1_b32 vcc_lo, vcc_lo, exec_lo
	s_branch .LBB2_7002
.LBB2_7007:                             ;   in Loop: Header=BB2_7003 Depth=4
	s_cbranch_execnz .LBB2_7885
; %bb.7008:                             ;   in Loop: Header=BB2_7003 Depth=4
	ds_load_b64 v[8:9], v0
	s_and_not1_b32 s43, s43, exec_lo
	s_mov_b32 s42, 0
	s_mov_b32 s44, -1
	s_waitcnt lgkmcnt(0)
	flat_load_b32 v2, v[8:9] glc
	s_waitcnt vmcnt(0) lgkmcnt(0)
	buffer_gl1_inv
	buffer_gl0_inv
	v_cmp_eq_u32_e32 vcc_lo, 0, v2
	s_and_b32 vcc_lo, vcc_lo, exec_lo
	s_delay_alu instid0(SALU_CYCLE_1)
	s_or_b32 s43, s43, vcc_lo
	s_branch .LBB2_7004
.LBB2_7009:                             ;   in Loop: Header=BB2_6839 Depth=3
	s_or_b32 exec_lo, exec_lo, s17
	s_and_saveexec_b32 s17, s40
	s_delay_alu instid0(SALU_CYCLE_1)
	s_xor_b32 s17, exec_lo, s17
	s_cbranch_execz .LBB2_7011
; %bb.7010:                             ;   in Loop: Header=BB2_6839 Depth=3
	ds_store_b32 v0, v115
	s_cbranch_execnz .LBB2_7931
.LBB2_7011:                             ;   in Loop: Header=BB2_6839 Depth=3
	s_or_b32 exec_lo, exec_lo, s16
	;;#ASMSTART
	s_wakeup
	;;#ASMEND
.LBB2_7012:                             ;   in Loop: Header=BB2_6839 Depth=3
	s_or_b32 exec_lo, exec_lo, s15
.LBB2_7013:                             ;   in Loop: Header=BB2_6839 Depth=3
	s_and_not1_saveexec_b32 s14, s14
	s_cbranch_execz .LBB2_7015
; %bb.7014:                             ;   in Loop: Header=BB2_6839 Depth=3
	s_waitcnt lgkmcnt(0)
	s_waitcnt_vscnt null, 0x0
	buffer_gl1_inv
	buffer_gl0_inv
	s_barrier
.LBB2_7015:                             ;   in Loop: Header=BB2_6839 Depth=3
	s_or_b32 exec_lo, exec_lo, s14
.LBB2_7016:                             ;   in Loop: Header=BB2_6839 Depth=3
	s_delay_alu instid0(SALU_CYCLE_1) | instskip(SKIP_1) | instid1(SALU_CYCLE_1)
	s_or_b32 exec_lo, exec_lo, s13
                                        ; implicit-def: $vgpr2
	s_and_saveexec_b32 s13, s7
	s_xor_b32 s14, exec_lo, s13
	s_cbranch_execz .LBB2_7020
; %bb.7017:                             ;   in Loop: Header=BB2_6839 Depth=3
	v_and_b32_e32 v2, 16, v30
	v_cmp_lt_i32_e32 vcc_lo, 0, v65
	s_delay_alu instid0(VALU_DEP_2) | instskip(SKIP_1) | instid1(VALU_DEP_2)
	v_cmp_ne_u32_e64 s13, 0, v2
	v_and_b32_e32 v2, 16, v30
	s_and_b32 s15, s13, vcc_lo
	s_delay_alu instid0(SALU_CYCLE_1)
	s_and_saveexec_b32 s13, s15
	s_cbranch_execz .LBB2_7019
; %bb.7018:                             ;   in Loop: Header=BB2_6839 Depth=3
	v_mov_b32_e32 v2, 1
	s_waitcnt lgkmcnt(0)
	s_waitcnt_vscnt null, 0x0
	buffer_gl1_inv
	buffer_gl0_inv
.LBB2_7019:                             ;   in Loop: Header=BB2_6839 Depth=3
	s_or_b32 exec_lo, exec_lo, s13
.LBB2_7020:                             ;   in Loop: Header=BB2_6839 Depth=3
	s_and_not1_saveexec_b32 s13, s14
	s_cbranch_execz .LBB2_7042
; %bb.7021:                             ;   in Loop: Header=BB2_6839 Depth=3
	s_and_saveexec_b32 s14, s4
	s_delay_alu instid0(SALU_CYCLE_1)
	s_xor_b32 s14, exec_lo, s14
	s_cbranch_execz .LBB2_7039
; %bb.7022:                             ;   in Loop: Header=BB2_6839 Depth=3
	s_and_saveexec_b32 s15, s1
	s_cbranch_execz .LBB2_7038
; %bb.7023:                             ;   in Loop: Header=BB2_6839 Depth=3
	s_mov_b32 s17, exec_lo
	s_mov_b32 s16, exec_lo
	v_mbcnt_lo_u32_b32 v2, s17, 0
	;;#ASMSTART
	s_waitcnt lgkmcnt(0) vmcnt(0)
	;;#ASMEND
	s_delay_alu instid0(VALU_DEP_1)
	v_cmpx_eq_u32_e32 0, v2
	s_cbranch_execz .LBB2_7025
; %bb.7024:                             ;   in Loop: Header=BB2_6839 Depth=3
	s_bcnt1_i32_b32 s17, s17
	s_delay_alu instid0(SALU_CYCLE_1)
	v_mov_b32_e32 v2, s17
	ds_add_u64 v0, v[2:3]
	s_cbranch_execnz .LBB2_7843
.LBB2_7025:                             ;   in Loop: Header=BB2_6839 Depth=3
	s_or_b32 exec_lo, exec_lo, s16
	s_cbranch_execnz .LBB2_7821
; %bb.7026:                             ;   in Loop: Header=BB2_6839 Depth=3
	ds_load_b64 v[8:9], v0
	v_add_co_u32 v12, vcc_lo, v12, v71
	v_add_co_ci_u32_e32 v13, vcc_lo, 0, v13, vcc_lo
	s_mov_b32 s16, exec_lo
	s_waitcnt lgkmcnt(0)
	s_delay_alu instid0(VALU_DEP_1)
	v_cmpx_lt_u64_e64 v[8:9], v[12:13]
	s_cbranch_execz .LBB2_7037
; %bb.7027:                             ;   in Loop: Header=BB2_6839 Depth=3
	s_mov_b32 s17, 0
	s_mov_b32 s42, 0
                                        ; implicit-def: $sgpr40
                                        ; implicit-def: $sgpr41
	s_branch .LBB2_7029
.LBB2_7028:                             ;   in Loop: Header=BB2_7029 Depth=4
	s_or_b32 exec_lo, exec_lo, s44
	s_delay_alu instid0(SALU_CYCLE_1) | instskip(NEXT) | instid1(SALU_CYCLE_1)
	s_and_b32 vcc_lo, exec_lo, vcc_lo
	s_or_b32 s17, vcc_lo, s17
	s_and_not1_b32 vcc_lo, s40, exec_lo
	s_and_b32 s40, s41, exec_lo
	s_delay_alu instid0(SALU_CYCLE_1)
	s_or_b32 s40, vcc_lo, s40
	s_and_not1_b32 exec_lo, exec_lo, s17
	s_cbranch_execz .LBB2_7035
.LBB2_7029:                             ;   Parent Loop BB2_51 Depth=1
                                        ;     Parent Loop BB2_6837 Depth=2
                                        ;       Parent Loop BB2_6839 Depth=3
                                        ; =>      This Inner Loop Header: Depth=4
	s_add_i32 s42, s42, 1
                                        ; implicit-def: $sgpr44
	s_delay_alu instid0(SALU_CYCLE_1) | instskip(SKIP_1) | instid1(SALU_CYCLE_1)
	s_cmpk_lg_i32 s42, 0x2710
	s_cselect_b32 s43, -1, 0
	s_and_b32 vcc_lo, exec_lo, s43
	s_cbranch_vccnz .LBB2_7032
; %bb.7030:                             ;   in Loop: Header=BB2_7029 Depth=4
	s_cbranch_execnz .LBB2_7889
; %bb.7031:                             ;   in Loop: Header=BB2_7029 Depth=4
	ds_load_b64 v[8:9], v0
	s_and_not1_b32 s43, s43, exec_lo
	s_mov_b32 s42, 0
	s_mov_b32 s44, -1
	s_waitcnt lgkmcnt(0)
	s_waitcnt_vscnt null, 0x0
	flat_load_b32 v2, v[8:9] glc
	s_waitcnt vmcnt(0) lgkmcnt(0)
	buffer_gl1_inv
	buffer_gl0_inv
	v_cmp_eq_u32_e32 vcc_lo, 0, v2
	s_and_b32 vcc_lo, vcc_lo, exec_lo
	s_delay_alu instid0(SALU_CYCLE_1)
	s_or_b32 s43, s43, vcc_lo
.LBB2_7032:                             ;   in Loop: Header=BB2_7029 Depth=4
	s_and_not1_b32 s41, s41, exec_lo
	s_and_b32 s44, s44, exec_lo
	s_mov_b32 vcc_lo, -1
	s_or_b32 s41, s41, s44
	s_and_saveexec_b32 s44, s43
	s_cbranch_execz .LBB2_7028
; %bb.7033:                             ;   in Loop: Header=BB2_7029 Depth=4
	s_sleep 1
	s_cbranch_execnz .LBB2_7883
; %bb.7034:                             ;   in Loop: Header=BB2_7029 Depth=4
	ds_load_b64 v[8:9], v0
	s_and_not1_b32 s41, s41, exec_lo
	s_waitcnt lgkmcnt(0)
	v_cmp_ge_u64_e32 vcc_lo, v[8:9], v[12:13]
	s_or_not1_b32 vcc_lo, vcc_lo, exec_lo
	s_branch .LBB2_7028
.LBB2_7035:                             ;   in Loop: Header=BB2_6839 Depth=3
	s_or_b32 exec_lo, exec_lo, s17
	s_and_saveexec_b32 s17, s40
	s_delay_alu instid0(SALU_CYCLE_1)
	s_xor_b32 s17, exec_lo, s17
	s_cbranch_execz .LBB2_7037
; %bb.7036:                             ;   in Loop: Header=BB2_6839 Depth=3
	ds_store_b32 v0, v115
	s_cbranch_execnz .LBB2_7933
.LBB2_7037:                             ;   in Loop: Header=BB2_6839 Depth=3
	s_or_b32 exec_lo, exec_lo, s16
	;;#ASMSTART
	s_wakeup
	;;#ASMEND
.LBB2_7038:                             ;   in Loop: Header=BB2_6839 Depth=3
	s_or_b32 exec_lo, exec_lo, s15
.LBB2_7039:                             ;   in Loop: Header=BB2_6839 Depth=3
	s_and_not1_saveexec_b32 s14, s14
	s_cbranch_execz .LBB2_7041
; %bb.7040:                             ;   in Loop: Header=BB2_6839 Depth=3
	;;#ASMSTART
	s_waitcnt lgkmcnt(0) vmcnt(0)
	;;#ASMEND
	s_waitcnt lgkmcnt(0)
	s_waitcnt_vscnt null, 0x0
	s_barrier
.LBB2_7041:                             ;   in Loop: Header=BB2_6839 Depth=3
	s_or_b32 exec_lo, exec_lo, s14
	v_and_b32_e32 v2, 16, v30
.LBB2_7042:                             ;   in Loop: Header=BB2_6839 Depth=3
	s_or_b32 exec_lo, exec_lo, s13
	s_delay_alu instid0(VALU_DEP_1) | instskip(SKIP_1) | instid1(SALU_CYCLE_1)
	v_cmp_ne_u32_e32 vcc_lo, 0, v2
	s_xor_b32 s13, s10, -1
	s_and_b32 s14, vcc_lo, s13
	s_delay_alu instid0(SALU_CYCLE_1)
	s_and_saveexec_b32 s13, s14
	s_cbranch_execz .LBB2_7044
; %bb.7043:                             ;   in Loop: Header=BB2_6839 Depth=3
	s_waitcnt lgkmcnt(0)
	s_waitcnt_vscnt null, 0x0
	flat_store_b32 v[26:27], v115
.LBB2_7044:                             ;   in Loop: Header=BB2_6839 Depth=3
	s_or_b32 exec_lo, exec_lo, s13
	v_and_b32_e32 v2, 48, v30
	s_mov_b32 s13, exec_lo
	s_delay_alu instid0(VALU_DEP_1)
	v_cmpx_ne_u32_e32 0, v2
	s_cbranch_execz .LBB2_7046
; %bb.7045:                             ;   in Loop: Header=BB2_6839 Depth=3
	v_add_co_u32 v22, vcc_lo, v22, 2
	v_add_co_ci_u32_e32 v23, vcc_lo, 0, v23, vcc_lo
	s_waitcnt lgkmcnt(0)
	s_waitcnt_vscnt null, 0x0
	flat_store_b64 v[20:21], v[22:23]
.LBB2_7046:                             ;   in Loop: Header=BB2_6839 Depth=3
	s_or_b32 exec_lo, exec_lo, s13
	v_add_nc_u32_e32 v54, v50, v54
	s_xor_b32 s13, s38, -1
	v_mov_b32_e32 v2, s39
	s_mov_b32 s38, 0
	s_mov_b32 s39, 2
	v_cmp_ge_i32_e32 vcc_lo, v54, v53
	s_or_b32 s13, s13, vcc_lo
	s_delay_alu instid0(SALU_CYCLE_1) | instskip(NEXT) | instid1(SALU_CYCLE_1)
	s_and_b32 s13, exec_lo, s13
	s_or_b32 s37, s13, s37
	s_delay_alu instid0(SALU_CYCLE_1)
	s_and_not1_b32 exec_lo, exec_lo, s37
	s_cbranch_execnz .LBB2_6839
; %bb.7047:                             ;   in Loop: Header=BB2_6837 Depth=2
	s_or_b32 exec_lo, exec_lo, s37
.LBB2_7048:                             ;   in Loop: Header=BB2_6837 Depth=2
	s_delay_alu instid0(SALU_CYCLE_1) | instskip(NEXT) | instid1(SALU_CYCLE_1)
	s_or_b32 exec_lo, exec_lo, s36
	s_mov_b32 s14, exec_lo
	v_cmpx_gt_i32_e32 2, v2
	s_cbranch_execz .LBB2_7132
; %bb.7049:                             ;   in Loop: Header=BB2_6837 Depth=2
	v_cmp_eq_u32_e64 s13, 0, v2
	s_mov_b32 s15, 0
.LBB2_7050:                             ;   Parent Loop BB2_51 Depth=1
                                        ;     Parent Loop BB2_6837 Depth=2
                                        ; =>    This Loop Header: Depth=3
                                        ;         Child Loop BB2_7056 Depth 4
                                        ;         Child Loop BB2_7086 Depth 4
	;; [unrolled: 1-line block ×3, first 2 shown]
	v_and_b32_e32 v2, 12, v30
	s_mov_b32 s17, -1
	s_mov_b32 s16, exec_lo
	s_delay_alu instid0(VALU_DEP_1)
	v_cmpx_ne_u32_e32 0, v2
	s_cbranch_execz .LBB2_7064
; %bb.7051:                             ;   in Loop: Header=BB2_7050 Depth=3
	v_and_b32_e32 v2, 8, v30
	s_delay_alu instid0(VALU_DEP_1) | instskip(SKIP_3) | instid1(VALU_DEP_1)
	v_add_co_u32 v10, vcc_lo, v28, v2
	v_add_co_ci_u32_e32 v11, vcc_lo, 0, v29, vcc_lo
	v_add_co_u32 v8, vcc_lo, v22, 2
	v_add_co_ci_u32_e32 v9, vcc_lo, 0, v23, vcc_lo
	v_cmp_lt_u64_e32 vcc_lo, v[10:11], v[8:9]
	v_mov_b32_e32 v10, 1
	s_and_saveexec_b32 s17, vcc_lo
	s_cbranch_execz .LBB2_7063
; %bb.7052:                             ;   in Loop: Header=BB2_7050 Depth=3
	v_mov_b32_e32 v10, 0
	s_mov_b32 s36, 0
                                        ; implicit-def: $sgpr37
	s_branch .LBB2_7056
.LBB2_7053:                             ;   in Loop: Header=BB2_7056 Depth=4
	s_or_b32 exec_lo, exec_lo, s41
	v_mov_b32_e32 v11, 0
	s_or_not1_b32 s40, s40, exec_lo
.LBB2_7054:                             ;   in Loop: Header=BB2_7056 Depth=4
	s_or_b32 exec_lo, exec_lo, s39
	s_delay_alu instid0(VALU_DEP_1) | instskip(SKIP_2) | instid1(SALU_CYCLE_1)
	v_mov_b32_e32 v10, v11
	s_and_not1_b32 vcc_lo, s37, exec_lo
	s_and_b32 s37, s40, exec_lo
	s_or_b32 s37, vcc_lo, s37
.LBB2_7055:                             ;   in Loop: Header=BB2_7056 Depth=4
	s_or_b32 exec_lo, exec_lo, s38
	s_waitcnt vmcnt(0) lgkmcnt(0)
	v_add_co_u32 v51, vcc_lo, v28, v2
	v_add_co_ci_u32_e32 v52, vcc_lo, 0, v29, vcc_lo
	s_xor_b32 s38, s37, -1
	s_delay_alu instid0(VALU_DEP_1) | instskip(SKIP_1) | instid1(SALU_CYCLE_1)
	v_cmp_ge_u64_e32 vcc_lo, v[51:52], v[8:9]
	s_or_b32 vcc_lo, s38, vcc_lo
	s_and_b32 vcc_lo, exec_lo, vcc_lo
	s_delay_alu instid0(SALU_CYCLE_1) | instskip(NEXT) | instid1(SALU_CYCLE_1)
	s_or_b32 s36, vcc_lo, s36
	s_and_not1_b32 exec_lo, exec_lo, s36
	s_cbranch_execz .LBB2_7062
.LBB2_7056:                             ;   Parent Loop BB2_51 Depth=1
                                        ;     Parent Loop BB2_6837 Depth=2
                                        ;       Parent Loop BB2_7050 Depth=3
                                        ; =>      This Inner Loop Header: Depth=4
	s_sleep 1
	flat_load_b64 v[28:29], v[20:21] glc
	v_and_b32_e32 v11, 64, v30
	s_and_not1_b32 s37, s37, exec_lo
	s_mov_b32 s38, exec_lo
	s_delay_alu instid0(VALU_DEP_1)
	v_cmpx_eq_u32_e32 0, v11
	s_cbranch_execz .LBB2_7055
; %bb.7057:                             ;   in Loop: Header=BB2_7056 Depth=4
	v_add_nc_u32_e32 v11, 1, v10
	s_mov_b32 s40, -1
	s_mov_b32 s39, exec_lo
	v_cmpx_lt_i32_e32 0x270e, v10
	s_cbranch_execz .LBB2_7054
; %bb.7058:                             ;   in Loop: Header=BB2_7056 Depth=4
	s_cbranch_execnz .LBB2_7577
; %bb.7059:                             ;   in Loop: Header=BB2_7056 Depth=4
	ds_load_b64 v[10:11], v0
	s_mov_b32 s41, exec_lo
	s_waitcnt vmcnt(0) lgkmcnt(0)
	s_waitcnt_vscnt null, 0x0
	flat_load_b32 v10, v[10:11] glc
	s_waitcnt vmcnt(0) lgkmcnt(0)
	buffer_gl1_inv
	buffer_gl0_inv
	v_cmpx_ne_u32_e32 0, v10
	s_cbranch_execz .LBB2_7053
; %bb.7060:                             ;   in Loop: Header=BB2_7056 Depth=4
	ds_store_b32 v0, v10
	s_cbranch_execnz .LBB2_7665
; %bb.7061:                             ;   in Loop: Header=BB2_7056 Depth=4
	v_or_b32_e32 v30, 64, v30
	s_xor_b32 s40, exec_lo, -1
	s_branch .LBB2_7053
.LBB2_7062:                             ;   in Loop: Header=BB2_7050 Depth=3
	s_or_b32 exec_lo, exec_lo, s36
	v_and_b32_e32 v10, 12, v30
.LBB2_7063:                             ;   in Loop: Header=BB2_7050 Depth=3
	s_or_b32 exec_lo, exec_lo, s17
	s_delay_alu instid0(VALU_DEP_1)
	v_cmp_eq_u32_e32 vcc_lo, 0, v10
	;;#ASMSTART
	s_wakeup
	;;#ASMEND
	s_or_not1_b32 s17, vcc_lo, exec_lo
.LBB2_7064:                             ;   in Loop: Header=BB2_7050 Depth=3
	s_or_b32 exec_lo, exec_lo, s16
	v_sub_nc_u32_e32 v2, v53, v54
	s_xor_b32 s13, s13, -1
	s_delay_alu instid0(SALU_CYCLE_1) | instskip(NEXT) | instid1(SALU_CYCLE_1)
	s_and_b32 s13, exec_lo, s13
	s_or_b32 s15, s13, s15
	s_delay_alu instid0(VALU_DEP_1) | instskip(SKIP_1) | instid1(SALU_CYCLE_1)
	v_min_i32_e32 v50, v50, v2
	s_xor_b32 s13, s17, -1
	s_and_saveexec_b32 s16, s13
	s_cbranch_execz .LBB2_7077
; %bb.7065:                             ;   in Loop: Header=BB2_7050 Depth=3
	v_and_b32_e32 v2, 0x108, v30
	s_delay_alu instid0(VALU_DEP_1) | instskip(SKIP_2) | instid1(SALU_CYCLE_1)
	v_cmp_ne_u32_e32 vcc_lo, 0x108, v2
	v_and_b32_e32 v2, 7, v22
	s_and_saveexec_b32 s13, vcc_lo
	s_xor_b32 s13, exec_lo, s13
	s_delay_alu instid0(SALU_CYCLE_1)
	s_and_not1_saveexec_b32 s13, s13
	s_cbranch_execz .LBB2_7067
; %bb.7066:                             ;   in Loop: Header=BB2_7050 Depth=3
	v_mad_u64_u32 v[8:9], null, v2, 24, v[6:7]
	v_ashrrev_i32_e32 v51, 31, v50
	flat_store_b64 v[8:9], v[50:51] offset:8
.LBB2_7067:                             ;   in Loop: Header=BB2_7050 Depth=3
	s_or_b32 exec_lo, exec_lo, s13
	v_and_b32_e32 v8, 0x100, v30
	s_mov_b32 s13, -1
	s_delay_alu instid0(VALU_DEP_1)
	v_cmp_ne_u32_e32 vcc_lo, 0, v8
                                        ; implicit-def: $vgpr8_vgpr9
	s_and_saveexec_b32 s17, vcc_lo
	s_cbranch_execnz .LBB2_7070
; %bb.7068:                             ;   in Loop: Header=BB2_7050 Depth=3
	s_or_b32 exec_lo, exec_lo, s17
	s_and_saveexec_b32 s17, s13
	s_cbranch_execnz .LBB2_7073
.LBB2_7069:                             ;   in Loop: Header=BB2_7050 Depth=3
	s_or_b32 exec_lo, exec_lo, s17
	s_cbranch_execnz .LBB2_7565
	s_branch .LBB2_7074
.LBB2_7070:                             ;   in Loop: Header=BB2_7050 Depth=3
	v_mad_u64_u32 v[10:11], null, v2, 24, v[6:7]
	s_delay_alu instid0(VALU_DEP_1) | instskip(NEXT) | instid1(VALU_DEP_1)
	v_mov_b32_e32 v8, v11
	v_mad_u64_u32 v[51:52], null, v3, 24, v[8:9]
	s_delay_alu instid0(VALU_DEP_1) | instskip(SKIP_4) | instid1(VALU_DEP_1)
	v_mov_b32_e32 v11, v51
	flat_load_b32 v8, v[10:11]
	s_waitcnt vmcnt(0) lgkmcnt(0)
	v_cmp_ne_u32_e32 vcc_lo, 1, v8
	v_cmp_eq_u32_e64 s13, 1, v8
                                        ; implicit-def: $vgpr8_vgpr9
	s_and_saveexec_b32 s36, s13
	s_cbranch_execz .LBB2_7072
; %bb.7071:                             ;   in Loop: Header=BB2_7050 Depth=3
	flat_load_b32 v8, v[10:11] offset:4 glc
	s_waitcnt vmcnt(0) lgkmcnt(0)
	v_ashrrev_i32_e32 v9, 31, v8
.LBB2_7072:                             ;   in Loop: Header=BB2_7050 Depth=3
	s_or_b32 exec_lo, exec_lo, s36
	s_delay_alu instid0(SALU_CYCLE_1)
	s_or_not1_b32 s13, vcc_lo, exec_lo
	s_or_b32 exec_lo, exec_lo, s17
	s_and_saveexec_b32 s17, s13
	s_cbranch_execz .LBB2_7069
.LBB2_7073:                             ;   in Loop: Header=BB2_7050 Depth=3
	v_mul_lo_u32 v10, v3, v68
	v_mul_lo_u32 v11, v2, v70
	v_mad_u64_u32 v[8:9], null, v2, v68, 0
	s_delay_alu instid0(VALU_DEP_1)
	v_add3_u32 v9, v9, v11, v10
	s_or_b32 exec_lo, exec_lo, s17
	s_cbranch_execnz .LBB2_7565
.LBB2_7074:                             ;   in Loop: Header=BB2_7050 Depth=3
	s_delay_alu instid0(VALU_DEP_2)
	v_add_co_u32 v8, vcc_lo, v24, v8
	v_and_b32_e32 v2, 0x2000, v30
	v_add_co_ci_u32_e32 v9, vcc_lo, v25, v9, vcc_lo
	s_mov_b32 s13, exec_lo
	ds_store_b64 v0, v[8:9]
	v_cmpx_ne_u32_e32 0, v2
	s_cbranch_execz .LBB2_7076
; %bb.7075:                             ;   in Loop: Header=BB2_7050 Depth=3
	ds_load_b64 v[8:9], v0 offset:584
	s_waitcnt lgkmcnt(0)
	v_add_co_u32 v8, vcc_lo, v8, 1
	v_add_co_ci_u32_e32 v9, vcc_lo, 0, v9, vcc_lo
	ds_store_b64 v0, v[8:9] offset:584
.LBB2_7076:                             ;   in Loop: Header=BB2_7050 Depth=3
	s_or_b32 exec_lo, exec_lo, s13
	v_add_co_u32 v22, vcc_lo, v22, 2
	v_add_co_ci_u32_e32 v23, vcc_lo, 0, v23, vcc_lo
.LBB2_7077:                             ;   in Loop: Header=BB2_7050 Depth=3
	s_or_b32 exec_lo, exec_lo, s16
	s_and_saveexec_b32 s13, s3
	s_cbranch_execz .LBB2_7099
; %bb.7078:                             ;   in Loop: Header=BB2_7050 Depth=3
	s_and_saveexec_b32 s16, s4
	s_delay_alu instid0(SALU_CYCLE_1)
	s_xor_b32 s16, exec_lo, s16
	s_cbranch_execz .LBB2_7096
; %bb.7079:                             ;   in Loop: Header=BB2_7050 Depth=3
	s_and_saveexec_b32 s17, s1
	s_cbranch_execz .LBB2_7095
; %bb.7080:                             ;   in Loop: Header=BB2_7050 Depth=3
	s_mov_b32 s37, exec_lo
	s_mov_b32 s36, exec_lo
	v_mbcnt_lo_u32_b32 v2, s37, 0
	s_waitcnt lgkmcnt(0)
	s_waitcnt_vscnt null, 0x0
	buffer_gl1_inv
	buffer_gl0_inv
	v_cmpx_eq_u32_e32 0, v2
	s_cbranch_execz .LBB2_7082
; %bb.7081:                             ;   in Loop: Header=BB2_7050 Depth=3
	s_bcnt1_i32_b32 vcc_lo, s37
	s_delay_alu instid0(SALU_CYCLE_1)
	v_mov_b32_e32 v2, vcc_lo
	ds_add_u64 v0, v[2:3]
	s_cbranch_execnz .LBB2_7719
.LBB2_7082:                             ;   in Loop: Header=BB2_7050 Depth=3
	s_or_b32 exec_lo, exec_lo, s36
	s_cbranch_execnz .LBB2_7691
; %bb.7083:                             ;   in Loop: Header=BB2_7050 Depth=3
	ds_load_b64 v[8:9], v0
	v_add_co_u32 v12, vcc_lo, v12, v71
	v_add_co_ci_u32_e32 v13, vcc_lo, 0, v13, vcc_lo
	s_mov_b32 s36, exec_lo
	s_waitcnt lgkmcnt(0)
	s_delay_alu instid0(VALU_DEP_1)
	v_cmpx_lt_u64_e64 v[8:9], v[12:13]
	s_cbranch_execz .LBB2_7094
; %bb.7084:                             ;   in Loop: Header=BB2_7050 Depth=3
	s_mov_b32 s37, 0
	s_mov_b32 s40, 0
                                        ; implicit-def: $sgpr38
                                        ; implicit-def: $sgpr39
	s_branch .LBB2_7086
.LBB2_7085:                             ;   in Loop: Header=BB2_7086 Depth=4
	s_or_b32 exec_lo, exec_lo, s42
	s_delay_alu instid0(SALU_CYCLE_1) | instskip(NEXT) | instid1(SALU_CYCLE_1)
	s_and_b32 vcc_lo, exec_lo, vcc_lo
	s_or_b32 s37, vcc_lo, s37
	s_and_not1_b32 vcc_lo, s38, exec_lo
	s_and_b32 s38, s39, exec_lo
	s_delay_alu instid0(SALU_CYCLE_1)
	s_or_b32 s38, vcc_lo, s38
	s_and_not1_b32 exec_lo, exec_lo, s37
	s_cbranch_execz .LBB2_7092
.LBB2_7086:                             ;   Parent Loop BB2_51 Depth=1
                                        ;     Parent Loop BB2_6837 Depth=2
                                        ;       Parent Loop BB2_7050 Depth=3
                                        ; =>      This Inner Loop Header: Depth=4
	s_add_i32 s40, s40, 1
                                        ; implicit-def: $sgpr42
	s_delay_alu instid0(SALU_CYCLE_1) | instskip(SKIP_1) | instid1(SALU_CYCLE_1)
	s_cmpk_lg_i32 s40, 0x2710
	s_cselect_b32 s41, -1, 0
	s_and_b32 vcc_lo, exec_lo, s41
	s_cbranch_vccz .LBB2_7090
.LBB2_7087:                             ;   in Loop: Header=BB2_7086 Depth=4
	s_and_not1_b32 s39, s39, exec_lo
	s_and_b32 s42, s42, exec_lo
	s_mov_b32 vcc_lo, -1
	s_or_b32 s39, s39, s42
	s_and_saveexec_b32 s42, s41
	s_cbranch_execz .LBB2_7085
; %bb.7088:                             ;   in Loop: Header=BB2_7086 Depth=4
	s_sleep 1
	s_cbranch_execnz .LBB2_7773
; %bb.7089:                             ;   in Loop: Header=BB2_7086 Depth=4
	ds_load_b64 v[8:9], v0
	s_and_not1_b32 s39, s39, exec_lo
	s_waitcnt lgkmcnt(0)
	v_cmp_ge_u64_e32 vcc_lo, v[8:9], v[12:13]
	s_or_not1_b32 vcc_lo, vcc_lo, exec_lo
	s_branch .LBB2_7085
.LBB2_7090:                             ;   in Loop: Header=BB2_7086 Depth=4
	s_cbranch_execnz .LBB2_7793
; %bb.7091:                             ;   in Loop: Header=BB2_7086 Depth=4
	ds_load_b64 v[8:9], v0
	s_and_not1_b32 s41, s41, exec_lo
	s_mov_b32 s40, 0
	s_mov_b32 s42, -1
	s_waitcnt lgkmcnt(0)
	flat_load_b32 v2, v[8:9] glc
	s_waitcnt vmcnt(0) lgkmcnt(0)
	buffer_gl1_inv
	buffer_gl0_inv
	v_cmp_eq_u32_e32 vcc_lo, 0, v2
	s_and_b32 vcc_lo, vcc_lo, exec_lo
	s_delay_alu instid0(SALU_CYCLE_1)
	s_or_b32 s41, s41, vcc_lo
	s_branch .LBB2_7087
.LBB2_7092:                             ;   in Loop: Header=BB2_7050 Depth=3
	s_or_b32 exec_lo, exec_lo, s37
	s_and_saveexec_b32 vcc_lo, s38
	s_delay_alu instid0(SALU_CYCLE_1)
	s_xor_b32 vcc_lo, exec_lo, vcc_lo
	s_cbranch_execz .LBB2_7094
; %bb.7093:                             ;   in Loop: Header=BB2_7050 Depth=3
	ds_store_b32 v0, v115
	s_cbranch_execnz .LBB2_7913
.LBB2_7094:                             ;   in Loop: Header=BB2_7050 Depth=3
	s_or_b32 exec_lo, exec_lo, s36
	;;#ASMSTART
	s_wakeup
	;;#ASMEND
.LBB2_7095:                             ;   in Loop: Header=BB2_7050 Depth=3
	s_or_b32 exec_lo, exec_lo, s17
.LBB2_7096:                             ;   in Loop: Header=BB2_7050 Depth=3
	s_and_not1_saveexec_b32 s16, s16
	s_cbranch_execz .LBB2_7098
; %bb.7097:                             ;   in Loop: Header=BB2_7050 Depth=3
	s_waitcnt lgkmcnt(0)
	s_waitcnt_vscnt null, 0x0
	buffer_gl1_inv
	buffer_gl0_inv
	s_barrier
.LBB2_7098:                             ;   in Loop: Header=BB2_7050 Depth=3
	s_or_b32 exec_lo, exec_lo, s16
.LBB2_7099:                             ;   in Loop: Header=BB2_7050 Depth=3
	s_delay_alu instid0(SALU_CYCLE_1) | instskip(SKIP_1) | instid1(SALU_CYCLE_1)
	s_or_b32 exec_lo, exec_lo, s13
                                        ; implicit-def: $vgpr2
	s_and_saveexec_b32 s13, s7
	s_xor_b32 s16, exec_lo, s13
	s_cbranch_execz .LBB2_7104
; %bb.7100:                             ;   in Loop: Header=BB2_7050 Depth=3
	s_cbranch_execnz .LBB2_7597
; %bb.7101:                             ;   in Loop: Header=BB2_7050 Depth=3
	ds_load_b32 v2, v0
	v_cmp_lt_i32_e32 vcc_lo, 0, v50
	s_waitcnt lgkmcnt(0)
	v_readfirstlane_b32 s13, v2
	v_and_b32_e32 v2, 16, v30
	s_delay_alu instid0(VALU_DEP_2) | instskip(NEXT) | instid1(VALU_DEP_1)
	s_cmp_eq_u32 s13, 0
	v_cmp_ne_u32_e64 s13, 0, v2
	s_cselect_b32 s17, -1, 0
	v_and_b32_e32 v2, 16, v30
	s_and_b32 s17, vcc_lo, s17
	s_delay_alu instid0(VALU_DEP_2) | instid1(SALU_CYCLE_1)
	s_and_b32 s17, s13, s17
	s_delay_alu instid0(SALU_CYCLE_1)
	s_and_saveexec_b32 s13, s17
	s_cbranch_execz .LBB2_7103
; %bb.7102:                             ;   in Loop: Header=BB2_7050 Depth=3
	v_mov_b32_e32 v2, 1
	s_waitcnt_vscnt null, 0x0
	buffer_gl1_inv
	buffer_gl0_inv
.LBB2_7103:                             ;   in Loop: Header=BB2_7050 Depth=3
	s_or_b32 exec_lo, exec_lo, s13
.LBB2_7104:                             ;   in Loop: Header=BB2_7050 Depth=3
	s_and_not1_saveexec_b32 s13, s16
	s_cbranch_execz .LBB2_7126
; %bb.7105:                             ;   in Loop: Header=BB2_7050 Depth=3
	s_and_saveexec_b32 s16, s4
	s_delay_alu instid0(SALU_CYCLE_1)
	s_xor_b32 s16, exec_lo, s16
	s_cbranch_execz .LBB2_7123
; %bb.7106:                             ;   in Loop: Header=BB2_7050 Depth=3
	s_and_saveexec_b32 s17, s1
	s_cbranch_execz .LBB2_7122
; %bb.7107:                             ;   in Loop: Header=BB2_7050 Depth=3
	s_mov_b32 s37, exec_lo
	s_mov_b32 s36, exec_lo
	v_mbcnt_lo_u32_b32 v2, s37, 0
	;;#ASMSTART
	s_waitcnt lgkmcnt(0) vmcnt(0)
	;;#ASMEND
	s_delay_alu instid0(VALU_DEP_1)
	v_cmpx_eq_u32_e32 0, v2
	s_cbranch_execz .LBB2_7109
; %bb.7108:                             ;   in Loop: Header=BB2_7050 Depth=3
	s_bcnt1_i32_b32 vcc_lo, s37
	s_delay_alu instid0(SALU_CYCLE_1)
	v_mov_b32_e32 v2, vcc_lo
	ds_add_u64 v0, v[2:3]
	s_cbranch_execnz .LBB2_7743
.LBB2_7109:                             ;   in Loop: Header=BB2_7050 Depth=3
	s_or_b32 exec_lo, exec_lo, s36
	s_cbranch_execnz .LBB2_7717
; %bb.7110:                             ;   in Loop: Header=BB2_7050 Depth=3
	ds_load_b64 v[8:9], v0
	v_add_co_u32 v12, vcc_lo, v12, v71
	v_add_co_ci_u32_e32 v13, vcc_lo, 0, v13, vcc_lo
	s_mov_b32 s36, exec_lo
	s_waitcnt lgkmcnt(0)
	s_delay_alu instid0(VALU_DEP_1)
	v_cmpx_lt_u64_e64 v[8:9], v[12:13]
	s_cbranch_execz .LBB2_7121
; %bb.7111:                             ;   in Loop: Header=BB2_7050 Depth=3
	s_mov_b32 s37, 0
	s_mov_b32 s40, 0
                                        ; implicit-def: $sgpr38
                                        ; implicit-def: $sgpr39
	s_branch .LBB2_7113
.LBB2_7112:                             ;   in Loop: Header=BB2_7113 Depth=4
	s_or_b32 exec_lo, exec_lo, s42
	s_delay_alu instid0(SALU_CYCLE_1) | instskip(NEXT) | instid1(SALU_CYCLE_1)
	s_and_b32 vcc_lo, exec_lo, vcc_lo
	s_or_b32 s37, vcc_lo, s37
	s_and_not1_b32 vcc_lo, s38, exec_lo
	s_and_b32 s38, s39, exec_lo
	s_delay_alu instid0(SALU_CYCLE_1)
	s_or_b32 s38, vcc_lo, s38
	s_and_not1_b32 exec_lo, exec_lo, s37
	s_cbranch_execz .LBB2_7119
.LBB2_7113:                             ;   Parent Loop BB2_51 Depth=1
                                        ;     Parent Loop BB2_6837 Depth=2
                                        ;       Parent Loop BB2_7050 Depth=3
                                        ; =>      This Inner Loop Header: Depth=4
	s_add_i32 s40, s40, 1
                                        ; implicit-def: $sgpr42
	s_delay_alu instid0(SALU_CYCLE_1) | instskip(SKIP_1) | instid1(SALU_CYCLE_1)
	s_cmpk_lg_i32 s40, 0x2710
	s_cselect_b32 s41, -1, 0
	s_and_b32 vcc_lo, exec_lo, s41
	s_cbranch_vccz .LBB2_7117
.LBB2_7114:                             ;   in Loop: Header=BB2_7113 Depth=4
	s_and_not1_b32 s39, s39, exec_lo
	s_and_b32 s42, s42, exec_lo
	s_mov_b32 vcc_lo, -1
	s_or_b32 s39, s39, s42
	s_and_saveexec_b32 s42, s41
	s_cbranch_execz .LBB2_7112
; %bb.7115:                             ;   in Loop: Header=BB2_7113 Depth=4
	s_sleep 1
	s_cbranch_execnz .LBB2_7803
; %bb.7116:                             ;   in Loop: Header=BB2_7113 Depth=4
	ds_load_b64 v[8:9], v0
	s_and_not1_b32 s39, s39, exec_lo
	s_waitcnt lgkmcnt(0)
	v_cmp_ge_u64_e32 vcc_lo, v[8:9], v[12:13]
	s_or_not1_b32 vcc_lo, vcc_lo, exec_lo
	s_branch .LBB2_7112
.LBB2_7117:                             ;   in Loop: Header=BB2_7113 Depth=4
	s_cbranch_execnz .LBB2_7815
; %bb.7118:                             ;   in Loop: Header=BB2_7113 Depth=4
	ds_load_b64 v[8:9], v0
	s_and_not1_b32 s41, s41, exec_lo
	s_mov_b32 s40, 0
	s_mov_b32 s42, -1
	s_waitcnt lgkmcnt(0)
	s_waitcnt_vscnt null, 0x0
	flat_load_b32 v2, v[8:9] glc
	s_waitcnt vmcnt(0) lgkmcnt(0)
	buffer_gl1_inv
	buffer_gl0_inv
	v_cmp_eq_u32_e32 vcc_lo, 0, v2
	s_and_b32 vcc_lo, vcc_lo, exec_lo
	s_delay_alu instid0(SALU_CYCLE_1)
	s_or_b32 s41, s41, vcc_lo
	s_branch .LBB2_7114
.LBB2_7119:                             ;   in Loop: Header=BB2_7050 Depth=3
	s_or_b32 exec_lo, exec_lo, s37
	s_and_saveexec_b32 vcc_lo, s38
	s_delay_alu instid0(SALU_CYCLE_1)
	s_xor_b32 vcc_lo, exec_lo, vcc_lo
	s_cbranch_execz .LBB2_7121
; %bb.7120:                             ;   in Loop: Header=BB2_7050 Depth=3
	ds_store_b32 v0, v115
	s_cbranch_execnz .LBB2_7921
.LBB2_7121:                             ;   in Loop: Header=BB2_7050 Depth=3
	s_or_b32 exec_lo, exec_lo, s36
	;;#ASMSTART
	s_wakeup
	;;#ASMEND
.LBB2_7122:                             ;   in Loop: Header=BB2_7050 Depth=3
	s_or_b32 exec_lo, exec_lo, s17
.LBB2_7123:                             ;   in Loop: Header=BB2_7050 Depth=3
	s_and_not1_saveexec_b32 s16, s16
	s_cbranch_execz .LBB2_7125
; %bb.7124:                             ;   in Loop: Header=BB2_7050 Depth=3
	;;#ASMSTART
	s_waitcnt lgkmcnt(0) vmcnt(0)
	;;#ASMEND
	s_waitcnt lgkmcnt(0)
	s_waitcnt_vscnt null, 0x0
	s_barrier
.LBB2_7125:                             ;   in Loop: Header=BB2_7050 Depth=3
	s_or_b32 exec_lo, exec_lo, s16
	v_and_b32_e32 v2, 16, v30
.LBB2_7126:                             ;   in Loop: Header=BB2_7050 Depth=3
	s_or_b32 exec_lo, exec_lo, s13
	s_delay_alu instid0(VALU_DEP_1) | instskip(SKIP_1) | instid1(SALU_CYCLE_1)
	v_cmp_ne_u32_e32 vcc_lo, 0, v2
	s_xor_b32 s13, s10, -1
	s_and_b32 s16, vcc_lo, s13
	s_delay_alu instid0(SALU_CYCLE_1)
	s_and_saveexec_b32 s13, s16
	s_cbranch_execz .LBB2_7128
; %bb.7127:                             ;   in Loop: Header=BB2_7050 Depth=3
	s_waitcnt lgkmcnt(0)
	s_waitcnt_vscnt null, 0x0
	flat_store_b32 v[26:27], v115
.LBB2_7128:                             ;   in Loop: Header=BB2_7050 Depth=3
	s_or_b32 exec_lo, exec_lo, s13
	v_and_b32_e32 v2, 48, v30
	s_mov_b32 s13, exec_lo
	s_delay_alu instid0(VALU_DEP_1)
	v_cmpx_ne_u32_e32 0, v2
	s_cbranch_execz .LBB2_7130
; %bb.7129:                             ;   in Loop: Header=BB2_7050 Depth=3
	v_add_co_u32 v22, vcc_lo, v22, 2
	v_add_co_ci_u32_e32 v23, vcc_lo, 0, v23, vcc_lo
	s_waitcnt lgkmcnt(0)
	s_waitcnt_vscnt null, 0x0
	flat_store_b64 v[20:21], v[22:23]
.LBB2_7130:                             ;   in Loop: Header=BB2_7050 Depth=3
	s_or_b32 exec_lo, exec_lo, s13
	v_add_nc_u32_e32 v54, v50, v54
	s_mov_b32 s13, 0
	s_and_not1_b32 exec_lo, exec_lo, s15
	s_cbranch_execnz .LBB2_7050
; %bb.7131:                             ;   in Loop: Header=BB2_6837 Depth=2
	s_or_b32 exec_lo, exec_lo, s15
.LBB2_7132:                             ;   in Loop: Header=BB2_6837 Depth=2
	s_delay_alu instid0(SALU_CYCLE_1) | instskip(SKIP_2) | instid1(VALU_DEP_1)
	s_or_b32 exec_lo, exec_lo, s14
	v_readlane_b32 s14, v46, 3
	s_add_i32 s13, s31, 1
	s_cmp_eq_u32 s31, s14
	s_cbranch_scc0 .LBB2_6837
.LBB2_7133:                             ;   in Loop: Header=BB2_51 Depth=1
	s_mov_b32 s13, s35
	v_mul_lo_u32 v10, v38, s34
	v_mul_lo_u32 v2, v39, s13
	v_mad_u64_u32 v[8:9], null, v38, s13, 0
	v_mov_b32_e32 v50, 0
	s_mov_b32 s16, 0
	s_delay_alu instid0(VALU_DEP_2) | instskip(NEXT) | instid1(VALU_DEP_3)
	v_add3_u32 v9, v9, v10, v2
	v_sub_co_u32 v10, vcc_lo, v48, v8
	s_delay_alu instid0(VALU_DEP_2) | instskip(NEXT) | instid1(VALU_DEP_1)
	v_sub_co_ci_u32_e32 v11, vcc_lo, v49, v9, vcc_lo
	v_cmp_lt_i64_e32 vcc_lo, v[38:39], v[10:11]
	v_cndmask_b32_e32 v10, v10, v38, vcc_lo
	s_delay_alu instid0(VALU_DEP_1) | instskip(SKIP_1) | instid1(VALU_DEP_2)
	v_max_i32_e32 v48, 0, v10
	v_cmp_lt_i32_e32 vcc_lo, 0, v10
	v_add_nc_u32_e32 v2, 31, v48
	s_and_b32 s13, s30, vcc_lo
	s_delay_alu instid0(VALU_DEP_1) | instskip(NEXT) | instid1(VALU_DEP_1)
	v_lshrrev_b32_e32 v2, 1, v2
	v_dual_mov_b32 v2, 0 :: v_dual_and_b32 v11, 0x3ffffff0, v2
	s_delay_alu instid0(VALU_DEP_1)
	v_max_i32_e32 v49, s28, v11
	s_and_saveexec_b32 s15, s13
	s_cbranch_execz .LBB2_7294
; %bb.7134:                             ;   in Loop: Header=BB2_51 Depth=1
	v_add_co_u32 v51, vcc_lo, v8, v116
	v_add_co_ci_u32_e32 v52, vcc_lo, v9, v117, vcc_lo
	v_mov_b32_e32 v50, 0
	s_mov_b32 s31, 1
	s_mov_b32 s17, -1
.LBB2_7135:                             ;   Parent Loop BB2_51 Depth=1
                                        ; =>  This Loop Header: Depth=2
                                        ;       Child Loop BB2_7144 Depth 3
                                        ;       Child Loop BB2_7171 Depth 3
	;; [unrolled: 1-line block ×9, first 2 shown]
	s_and_saveexec_b32 s14, s0
	s_cbranch_execz .LBB2_7138
; %bb.7136:                             ;   in Loop: Header=BB2_7135 Depth=2
	s_cbranch_execnz .LBB2_7549
; %bb.7137:                             ;   in Loop: Header=BB2_7135 Depth=2
	ds_load_b128 v[8:11], v0
	v_ashrrev_i32_e32 v2, 31, v50
	s_waitcnt lgkmcnt(0)
	v_add_co_u32 v53, vcc_lo, v10, v51
	v_add_co_ci_u32_e32 v54, vcc_lo, v11, v52, vcc_lo
	v_add_co_u32 v8, vcc_lo, v8, v51
	v_add_co_ci_u32_e32 v9, vcc_lo, v9, v52, vcc_lo
	s_delay_alu instid0(VALU_DEP_4) | instskip(NEXT) | instid1(VALU_DEP_4)
	v_add_co_u32 v53, vcc_lo, v53, v50
	v_add_co_ci_u32_e32 v54, vcc_lo, v54, v2, vcc_lo
	v_cmp_ne_u64_e32 vcc_lo, 0, v[10:11]
	v_add_co_u32 v8, s13, v8, v50
	s_delay_alu instid0(VALU_DEP_1) | instskip(NEXT) | instid1(VALU_DEP_4)
	v_add_co_ci_u32_e64 v9, s13, v9, v2, s13
	v_dual_cndmask_b32 v11, 0, v54 :: v_dual_cndmask_b32 v10, 0, v53
	ds_store_b64 v0, v[8:9]
	ds_store_b64 v0, v[10:11]
.LBB2_7138:                             ;   in Loop: Header=BB2_7135 Depth=2
	s_or_b32 exec_lo, exec_lo, s14
	v_and_b32_e32 v2, 4, v30
	s_mov_b32 s14, -1
	s_mov_b32 s13, exec_lo
	s_delay_alu instid0(VALU_DEP_1)
	v_cmpx_ne_u32_e32 0, v2
	s_cbranch_execz .LBB2_7152
; %bb.7139:                             ;   in Loop: Header=BB2_7135 Depth=2
	v_add_co_u32 v8, vcc_lo, v22, 2
	v_add_co_ci_u32_e32 v9, vcc_lo, 0, v23, vcc_lo
	v_mov_b32_e32 v2, 1
	s_mov_b32 s14, exec_lo
	s_delay_alu instid0(VALU_DEP_2)
	v_cmpx_lt_u64_e64 v[28:29], v[8:9]
	s_cbranch_execz .LBB2_7151
; %bb.7140:                             ;   in Loop: Header=BB2_7135 Depth=2
	v_mov_b32_e32 v2, 0
	s_mov_b32 s36, 0
                                        ; implicit-def: $sgpr37
	s_branch .LBB2_7144
.LBB2_7141:                             ;   in Loop: Header=BB2_7144 Depth=3
	s_or_b32 exec_lo, exec_lo, s41
	v_mov_b32_e32 v10, 0
	s_or_not1_b32 s40, s40, exec_lo
.LBB2_7142:                             ;   in Loop: Header=BB2_7144 Depth=3
	s_or_b32 exec_lo, exec_lo, s39
	s_delay_alu instid0(VALU_DEP_1) | instskip(SKIP_2) | instid1(SALU_CYCLE_1)
	v_mov_b32_e32 v2, v10
	s_and_not1_b32 vcc_lo, s37, exec_lo
	s_and_b32 s37, s40, exec_lo
	s_or_b32 s37, vcc_lo, s37
.LBB2_7143:                             ;   in Loop: Header=BB2_7144 Depth=3
	s_or_b32 exec_lo, exec_lo, s38
	s_waitcnt vmcnt(0) lgkmcnt(0)
	v_cmp_ge_u64_e32 vcc_lo, v[28:29], v[8:9]
	s_xor_b32 s38, s37, -1
	s_delay_alu instid0(SALU_CYCLE_1) | instskip(NEXT) | instid1(SALU_CYCLE_1)
	s_or_b32 vcc_lo, s38, vcc_lo
	s_and_b32 vcc_lo, exec_lo, vcc_lo
	s_delay_alu instid0(SALU_CYCLE_1) | instskip(NEXT) | instid1(SALU_CYCLE_1)
	s_or_b32 s36, vcc_lo, s36
	s_and_not1_b32 exec_lo, exec_lo, s36
	s_cbranch_execz .LBB2_7150
.LBB2_7144:                             ;   Parent Loop BB2_51 Depth=1
                                        ;     Parent Loop BB2_7135 Depth=2
                                        ; =>    This Inner Loop Header: Depth=3
	s_sleep 1
	flat_load_b64 v[28:29], v[20:21] glc
	v_and_b32_e32 v10, 64, v30
	s_and_not1_b32 s37, s37, exec_lo
	s_mov_b32 s38, exec_lo
	s_delay_alu instid0(VALU_DEP_1)
	v_cmpx_eq_u32_e32 0, v10
	s_cbranch_execz .LBB2_7143
; %bb.7145:                             ;   in Loop: Header=BB2_7144 Depth=3
	v_add_nc_u32_e32 v10, 1, v2
	s_mov_b32 s40, -1
	s_mov_b32 s39, exec_lo
	v_cmpx_lt_i32_e32 0x270e, v2
	s_cbranch_execz .LBB2_7142
; %bb.7146:                             ;   in Loop: Header=BB2_7144 Depth=3
	s_cbranch_execnz .LBB2_7593
; %bb.7147:                             ;   in Loop: Header=BB2_7144 Depth=3
	ds_load_b64 v[10:11], v0
	s_mov_b32 s41, exec_lo
	s_waitcnt vmcnt(0) lgkmcnt(0)
	s_waitcnt_vscnt null, 0x0
	flat_load_b32 v2, v[10:11] glc
	s_waitcnt vmcnt(0) lgkmcnt(0)
	buffer_gl1_inv
	buffer_gl0_inv
	v_cmpx_ne_u32_e32 0, v2
	s_cbranch_execz .LBB2_7141
; %bb.7148:                             ;   in Loop: Header=BB2_7144 Depth=3
	ds_store_b32 v0, v2
	s_cbranch_execnz .LBB2_7675
; %bb.7149:                             ;   in Loop: Header=BB2_7144 Depth=3
	v_or_b32_e32 v30, 64, v30
	s_xor_b32 s40, exec_lo, -1
	s_branch .LBB2_7141
.LBB2_7150:                             ;   in Loop: Header=BB2_7135 Depth=2
	s_or_b32 exec_lo, exec_lo, s36
	v_and_b32_e32 v2, 4, v30
.LBB2_7151:                             ;   in Loop: Header=BB2_7135 Depth=2
	s_or_b32 exec_lo, exec_lo, s14
	s_delay_alu instid0(VALU_DEP_1)
	v_cmp_eq_u32_e32 vcc_lo, 0, v2
	;;#ASMSTART
	s_wakeup
	;;#ASMEND
	s_or_not1_b32 s14, vcc_lo, exec_lo
.LBB2_7152:                             ;   in Loop: Header=BB2_7135 Depth=2
	s_or_b32 exec_lo, exec_lo, s13
	s_xor_b32 s13, s14, -1
	s_delay_alu instid0(SALU_CYCLE_1)
	s_and_saveexec_b32 s14, s13
	s_cbranch_execz .LBB2_7162
; %bb.7153:                             ;   in Loop: Header=BB2_7135 Depth=2
	v_and_b32_e32 v2, 0x100, v30
	s_mov_b32 s13, -1
                                        ; implicit-def: $vgpr8_vgpr9
	s_delay_alu instid0(VALU_DEP_1)
	v_cmp_ne_u32_e32 vcc_lo, 0, v2
	v_and_b32_e32 v2, 7, v22
	s_and_saveexec_b32 s36, vcc_lo
	s_cbranch_execz .LBB2_7157
; %bb.7154:                             ;   in Loop: Header=BB2_7135 Depth=2
	s_delay_alu instid0(VALU_DEP_1) | instskip(SKIP_4) | instid1(VALU_DEP_1)
	v_mad_u64_u32 v[10:11], null, v2, 24, v[6:7]
	flat_load_b32 v8, v[10:11]
	s_waitcnt vmcnt(0) lgkmcnt(0)
	v_cmp_ne_u32_e32 vcc_lo, 1, v8
	v_cmp_eq_u32_e64 s13, 1, v8
                                        ; implicit-def: $vgpr8_vgpr9
	s_and_saveexec_b32 s37, s13
	s_cbranch_execz .LBB2_7156
; %bb.7155:                             ;   in Loop: Header=BB2_7135 Depth=2
	flat_load_b32 v8, v[10:11] offset:4 glc
	s_waitcnt vmcnt(0) lgkmcnt(0)
	v_ashrrev_i32_e32 v9, 31, v8
.LBB2_7156:                             ;   in Loop: Header=BB2_7135 Depth=2
	s_or_b32 exec_lo, exec_lo, s37
	s_delay_alu instid0(SALU_CYCLE_1)
	s_or_not1_b32 s13, vcc_lo, exec_lo
.LBB2_7157:                             ;   in Loop: Header=BB2_7135 Depth=2
	s_or_b32 exec_lo, exec_lo, s36
	s_and_saveexec_b32 vcc_lo, s13
; %bb.7158:                             ;   in Loop: Header=BB2_7135 Depth=2
	v_mad_i64_i32 v[8:9], null, v2, v68, 0
; %bb.7159:                             ;   in Loop: Header=BB2_7135 Depth=2
	s_or_b32 exec_lo, exec_lo, vcc_lo
	s_delay_alu instid0(VALU_DEP_1) | instskip(SKIP_1) | instid1(VALU_DEP_3)
	v_add_co_u32 v8, vcc_lo, v24, v8
	v_and_b32_e32 v2, 0x2000, v30
	v_add_co_ci_u32_e32 v9, vcc_lo, v25, v9, vcc_lo
	s_mov_b32 s13, exec_lo
	ds_store_b64 v0, v[8:9] offset:720
	v_cmpx_ne_u32_e32 0, v2
	s_cbranch_execz .LBB2_7161
; %bb.7160:                             ;   in Loop: Header=BB2_7135 Depth=2
	ds_load_b64 v[8:9], v0 offset:584
	s_waitcnt lgkmcnt(0)
	v_add_co_u32 v8, vcc_lo, v8, 1
	v_add_co_ci_u32_e32 v9, vcc_lo, 0, v9, vcc_lo
	ds_store_b64 v0, v[8:9] offset:584
.LBB2_7161:                             ;   in Loop: Header=BB2_7135 Depth=2
	s_or_b32 exec_lo, exec_lo, s13
	v_add_co_u32 v22, vcc_lo, v22, 2
	v_add_co_ci_u32_e32 v23, vcc_lo, 0, v23, vcc_lo
.LBB2_7162:                             ;   in Loop: Header=BB2_7135 Depth=2
	s_or_b32 exec_lo, exec_lo, s14
	s_and_saveexec_b32 s13, s3
	s_cbranch_execz .LBB2_7184
; %bb.7163:                             ;   in Loop: Header=BB2_7135 Depth=2
	s_and_saveexec_b32 s14, s4
	s_delay_alu instid0(SALU_CYCLE_1)
	s_xor_b32 s14, exec_lo, s14
	s_cbranch_execz .LBB2_7181
; %bb.7164:                             ;   in Loop: Header=BB2_7135 Depth=2
	s_and_saveexec_b32 s36, s1
	s_cbranch_execz .LBB2_7180
; %bb.7165:                             ;   in Loop: Header=BB2_7135 Depth=2
	s_mov_b32 s38, exec_lo
	s_mov_b32 s37, exec_lo
	v_mbcnt_lo_u32_b32 v2, s38, 0
	s_waitcnt lgkmcnt(0)
	s_waitcnt_vscnt null, 0x0
	buffer_gl1_inv
	buffer_gl0_inv
	v_cmpx_eq_u32_e32 0, v2
	s_cbranch_execz .LBB2_7167
; %bb.7166:                             ;   in Loop: Header=BB2_7135 Depth=2
	s_bcnt1_i32_b32 vcc_lo, s38
	s_delay_alu instid0(SALU_CYCLE_1)
	v_mov_b32_e32 v2, vcc_lo
	ds_add_u64 v0, v[2:3]
	s_cbranch_execnz .LBB2_7711
.LBB2_7167:                             ;   in Loop: Header=BB2_7135 Depth=2
	s_or_b32 exec_lo, exec_lo, s37
	s_cbranch_execnz .LBB2_7685
; %bb.7168:                             ;   in Loop: Header=BB2_7135 Depth=2
	ds_load_b64 v[8:9], v0
	v_add_co_u32 v12, vcc_lo, v12, v71
	v_add_co_ci_u32_e32 v13, vcc_lo, 0, v13, vcc_lo
	s_mov_b32 s37, exec_lo
	s_waitcnt lgkmcnt(0)
	s_delay_alu instid0(VALU_DEP_1)
	v_cmpx_lt_u64_e64 v[8:9], v[12:13]
	s_cbranch_execz .LBB2_7179
; %bb.7169:                             ;   in Loop: Header=BB2_7135 Depth=2
	s_mov_b32 s38, 0
	s_mov_b32 s41, 0
                                        ; implicit-def: $sgpr39
                                        ; implicit-def: $sgpr40
	s_branch .LBB2_7171
.LBB2_7170:                             ;   in Loop: Header=BB2_7171 Depth=3
	s_or_b32 exec_lo, exec_lo, s43
	s_delay_alu instid0(SALU_CYCLE_1) | instskip(NEXT) | instid1(SALU_CYCLE_1)
	s_and_b32 vcc_lo, exec_lo, vcc_lo
	s_or_b32 s38, vcc_lo, s38
	s_and_not1_b32 vcc_lo, s39, exec_lo
	s_and_b32 s39, s40, exec_lo
	s_delay_alu instid0(SALU_CYCLE_1)
	s_or_b32 s39, vcc_lo, s39
	s_and_not1_b32 exec_lo, exec_lo, s38
	s_cbranch_execz .LBB2_7177
.LBB2_7171:                             ;   Parent Loop BB2_51 Depth=1
                                        ;     Parent Loop BB2_7135 Depth=2
                                        ; =>    This Inner Loop Header: Depth=3
	s_add_i32 s41, s41, 1
                                        ; implicit-def: $sgpr43
	s_delay_alu instid0(SALU_CYCLE_1) | instskip(SKIP_1) | instid1(SALU_CYCLE_1)
	s_cmpk_lg_i32 s41, 0x2710
	s_cselect_b32 s42, -1, 0
	s_and_b32 vcc_lo, exec_lo, s42
	s_cbranch_vccz .LBB2_7175
.LBB2_7172:                             ;   in Loop: Header=BB2_7171 Depth=3
	s_and_not1_b32 s40, s40, exec_lo
	s_and_b32 s43, s43, exec_lo
	s_mov_b32 vcc_lo, -1
	s_or_b32 s40, s40, s43
	s_and_saveexec_b32 s43, s42
	s_cbranch_execz .LBB2_7170
; %bb.7173:                             ;   in Loop: Header=BB2_7171 Depth=3
	s_sleep 1
	s_cbranch_execnz .LBB2_7765
; %bb.7174:                             ;   in Loop: Header=BB2_7171 Depth=3
	ds_load_b64 v[8:9], v0
	s_and_not1_b32 s40, s40, exec_lo
	s_waitcnt lgkmcnt(0)
	v_cmp_ge_u64_e32 vcc_lo, v[8:9], v[12:13]
	s_or_not1_b32 vcc_lo, vcc_lo, exec_lo
	s_branch .LBB2_7170
.LBB2_7175:                             ;   in Loop: Header=BB2_7171 Depth=3
	s_cbranch_execnz .LBB2_7785
; %bb.7176:                             ;   in Loop: Header=BB2_7171 Depth=3
	ds_load_b64 v[8:9], v0
	s_and_not1_b32 s42, s42, exec_lo
	s_mov_b32 s41, 0
	s_mov_b32 s43, -1
	s_waitcnt lgkmcnt(0)
	flat_load_b32 v2, v[8:9] glc
	s_waitcnt vmcnt(0) lgkmcnt(0)
	buffer_gl1_inv
	buffer_gl0_inv
	v_cmp_eq_u32_e32 vcc_lo, 0, v2
	s_and_b32 vcc_lo, vcc_lo, exec_lo
	s_delay_alu instid0(SALU_CYCLE_1)
	s_or_b32 s42, s42, vcc_lo
	s_branch .LBB2_7172
.LBB2_7177:                             ;   in Loop: Header=BB2_7135 Depth=2
	s_or_b32 exec_lo, exec_lo, s38
	s_and_saveexec_b32 vcc_lo, s39
	s_delay_alu instid0(SALU_CYCLE_1)
	s_xor_b32 vcc_lo, exec_lo, vcc_lo
	s_cbranch_execz .LBB2_7179
; %bb.7178:                             ;   in Loop: Header=BB2_7135 Depth=2
	ds_store_b32 v0, v115
	s_cbranch_execnz .LBB2_7909
.LBB2_7179:                             ;   in Loop: Header=BB2_7135 Depth=2
	s_or_b32 exec_lo, exec_lo, s37
	;;#ASMSTART
	s_wakeup
	;;#ASMEND
.LBB2_7180:                             ;   in Loop: Header=BB2_7135 Depth=2
	s_or_b32 exec_lo, exec_lo, s36
.LBB2_7181:                             ;   in Loop: Header=BB2_7135 Depth=2
	s_and_not1_saveexec_b32 s14, s14
	s_cbranch_execz .LBB2_7183
; %bb.7182:                             ;   in Loop: Header=BB2_7135 Depth=2
	s_waitcnt lgkmcnt(0)
	s_waitcnt_vscnt null, 0x0
	buffer_gl1_inv
	buffer_gl0_inv
	s_barrier
.LBB2_7183:                             ;   in Loop: Header=BB2_7135 Depth=2
	s_or_b32 exec_lo, exec_lo, s14
.LBB2_7184:                             ;   in Loop: Header=BB2_7135 Depth=2
	s_delay_alu instid0(SALU_CYCLE_1)
	s_or_b32 exec_lo, exec_lo, s13
	s_cbranch_execnz .LBB2_7545
; %bb.7185:                             ;   in Loop: Header=BB2_7135 Depth=2
	ds_load_b32 v8, v0
	v_and_b32_e32 v2, 0x4000, v30
	s_xor_b32 s13, s2, -1
	s_delay_alu instid0(VALU_DEP_1) | instskip(SKIP_1) | instid1(SALU_CYCLE_1)
	v_cmp_ne_u32_e32 vcc_lo, 0, v2
	s_and_b32 s14, s13, vcc_lo
	s_and_saveexec_b32 s13, s14
	s_cbranch_execz .LBB2_7207
; %bb.7186:                             ;   in Loop: Header=BB2_7135 Depth=2
	s_and_saveexec_b32 s14, s4
	s_delay_alu instid0(SALU_CYCLE_1)
	s_xor_b32 s14, exec_lo, s14
	s_cbranch_execz .LBB2_7204
; %bb.7187:                             ;   in Loop: Header=BB2_7135 Depth=2
	s_and_saveexec_b32 s36, s1
	s_cbranch_execz .LBB2_7203
; %bb.7188:                             ;   in Loop: Header=BB2_7135 Depth=2
	s_mov_b32 s38, exec_lo
	s_mov_b32 s37, exec_lo
	v_mbcnt_lo_u32_b32 v2, s38, 0
	s_waitcnt lgkmcnt(0)
	s_waitcnt_vscnt null, 0x0
	buffer_gl1_inv
	buffer_gl0_inv
	v_cmpx_eq_u32_e32 0, v2
	s_cbranch_execz .LBB2_7190
; %bb.7189:                             ;   in Loop: Header=BB2_7135 Depth=2
	s_bcnt1_i32_b32 vcc_lo, s38
	s_delay_alu instid0(SALU_CYCLE_1)
	v_mov_b32_e32 v2, vcc_lo
	ds_add_u64 v0, v[2:3]
	s_cbranch_execnz .LBB2_7757
.LBB2_7190:                             ;   in Loop: Header=BB2_7135 Depth=2
	s_or_b32 exec_lo, exec_lo, s37
	s_cbranch_execnz .LBB2_7731
; %bb.7191:                             ;   in Loop: Header=BB2_7135 Depth=2
	ds_load_b64 v[9:10], v0
	v_add_co_u32 v12, vcc_lo, v12, v71
	v_add_co_ci_u32_e32 v13, vcc_lo, 0, v13, vcc_lo
	s_mov_b32 s37, exec_lo
	s_waitcnt lgkmcnt(0)
	s_delay_alu instid0(VALU_DEP_1)
	v_cmpx_lt_u64_e64 v[9:10], v[12:13]
	s_cbranch_execz .LBB2_7202
; %bb.7192:                             ;   in Loop: Header=BB2_7135 Depth=2
	s_mov_b32 s38, 0
	s_mov_b32 s41, 0
                                        ; implicit-def: $sgpr39
                                        ; implicit-def: $sgpr40
	s_branch .LBB2_7194
.LBB2_7193:                             ;   in Loop: Header=BB2_7194 Depth=3
	s_or_b32 exec_lo, exec_lo, s43
	s_delay_alu instid0(SALU_CYCLE_1) | instskip(NEXT) | instid1(SALU_CYCLE_1)
	s_and_b32 vcc_lo, exec_lo, vcc_lo
	s_or_b32 s38, vcc_lo, s38
	s_and_not1_b32 vcc_lo, s39, exec_lo
	s_and_b32 s39, s40, exec_lo
	s_delay_alu instid0(SALU_CYCLE_1)
	s_or_b32 s39, vcc_lo, s39
	s_and_not1_b32 exec_lo, exec_lo, s38
	s_cbranch_execz .LBB2_7200
.LBB2_7194:                             ;   Parent Loop BB2_51 Depth=1
                                        ;     Parent Loop BB2_7135 Depth=2
                                        ; =>    This Inner Loop Header: Depth=3
	s_add_i32 s41, s41, 1
                                        ; implicit-def: $sgpr43
	s_delay_alu instid0(SALU_CYCLE_1) | instskip(SKIP_1) | instid1(SALU_CYCLE_1)
	s_cmpk_lg_i32 s41, 0x2710
	s_cselect_b32 s42, -1, 0
	s_and_b32 vcc_lo, exec_lo, s42
	s_cbranch_vccz .LBB2_7198
.LBB2_7195:                             ;   in Loop: Header=BB2_7194 Depth=3
	s_and_not1_b32 s40, s40, exec_lo
	s_and_b32 s43, s43, exec_lo
	s_mov_b32 vcc_lo, -1
	s_or_b32 s40, s40, s43
	s_and_saveexec_b32 s43, s42
	s_cbranch_execz .LBB2_7193
; %bb.7196:                             ;   in Loop: Header=BB2_7194 Depth=3
	s_sleep 1
	s_cbranch_execnz .LBB2_7819
; %bb.7197:                             ;   in Loop: Header=BB2_7194 Depth=3
	ds_load_b64 v[9:10], v0
	s_and_not1_b32 s40, s40, exec_lo
	s_waitcnt lgkmcnt(0)
	v_cmp_ge_u64_e32 vcc_lo, v[9:10], v[12:13]
	s_or_not1_b32 vcc_lo, vcc_lo, exec_lo
	s_branch .LBB2_7193
.LBB2_7198:                             ;   in Loop: Header=BB2_7194 Depth=3
	s_cbranch_execnz .LBB2_7833
; %bb.7199:                             ;   in Loop: Header=BB2_7194 Depth=3
	ds_load_b64 v[9:10], v0
	s_and_not1_b32 s42, s42, exec_lo
	s_mov_b32 s41, 0
	s_mov_b32 s43, -1
	s_waitcnt lgkmcnt(0)
	flat_load_b32 v2, v[9:10] glc
	s_waitcnt vmcnt(0) lgkmcnt(0)
	buffer_gl1_inv
	buffer_gl0_inv
	v_cmp_eq_u32_e32 vcc_lo, 0, v2
	s_and_b32 vcc_lo, vcc_lo, exec_lo
	s_delay_alu instid0(SALU_CYCLE_1)
	s_or_b32 s42, s42, vcc_lo
	s_branch .LBB2_7195
.LBB2_7200:                             ;   in Loop: Header=BB2_7135 Depth=2
	s_or_b32 exec_lo, exec_lo, s38
	s_and_saveexec_b32 vcc_lo, s39
	s_delay_alu instid0(SALU_CYCLE_1)
	s_xor_b32 vcc_lo, exec_lo, vcc_lo
	s_cbranch_execz .LBB2_7202
; %bb.7201:                             ;   in Loop: Header=BB2_7135 Depth=2
	ds_store_b32 v0, v115
	s_cbranch_execnz .LBB2_7923
.LBB2_7202:                             ;   in Loop: Header=BB2_7135 Depth=2
	s_or_b32 exec_lo, exec_lo, s37
	;;#ASMSTART
	s_wakeup
	;;#ASMEND
.LBB2_7203:                             ;   in Loop: Header=BB2_7135 Depth=2
	s_or_b32 exec_lo, exec_lo, s36
.LBB2_7204:                             ;   in Loop: Header=BB2_7135 Depth=2
	s_and_not1_saveexec_b32 s14, s14
	s_cbranch_execz .LBB2_7206
; %bb.7205:                             ;   in Loop: Header=BB2_7135 Depth=2
	s_waitcnt lgkmcnt(0)
	s_waitcnt_vscnt null, 0x0
	buffer_gl1_inv
	buffer_gl0_inv
	s_barrier
.LBB2_7206:                             ;   in Loop: Header=BB2_7135 Depth=2
	s_or_b32 exec_lo, exec_lo, s14
.LBB2_7207:                             ;   in Loop: Header=BB2_7135 Depth=2
	s_delay_alu instid0(SALU_CYCLE_1)
	s_or_b32 exec_lo, exec_lo, s13
	s_cbranch_execnz .LBB2_7601
; %bb.7208:                             ;   in Loop: Header=BB2_7135 Depth=2
	ds_load_b64 v[9:10], v0
	v_sub_nc_u32_e32 v2, v48, v50
	v_mov_b32_e32 v53, 0
	s_delay_alu instid0(VALU_DEP_2) | instskip(SKIP_3) | instid1(SALU_CYCLE_1)
	v_min_i32_e32 v49, v49, v2
	s_waitcnt lgkmcnt(0)
	v_cmp_eq_u64_e32 vcc_lo, 0, v[9:10]
	s_or_b32 s13, vcc_lo, vcc_lo
	s_and_b32 vcc_lo, exec_lo, s13
	s_cbranch_vccnz .LBB2_7242
; %bb.7209:                             ;   in Loop: Header=BB2_7135 Depth=2
	s_mov_b32 s13, -1
	s_and_saveexec_b32 s14, s6
	s_cbranch_execz .LBB2_7211
; %bb.7210:                             ;   in Loop: Header=BB2_7135 Depth=2
	ds_load_b32 v2, v0 offset:720
	s_waitcnt lgkmcnt(0)
	v_and_b32_e32 v2, 15, v2
	s_delay_alu instid0(VALU_DEP_1)
	v_cmp_eq_u32_e32 vcc_lo, 0, v2
	s_or_not1_b32 s13, vcc_lo, exec_lo
.LBB2_7211:                             ;   in Loop: Header=BB2_7135 Depth=2
	s_or_b32 exec_lo, exec_lo, s14
	s_and_saveexec_b32 s14, s5
	s_cbranch_execz .LBB2_7213
; %bb.7212:                             ;   in Loop: Header=BB2_7135 Depth=2
	ds_load_b32 v2, v0 offset:784
	s_waitcnt lgkmcnt(0)
	v_and_b32_e32 v2, 15, v2
	s_delay_alu instid0(VALU_DEP_1) | instskip(SKIP_3) | instid1(SALU_CYCLE_1)
	v_cmp_eq_u32_e32 vcc_lo, 0, v2
	s_and_b32 vcc_lo, s13, vcc_lo
	s_and_not1_b32 s13, s13, exec_lo
	s_and_b32 vcc_lo, vcc_lo, exec_lo
	s_or_b32 s13, s13, vcc_lo
.LBB2_7213:                             ;   in Loop: Header=BB2_7135 Depth=2
	s_or_b32 exec_lo, exec_lo, s14
	v_cmp_eq_u32_e32 vcc_lo, 0, v8
	s_xor_b32 s13, s13, -1
	v_mov_b32_e32 v66, v80
	v_cndmask_b32_e64 v2, 0, 1, s13
	;;#ASMSTART
	;;#ASMEND
	v_cndmask_b32_e32 v53, 0, v49, vcc_lo
	s_delay_alu instid0(VALU_DEP_2) | instskip(SKIP_2) | instid1(VALU_DEP_3)
	v_cmp_ne_u32_e32 vcc_lo, 0, v2
	v_mov_b32_e32 v2, 0
	s_mov_b32 s13, -1
	v_dual_mov_b32 v55, v0 :: v_dual_mov_b32 v54, v53
	s_cbranch_vccnz .LBB2_7229
; %bb.7214:                             ;   in Loop: Header=BB2_7135 Depth=2
	v_ashrrev_i32_e32 v2, 31, v53
	s_mov_b32 s14, exec_lo
	s_delay_alu instid0(VALU_DEP_1) | instskip(NEXT) | instid1(VALU_DEP_1)
	v_lshrrev_b32_e32 v2, 22, v2
	v_add_nc_u32_e32 v2, v53, v2
	s_delay_alu instid0(VALU_DEP_1) | instskip(NEXT) | instid1(VALU_DEP_1)
	v_ashrrev_i32_e32 v2, 10, v2
	v_sub_nc_u32_e32 v64, v2, v80
	s_delay_alu instid0(VALU_DEP_1)
	v_cmpx_lt_i32_e32 0, v64
	s_cbranch_execz .LBB2_7219
; %bb.7215:                             ;   in Loop: Header=BB2_7135 Depth=2
	s_cbranch_execnz .LBB2_7789
; %bb.7216:                             ;   in Loop: Header=BB2_7135 Depth=2
	ds_load_b64 v[8:9], v0
	v_dual_mov_b32 v10, v34 :: v_dual_mov_b32 v11, v35
	s_mov_b32 s36, 0
.LBB2_7217:                             ;   Parent Loop BB2_51 Depth=1
                                        ;     Parent Loop BB2_7135 Depth=2
                                        ; =>    This Inner Loop Header: Depth=3
	s_waitcnt lgkmcnt(0)
	s_delay_alu instid0(VALU_DEP_1) | instskip(NEXT) | instid1(VALU_DEP_2)
	v_add_co_u32 v54, vcc_lo, v8, v10
	v_add_co_ci_u32_e32 v55, vcc_lo, v9, v11, vcc_lo
	v_sub_nc_u32_e32 v64, v64, v71
	v_add_co_u32 v10, s13, v10, v84
	s_clause 0x1
	global_load_b128 v[116:119], v[54:55], off slc dlc
	global_load_b128 v[128:131], v[54:55], off offset:512 slc dlc
	v_add_co_ci_u32_e64 v11, s13, v11, v85, s13
	v_cmp_gt_i32_e32 vcc_lo, 1, v64
	s_waitcnt vmcnt(1)
	global_store_b128 v[54:55], v[116:119], off glc slc dlc
	s_waitcnt vmcnt(0)
	global_store_b128 v[54:55], v[128:131], off offset:512 glc slc dlc
	s_or_b32 s36, vcc_lo, s36
	s_delay_alu instid0(SALU_CYCLE_1)
	s_and_not1_b32 exec_lo, exec_lo, s36
	s_cbranch_execnz .LBB2_7217
; %bb.7218:                             ;   in Loop: Header=BB2_7135 Depth=2
	s_or_b32 exec_lo, exec_lo, s36
.LBB2_7219:                             ;   in Loop: Header=BB2_7135 Depth=2
	s_delay_alu instid0(SALU_CYCLE_1) | instskip(SKIP_4) | instid1(VALU_DEP_2)
	s_or_b32 exec_lo, exec_lo, s14
	v_lshlrev_b32_e32 v10, 10, v2
	v_mov_b32_e32 v2, 0
	s_mov_b32 s13, 0
	s_mov_b32 s36, exec_lo
                                        ; implicit-def: $vgpr54
                                        ; implicit-def: $vgpr55
                                        ; implicit-def: $vgpr66
	v_cmpx_ne_u32_e64 v53, v10
	s_cbranch_execz .LBB2_7228
; %bb.7220:                             ;   in Loop: Header=BB2_7135 Depth=2
	v_lshlrev_b32_e32 v2, 5, v64
	v_sub_nc_u32_e32 v9, v53, v10
	s_mov_b32 s37, exec_lo
	s_delay_alu instid0(VALU_DEP_2) | instskip(NEXT) | instid1(VALU_DEP_2)
	v_sub_nc_u32_e32 v2, v81, v2
	v_ashrrev_i32_e32 v11, 31, v9
	s_delay_alu instid0(VALU_DEP_2) | instskip(NEXT) | instid1(VALU_DEP_2)
	v_ashrrev_i32_e32 v8, 31, v2
	v_lshrrev_b32_e32 v11, 23, v11
	s_delay_alu instid0(VALU_DEP_2) | instskip(NEXT) | instid1(VALU_DEP_2)
	v_lshrrev_b32_e32 v8, 27, v8
	v_add_nc_u32_e32 v55, v9, v11
	s_delay_alu instid0(VALU_DEP_2) | instskip(NEXT) | instid1(VALU_DEP_2)
	v_add_nc_u32_e32 v8, v2, v8
	v_and_b32_e32 v11, 0xfffffe00, v55
	v_ashrrev_i32_e32 v55, 9, v55
	s_delay_alu instid0(VALU_DEP_3) | instskip(NEXT) | instid1(VALU_DEP_3)
	v_and_b32_e32 v54, 0xffffffe0, v8
	v_sub_nc_u32_e32 v65, v9, v11
	v_ashrrev_i32_e32 v8, 5, v8
	s_delay_alu instid0(VALU_DEP_3) | instskip(NEXT) | instid1(VALU_DEP_3)
	v_sub_nc_u32_e32 v64, v2, v54
	v_cmp_lt_i32_e32 vcc_lo, 15, v65
	s_delay_alu instid0(VALU_DEP_2) | instskip(SKIP_1) | instid1(VALU_DEP_2)
	v_lshlrev_b32_e32 v2, 4, v64
	v_add_co_ci_u32_e64 v55, s13, 0, v55, vcc_lo
	v_lshl_add_u32 v54, v8, 9, v2
	s_delay_alu instid0(VALU_DEP_2) | instskip(NEXT) | instid1(VALU_DEP_2)
	v_sub_nc_u32_e32 v67, v55, v8
	v_sub_nc_u32_e32 v2, v9, v54
	s_delay_alu instid0(VALU_DEP_1)
	v_cmpx_lt_i32_e32 15, v2
	s_cbranch_execz .LBB2_7225
; %bb.7221:                             ;   in Loop: Header=BB2_7135 Depth=2
	s_cbranch_execnz .LBB2_7845
; %bb.7222:                             ;   in Loop: Header=BB2_7135 Depth=2
	ds_load_b64 v[8:9], v0
	v_add_nc_u32_e32 v54, v54, v10
	s_mov_b32 s38, 0
	s_delay_alu instid0(VALU_DEP_1)
	v_ashrrev_i32_e32 v55, 31, v54
.LBB2_7223:                             ;   Parent Loop BB2_51 Depth=1
                                        ;     Parent Loop BB2_7135 Depth=2
                                        ; =>    This Inner Loop Header: Depth=3
	s_waitcnt lgkmcnt(0)
	v_add_co_u32 v128, s13, v8, v54
	s_delay_alu instid0(VALU_DEP_1)
	v_add_co_ci_u32_e64 v129, s13, v9, v55, s13
	v_sub_nc_u32_e32 v2, v2, v82
	v_add_co_u32 v54, s14, v54, v96
	global_load_b128 v[116:119], v[128:129], off slc dlc
	v_sub_nc_u32_e32 v67, v67, v71
	v_cmp_gt_i32_e64 s13, 16, v2
	v_add_co_ci_u32_e64 v55, s14, v55, v97, s14
	s_delay_alu instid0(VALU_DEP_2)
	s_or_b32 s38, s13, s38
	s_waitcnt vmcnt(0)
	global_store_b128 v[128:129], v[116:119], off glc slc dlc
	s_and_not1_b32 exec_lo, exec_lo, s38
	s_cbranch_execnz .LBB2_7223
; %bb.7224:                             ;   in Loop: Header=BB2_7135 Depth=2
	s_or_b32 exec_lo, exec_lo, s38
.LBB2_7225:                             ;   in Loop: Header=BB2_7135 Depth=2
	s_delay_alu instid0(SALU_CYCLE_1) | instskip(SKIP_4) | instid1(VALU_DEP_2)
	s_or_b32 exec_lo, exec_lo, s37
	v_and_b32_e32 v8, 15, v53
	v_mov_b32_e32 v2, 0
	s_mov_b32 s14, 0
	s_mov_b32 s37, exec_lo
                                        ; implicit-def: $vgpr55
                                        ; implicit-def: $vgpr66
	v_cndmask_b32_e32 v54, v65, v8, vcc_lo
	s_delay_alu instid0(VALU_DEP_1)
	v_cmpx_ne_u32_e32 0, v54
; %bb.7226:                             ;   in Loop: Header=BB2_7135 Depth=2
	v_cmp_lt_i32_e64 s13, 0, v67
	v_sub_nc_u32_e32 v8, v65, v8
	s_mov_b32 s14, exec_lo
	s_delay_alu instid0(VALU_DEP_2) | instskip(NEXT) | instid1(VALU_DEP_1)
	v_cndmask_b32_e64 v2, 0, v71, s13
	v_sub_nc_u32_e32 v2, v2, v67
	s_delay_alu instid0(VALU_DEP_1) | instskip(NEXT) | instid1(VALU_DEP_1)
	v_lshl_add_u32 v55, v2, 5, v64
	v_ashrrev_i32_e32 v2, 31, v55
	s_delay_alu instid0(VALU_DEP_1) | instskip(NEXT) | instid1(VALU_DEP_1)
	v_lshrrev_b32_e32 v2, 27, v2
	v_dual_cndmask_b32 v8, 0, v8 :: v_dual_add_nc_u32 v9, v55, v2
	s_delay_alu instid0(VALU_DEP_1) | instskip(NEXT) | instid1(VALU_DEP_2)
	v_add3_u32 v2, v11, v10, v8
	v_ashrrev_i32_e32 v66, 5, v9
; %bb.7227:                             ;   in Loop: Header=BB2_7135 Depth=2
	s_or_b32 exec_lo, exec_lo, s37
	s_delay_alu instid0(SALU_CYCLE_1)
	s_and_b32 s13, s14, exec_lo
.LBB2_7228:                             ;   in Loop: Header=BB2_7135 Depth=2
	s_or_b32 exec_lo, exec_lo, s36
.LBB2_7229:                             ;   in Loop: Header=BB2_7135 Depth=2
	s_and_saveexec_b32 s14, s13
	s_cbranch_execz .LBB2_7241
; %bb.7230:                             ;   in Loop: Header=BB2_7135 Depth=2
	s_delay_alu instid0(VALU_DEP_1) | instskip(SKIP_1) | instid1(VALU_DEP_1)
	v_ashrrev_i32_e32 v8, 31, v54
	s_mov_b32 s13, exec_lo
	v_lshrrev_b32_e32 v8, 24, v8
	s_delay_alu instid0(VALU_DEP_1) | instskip(NEXT) | instid1(VALU_DEP_1)
	v_add_nc_u32_e32 v8, v54, v8
	v_ashrrev_i32_e32 v65, 8, v8
	s_delay_alu instid0(VALU_DEP_1) | instskip(NEXT) | instid1(VALU_DEP_1)
	v_sub_nc_u32_e32 v64, v65, v66
	v_cmpx_lt_i32_e32 0, v64
	s_cbranch_execz .LBB2_7235
; %bb.7231:                             ;   in Loop: Header=BB2_7135 Depth=2
	s_cbranch_execnz .LBB2_7779
; %bb.7232:                             ;   in Loop: Header=BB2_7135 Depth=2
	v_ashrrev_i32_e32 v8, 31, v55
	s_mov_b32 s36, 0
	s_delay_alu instid0(VALU_DEP_1) | instskip(NEXT) | instid1(VALU_DEP_1)
	v_lshrrev_b32_e32 v8, 27, v8
	v_add_nc_u32_e32 v10, v55, v8
	ds_load_b64 v[8:9], v0
	v_lshlrev_b32_e32 v11, 8, v66
	v_and_b32_e32 v10, 0xffffffe0, v10
	s_delay_alu instid0(VALU_DEP_1) | instskip(NEXT) | instid1(VALU_DEP_1)
	v_sub_nc_u32_e32 v10, v55, v10
	v_add3_u32 v66, v2, v10, v11
	s_delay_alu instid0(VALU_DEP_1)
	v_ashrrev_i32_e32 v67, 31, v66
	s_waitcnt lgkmcnt(0)
	v_dual_mov_b32 v11, v9 :: v_dual_mov_b32 v10, v8
.LBB2_7233:                             ;   Parent Loop BB2_51 Depth=1
                                        ;     Parent Loop BB2_7135 Depth=2
                                        ; =>    This Inner Loop Header: Depth=3
	s_delay_alu instid0(VALU_DEP_1) | instskip(NEXT) | instid1(VALU_DEP_2)
	v_add_co_u32 v116, vcc_lo, v66, v10
	v_add_co_ci_u32_e32 v117, vcc_lo, v67, v11, vcc_lo
	v_sub_nc_u32_e32 v64, v64, v71
	s_clause 0x7
	flat_load_u8 v118, v[116:117] slc dlc
	flat_load_u8 v119, v[116:117] offset:32 slc dlc
	flat_load_u8 v128, v[116:117] offset:64 slc dlc
	flat_load_u8 v129, v[116:117] offset:96 slc dlc
	flat_load_u8 v130, v[116:117] offset:128 slc dlc
	flat_load_u8 v131, v[116:117] offset:160 slc dlc
	flat_load_u8 v132, v[116:117] offset:192 slc dlc
	flat_load_u8 v133, v[116:117] offset:224 slc dlc
	v_add_co_u32 v116, vcc_lo, v66, v8
	v_add_co_ci_u32_e32 v117, vcc_lo, v67, v9, vcc_lo
	v_add_co_u32 v10, vcc_lo, v10, v99
	v_add_co_ci_u32_e32 v11, vcc_lo, v11, v100, vcc_lo
	;; [unrolled: 2-line block ×3, first 2 shown]
	v_cmp_gt_i32_e32 vcc_lo, 1, v64
	s_waitcnt vmcnt(7) lgkmcnt(7)
	flat_store_b8 v[116:117], v118 glc slc dlc
	s_waitcnt vmcnt(6) lgkmcnt(7)
	flat_store_b8 v[116:117], v119 offset:32 glc slc dlc
	s_waitcnt vmcnt(5) lgkmcnt(7)
	flat_store_b8 v[116:117], v128 offset:64 glc slc dlc
	;; [unrolled: 2-line block ×7, first 2 shown]
	s_or_b32 s36, vcc_lo, s36
	s_delay_alu instid0(SALU_CYCLE_1)
	s_and_not1_b32 exec_lo, exec_lo, s36
	s_cbranch_execnz .LBB2_7233
; %bb.7234:                             ;   in Loop: Header=BB2_7135 Depth=2
	s_or_b32 exec_lo, exec_lo, s36
.LBB2_7235:                             ;   in Loop: Header=BB2_7135 Depth=2
	s_delay_alu instid0(SALU_CYCLE_1) | instskip(SKIP_2) | instid1(VALU_DEP_1)
	s_or_b32 exec_lo, exec_lo, s13
	v_lshlrev_b32_e32 v8, 8, v65
	s_mov_b32 s36, exec_lo
	v_cmpx_ne_u32_e64 v54, v8
	s_cbranch_execz .LBB2_7240
; %bb.7236:                             ;   in Loop: Header=BB2_7135 Depth=2
	v_ashrrev_i32_e32 v9, 31, v55
	v_lshlrev_b32_e32 v10, 5, v64
	s_delay_alu instid0(VALU_DEP_2) | instskip(NEXT) | instid1(VALU_DEP_1)
	v_lshrrev_b32_e32 v9, 27, v9
	v_add_nc_u32_e32 v9, v55, v9
	s_delay_alu instid0(VALU_DEP_1) | instskip(NEXT) | instid1(VALU_DEP_1)
	v_and_b32_e32 v9, 0xffffffe0, v9
	v_sub_nc_u32_e32 v9, v55, v9
	s_delay_alu instid0(VALU_DEP_1) | instskip(NEXT) | instid1(VALU_DEP_1)
	v_sub_nc_u32_e32 v9, v9, v10
	v_add_nc_u32_e32 v11, v8, v9
	s_delay_alu instid0(VALU_DEP_1) | instskip(NEXT) | instid1(VALU_DEP_1)
	v_sub_nc_u32_e32 v10, v54, v11
	v_cmp_lt_i32_e32 vcc_lo, 0, v10
	s_and_b32 exec_lo, exec_lo, vcc_lo
	s_cbranch_execz .LBB2_7240
; %bb.7237:                             ;   in Loop: Header=BB2_7135 Depth=2
	s_cbranch_execnz .LBB2_7837
; %bb.7238:                             ;   in Loop: Header=BB2_7135 Depth=2
	ds_load_b64 v[8:9], v0
	v_add_nc_u32_e32 v2, v11, v2
	s_mov_b32 s37, 0
	s_delay_alu instid0(VALU_DEP_1)
	v_ashrrev_i32_e32 v11, 31, v2
.LBB2_7239:                             ;   Parent Loop BB2_51 Depth=1
                                        ;     Parent Loop BB2_7135 Depth=2
                                        ; =>    This Inner Loop Header: Depth=3
	s_waitcnt lgkmcnt(0)
	v_add_co_u32 v54, vcc_lo, v8, v2
	s_delay_alu instid0(VALU_DEP_2)
	v_add_co_ci_u32_e32 v55, vcc_lo, v9, v11, vcc_lo
	v_sub_nc_u32_e32 v10, v10, v87
	v_add_co_u32 v2, s13, v2, v102
	flat_load_u8 v64, v[54:55] slc dlc
	v_add_co_ci_u32_e64 v11, s13, v11, v103, s13
	v_cmp_gt_i32_e32 vcc_lo, 1, v10
	s_or_b32 s37, vcc_lo, s37
	s_waitcnt vmcnt(0) lgkmcnt(0)
	flat_store_b8 v[54:55], v64 glc slc dlc
	s_and_not1_b32 exec_lo, exec_lo, s37
	s_cbranch_execnz .LBB2_7239
.LBB2_7240:                             ;   in Loop: Header=BB2_7135 Depth=2
	s_or_b32 exec_lo, exec_lo, s36
.LBB2_7241:                             ;   in Loop: Header=BB2_7135 Depth=2
	s_delay_alu instid0(SALU_CYCLE_1)
	s_or_b32 exec_lo, exec_lo, s14
.LBB2_7242:                             ;   in Loop: Header=BB2_7135 Depth=2
	s_and_saveexec_b32 s13, s3
	s_cbranch_execz .LBB2_7264
; %bb.7243:                             ;   in Loop: Header=BB2_7135 Depth=2
	s_and_saveexec_b32 s14, s4
	s_delay_alu instid0(SALU_CYCLE_1)
	s_xor_b32 s14, exec_lo, s14
	s_cbranch_execz .LBB2_7261
; %bb.7244:                             ;   in Loop: Header=BB2_7135 Depth=2
	s_and_saveexec_b32 s36, s1
	s_cbranch_execz .LBB2_7260
; %bb.7245:                             ;   in Loop: Header=BB2_7135 Depth=2
	s_mov_b32 s38, exec_lo
	s_mov_b32 s37, exec_lo
	v_mbcnt_lo_u32_b32 v2, s38, 0
	s_waitcnt lgkmcnt(0)
	s_waitcnt_vscnt null, 0x0
	buffer_gl1_inv
	buffer_gl0_inv
	v_cmpx_eq_u32_e32 0, v2
	s_cbranch_execz .LBB2_7247
; %bb.7246:                             ;   in Loop: Header=BB2_7135 Depth=2
	s_bcnt1_i32_b32 vcc_lo, s38
	s_delay_alu instid0(SALU_CYCLE_1)
	v_mov_b32_e32 v2, vcc_lo
	ds_add_u64 v0, v[2:3]
	s_cbranch_execnz .LBB2_7823
.LBB2_7247:                             ;   in Loop: Header=BB2_7135 Depth=2
	s_or_b32 exec_lo, exec_lo, s37
	s_cbranch_execnz .LBB2_7799
; %bb.7248:                             ;   in Loop: Header=BB2_7135 Depth=2
	ds_load_b64 v[8:9], v0
	v_add_co_u32 v12, vcc_lo, v12, v71
	v_add_co_ci_u32_e32 v13, vcc_lo, 0, v13, vcc_lo
	s_mov_b32 s37, exec_lo
	s_waitcnt lgkmcnt(0)
	s_delay_alu instid0(VALU_DEP_1)
	v_cmpx_lt_u64_e64 v[8:9], v[12:13]
	s_cbranch_execz .LBB2_7259
; %bb.7249:                             ;   in Loop: Header=BB2_7135 Depth=2
	s_mov_b32 s38, 0
	s_mov_b32 s41, 0
                                        ; implicit-def: $sgpr39
                                        ; implicit-def: $sgpr40
	s_branch .LBB2_7251
.LBB2_7250:                             ;   in Loop: Header=BB2_7251 Depth=3
	s_or_b32 exec_lo, exec_lo, s43
	s_delay_alu instid0(SALU_CYCLE_1) | instskip(NEXT) | instid1(SALU_CYCLE_1)
	s_and_b32 vcc_lo, exec_lo, vcc_lo
	s_or_b32 s38, vcc_lo, s38
	s_and_not1_b32 vcc_lo, s39, exec_lo
	s_and_b32 s39, s40, exec_lo
	s_delay_alu instid0(SALU_CYCLE_1)
	s_or_b32 s39, vcc_lo, s39
	s_and_not1_b32 exec_lo, exec_lo, s38
	s_cbranch_execz .LBB2_7257
.LBB2_7251:                             ;   Parent Loop BB2_51 Depth=1
                                        ;     Parent Loop BB2_7135 Depth=2
                                        ; =>    This Inner Loop Header: Depth=3
	s_add_i32 s41, s41, 1
                                        ; implicit-def: $sgpr43
	s_delay_alu instid0(SALU_CYCLE_1) | instskip(SKIP_1) | instid1(SALU_CYCLE_1)
	s_cmpk_lg_i32 s41, 0x2710
	s_cselect_b32 s42, -1, 0
	s_and_b32 vcc_lo, exec_lo, s42
	s_cbranch_vccnz .LBB2_7254
; %bb.7252:                             ;   in Loop: Header=BB2_7251 Depth=3
	s_cbranch_execnz .LBB2_7873
; %bb.7253:                             ;   in Loop: Header=BB2_7251 Depth=3
	ds_load_b64 v[8:9], v0
	s_and_not1_b32 s42, s42, exec_lo
	s_mov_b32 s41, 0
	s_mov_b32 s43, -1
	s_waitcnt lgkmcnt(0)
	flat_load_b32 v2, v[8:9] glc
	s_waitcnt vmcnt(0) lgkmcnt(0)
	buffer_gl1_inv
	buffer_gl0_inv
	v_cmp_eq_u32_e32 vcc_lo, 0, v2
	s_and_b32 vcc_lo, vcc_lo, exec_lo
	s_delay_alu instid0(SALU_CYCLE_1)
	s_or_b32 s42, s42, vcc_lo
.LBB2_7254:                             ;   in Loop: Header=BB2_7251 Depth=3
	s_and_not1_b32 s40, s40, exec_lo
	s_and_b32 s43, s43, exec_lo
	s_mov_b32 vcc_lo, -1
	s_or_b32 s40, s40, s43
	s_and_saveexec_b32 s43, s42
	s_cbranch_execz .LBB2_7250
; %bb.7255:                             ;   in Loop: Header=BB2_7251 Depth=3
	s_sleep 1
	s_cbranch_execnz .LBB2_7863
; %bb.7256:                             ;   in Loop: Header=BB2_7251 Depth=3
	ds_load_b64 v[8:9], v0
	s_and_not1_b32 s40, s40, exec_lo
	s_waitcnt lgkmcnt(0)
	v_cmp_ge_u64_e32 vcc_lo, v[8:9], v[12:13]
	s_or_not1_b32 vcc_lo, vcc_lo, exec_lo
	s_branch .LBB2_7250
.LBB2_7257:                             ;   in Loop: Header=BB2_7135 Depth=2
	s_or_b32 exec_lo, exec_lo, s38
	s_and_saveexec_b32 vcc_lo, s39
	s_delay_alu instid0(SALU_CYCLE_1)
	s_xor_b32 vcc_lo, exec_lo, vcc_lo
	s_cbranch_execz .LBB2_7259
; %bb.7258:                             ;   in Loop: Header=BB2_7135 Depth=2
	ds_store_b32 v0, v115
	s_cbranch_execnz .LBB2_7927
.LBB2_7259:                             ;   in Loop: Header=BB2_7135 Depth=2
	s_or_b32 exec_lo, exec_lo, s37
	;;#ASMSTART
	s_wakeup
	;;#ASMEND
.LBB2_7260:                             ;   in Loop: Header=BB2_7135 Depth=2
	s_or_b32 exec_lo, exec_lo, s36
.LBB2_7261:                             ;   in Loop: Header=BB2_7135 Depth=2
	s_and_not1_saveexec_b32 s14, s14
	s_cbranch_execz .LBB2_7263
; %bb.7262:                             ;   in Loop: Header=BB2_7135 Depth=2
	s_waitcnt lgkmcnt(0)
	s_waitcnt_vscnt null, 0x0
	buffer_gl1_inv
	buffer_gl0_inv
	s_barrier
.LBB2_7263:                             ;   in Loop: Header=BB2_7135 Depth=2
	s_or_b32 exec_lo, exec_lo, s14
.LBB2_7264:                             ;   in Loop: Header=BB2_7135 Depth=2
	s_delay_alu instid0(SALU_CYCLE_1) | instskip(SKIP_1) | instid1(SALU_CYCLE_1)
	s_or_b32 exec_lo, exec_lo, s13
	s_and_saveexec_b32 s13, s7
	s_xor_b32 s14, exec_lo, s13
	s_cbranch_execz .LBB2_7268
; %bb.7265:                             ;   in Loop: Header=BB2_7135 Depth=2
	v_and_b32_e32 v2, 16, v30
	v_cmp_lt_i32_e32 vcc_lo, 0, v53
	s_delay_alu instid0(VALU_DEP_2) | instskip(NEXT) | instid1(VALU_DEP_1)
	v_cmp_ne_u32_e64 s13, 0, v2
	s_and_b32 vcc_lo, s13, vcc_lo
	s_delay_alu instid0(SALU_CYCLE_1)
	s_and_saveexec_b32 s13, vcc_lo
	s_cbranch_execz .LBB2_7267
; %bb.7266:                             ;   in Loop: Header=BB2_7135 Depth=2
	s_waitcnt lgkmcnt(0)
	s_waitcnt_vscnt null, 0x0
	buffer_gl1_inv
	buffer_gl0_inv
.LBB2_7267:                             ;   in Loop: Header=BB2_7135 Depth=2
	s_or_b32 exec_lo, exec_lo, s13
.LBB2_7268:                             ;   in Loop: Header=BB2_7135 Depth=2
	s_and_not1_saveexec_b32 s13, s14
	s_cbranch_execz .LBB2_7290
; %bb.7269:                             ;   in Loop: Header=BB2_7135 Depth=2
	s_and_saveexec_b32 s14, s4
	s_delay_alu instid0(SALU_CYCLE_1)
	s_xor_b32 s14, exec_lo, s14
	s_cbranch_execz .LBB2_7287
; %bb.7270:                             ;   in Loop: Header=BB2_7135 Depth=2
	s_and_saveexec_b32 s36, s1
	s_cbranch_execz .LBB2_7286
; %bb.7271:                             ;   in Loop: Header=BB2_7135 Depth=2
	s_mov_b32 s38, exec_lo
	s_mov_b32 s37, exec_lo
	v_mbcnt_lo_u32_b32 v2, s38, 0
	;;#ASMSTART
	s_waitcnt lgkmcnt(0) vmcnt(0)
	;;#ASMEND
	s_delay_alu instid0(VALU_DEP_1)
	v_cmpx_eq_u32_e32 0, v2
	s_cbranch_execz .LBB2_7273
; %bb.7272:                             ;   in Loop: Header=BB2_7135 Depth=2
	s_bcnt1_i32_b32 vcc_lo, s38
	s_delay_alu instid0(SALU_CYCLE_1)
	v_mov_b32_e32 v2, vcc_lo
	ds_add_u64 v0, v[2:3]
	s_cbranch_execnz .LBB2_7829
.LBB2_7273:                             ;   in Loop: Header=BB2_7135 Depth=2
	s_or_b32 exec_lo, exec_lo, s37
	s_cbranch_execnz .LBB2_7807
; %bb.7274:                             ;   in Loop: Header=BB2_7135 Depth=2
	ds_load_b64 v[8:9], v0
	v_add_co_u32 v12, vcc_lo, v12, v71
	v_add_co_ci_u32_e32 v13, vcc_lo, 0, v13, vcc_lo
	s_mov_b32 s37, exec_lo
	s_waitcnt lgkmcnt(0)
	s_delay_alu instid0(VALU_DEP_1)
	v_cmpx_lt_u64_e64 v[8:9], v[12:13]
	s_cbranch_execz .LBB2_7285
; %bb.7275:                             ;   in Loop: Header=BB2_7135 Depth=2
	s_mov_b32 s38, 0
	s_mov_b32 s41, 0
                                        ; implicit-def: $sgpr39
                                        ; implicit-def: $sgpr40
	s_branch .LBB2_7277
.LBB2_7276:                             ;   in Loop: Header=BB2_7277 Depth=3
	s_or_b32 exec_lo, exec_lo, s43
	s_delay_alu instid0(SALU_CYCLE_1) | instskip(NEXT) | instid1(SALU_CYCLE_1)
	s_and_b32 vcc_lo, exec_lo, vcc_lo
	s_or_b32 s38, vcc_lo, s38
	s_and_not1_b32 vcc_lo, s39, exec_lo
	s_and_b32 s39, s40, exec_lo
	s_delay_alu instid0(SALU_CYCLE_1)
	s_or_b32 s39, vcc_lo, s39
	s_and_not1_b32 exec_lo, exec_lo, s38
	s_cbranch_execz .LBB2_7283
.LBB2_7277:                             ;   Parent Loop BB2_51 Depth=1
                                        ;     Parent Loop BB2_7135 Depth=2
                                        ; =>    This Inner Loop Header: Depth=3
	s_add_i32 s41, s41, 1
                                        ; implicit-def: $sgpr43
	s_delay_alu instid0(SALU_CYCLE_1) | instskip(SKIP_1) | instid1(SALU_CYCLE_1)
	s_cmpk_lg_i32 s41, 0x2710
	s_cselect_b32 s42, -1, 0
	s_and_b32 vcc_lo, exec_lo, s42
	s_cbranch_vccnz .LBB2_7280
; %bb.7278:                             ;   in Loop: Header=BB2_7277 Depth=3
	s_cbranch_execnz .LBB2_7881
; %bb.7279:                             ;   in Loop: Header=BB2_7277 Depth=3
	ds_load_b64 v[8:9], v0
	s_and_not1_b32 s42, s42, exec_lo
	s_mov_b32 s41, 0
	s_mov_b32 s43, -1
	s_waitcnt lgkmcnt(0)
	s_waitcnt_vscnt null, 0x0
	flat_load_b32 v2, v[8:9] glc
	s_waitcnt vmcnt(0) lgkmcnt(0)
	buffer_gl1_inv
	buffer_gl0_inv
	v_cmp_eq_u32_e32 vcc_lo, 0, v2
	s_and_b32 vcc_lo, vcc_lo, exec_lo
	s_delay_alu instid0(SALU_CYCLE_1)
	s_or_b32 s42, s42, vcc_lo
.LBB2_7280:                             ;   in Loop: Header=BB2_7277 Depth=3
	s_and_not1_b32 s40, s40, exec_lo
	s_and_b32 s43, s43, exec_lo
	s_mov_b32 vcc_lo, -1
	s_or_b32 s40, s40, s43
	s_and_saveexec_b32 s43, s42
	s_cbranch_execz .LBB2_7276
; %bb.7281:                             ;   in Loop: Header=BB2_7277 Depth=3
	s_sleep 1
	s_cbranch_execnz .LBB2_7867
; %bb.7282:                             ;   in Loop: Header=BB2_7277 Depth=3
	ds_load_b64 v[8:9], v0
	s_and_not1_b32 s40, s40, exec_lo
	s_waitcnt lgkmcnt(0)
	v_cmp_ge_u64_e32 vcc_lo, v[8:9], v[12:13]
	s_or_not1_b32 vcc_lo, vcc_lo, exec_lo
	s_branch .LBB2_7276
.LBB2_7283:                             ;   in Loop: Header=BB2_7135 Depth=2
	s_or_b32 exec_lo, exec_lo, s38
	s_and_saveexec_b32 vcc_lo, s39
	s_delay_alu instid0(SALU_CYCLE_1)
	s_xor_b32 vcc_lo, exec_lo, vcc_lo
	s_cbranch_execz .LBB2_7285
; %bb.7284:                             ;   in Loop: Header=BB2_7135 Depth=2
	ds_store_b32 v0, v115
	s_cbranch_execnz .LBB2_7929
.LBB2_7285:                             ;   in Loop: Header=BB2_7135 Depth=2
	s_or_b32 exec_lo, exec_lo, s37
	;;#ASMSTART
	s_wakeup
	;;#ASMEND
.LBB2_7286:                             ;   in Loop: Header=BB2_7135 Depth=2
	s_or_b32 exec_lo, exec_lo, s36
.LBB2_7287:                             ;   in Loop: Header=BB2_7135 Depth=2
	s_and_not1_saveexec_b32 s14, s14
	s_cbranch_execz .LBB2_7289
; %bb.7288:                             ;   in Loop: Header=BB2_7135 Depth=2
	;;#ASMSTART
	s_waitcnt lgkmcnt(0) vmcnt(0)
	;;#ASMEND
	s_waitcnt lgkmcnt(0)
	s_waitcnt_vscnt null, 0x0
	s_barrier
.LBB2_7289:                             ;   in Loop: Header=BB2_7135 Depth=2
	s_or_b32 exec_lo, exec_lo, s14
.LBB2_7290:                             ;   in Loop: Header=BB2_7135 Depth=2
	s_delay_alu instid0(SALU_CYCLE_1) | instskip(SKIP_2) | instid1(VALU_DEP_1)
	s_or_b32 exec_lo, exec_lo, s13
	v_and_b32_e32 v2, 32, v30
	s_mov_b32 s13, exec_lo
	v_cmpx_ne_u32_e32 0, v2
	s_cbranch_execz .LBB2_7292
; %bb.7291:                             ;   in Loop: Header=BB2_7135 Depth=2
	v_add_co_u32 v22, vcc_lo, v22, 2
	v_add_co_ci_u32_e32 v23, vcc_lo, 0, v23, vcc_lo
	s_waitcnt lgkmcnt(0)
	s_waitcnt_vscnt null, 0x0
	flat_store_b64 v[20:21], v[22:23]
.LBB2_7292:                             ;   in Loop: Header=BB2_7135 Depth=2
	s_or_b32 exec_lo, exec_lo, s13
	v_add_nc_u32_e32 v50, v49, v50
	s_xor_b32 s13, s17, -1
	v_mov_b32_e32 v2, s31
	s_mov_b32 s17, 0
	s_mov_b32 s31, 2
	v_cmp_ge_i32_e32 vcc_lo, v50, v48
	s_or_b32 s13, s13, vcc_lo
	s_delay_alu instid0(SALU_CYCLE_1) | instskip(NEXT) | instid1(SALU_CYCLE_1)
	s_and_b32 s13, exec_lo, s13
	s_or_b32 s16, s13, s16
	s_delay_alu instid0(SALU_CYCLE_1)
	s_and_not1_b32 exec_lo, exec_lo, s16
	s_cbranch_execnz .LBB2_7135
; %bb.7293:                             ;   in Loop: Header=BB2_51 Depth=1
	s_or_b32 exec_lo, exec_lo, s16
.LBB2_7294:                             ;   in Loop: Header=BB2_51 Depth=1
	s_delay_alu instid0(SALU_CYCLE_1) | instskip(NEXT) | instid1(SALU_CYCLE_1)
	s_or_b32 exec_lo, exec_lo, s15
	s_mov_b32 s14, exec_lo
	v_cmpx_gt_i32_e32 2, v2
	s_cbranch_execz .LBB2_7373
; %bb.7295:                             ;   in Loop: Header=BB2_51 Depth=1
	v_cmp_eq_u32_e64 s13, 0, v2
	s_mov_b32 s15, 0
.LBB2_7296:                             ;   Parent Loop BB2_51 Depth=1
                                        ; =>  This Loop Header: Depth=2
                                        ;       Child Loop BB2_7302 Depth 3
                                        ;       Child Loop BB2_7329 Depth 3
	;; [unrolled: 1-line block ×3, first 2 shown]
	v_and_b32_e32 v2, 4, v30
	s_mov_b32 s17, -1
	s_mov_b32 s16, exec_lo
	s_delay_alu instid0(VALU_DEP_1)
	v_cmpx_ne_u32_e32 0, v2
	s_cbranch_execz .LBB2_7310
; %bb.7297:                             ;   in Loop: Header=BB2_7296 Depth=2
	v_add_co_u32 v8, vcc_lo, v22, 2
	v_add_co_ci_u32_e32 v9, vcc_lo, 0, v23, vcc_lo
	v_mov_b32_e32 v2, 1
	s_mov_b32 s17, exec_lo
	s_delay_alu instid0(VALU_DEP_2)
	v_cmpx_lt_u64_e64 v[28:29], v[8:9]
	s_cbranch_execz .LBB2_7309
; %bb.7298:                             ;   in Loop: Header=BB2_7296 Depth=2
	v_mov_b32_e32 v2, 0
	s_mov_b32 s31, 0
                                        ; implicit-def: $sgpr36
	s_branch .LBB2_7302
.LBB2_7299:                             ;   in Loop: Header=BB2_7302 Depth=3
	s_or_b32 exec_lo, exec_lo, s40
	v_mov_b32_e32 v10, 0
	s_or_not1_b32 s39, s39, exec_lo
.LBB2_7300:                             ;   in Loop: Header=BB2_7302 Depth=3
	s_or_b32 exec_lo, exec_lo, s38
	s_delay_alu instid0(VALU_DEP_1) | instskip(SKIP_2) | instid1(SALU_CYCLE_1)
	v_mov_b32_e32 v2, v10
	s_and_not1_b32 vcc_lo, s36, exec_lo
	s_and_b32 s36, s39, exec_lo
	s_or_b32 s36, vcc_lo, s36
.LBB2_7301:                             ;   in Loop: Header=BB2_7302 Depth=3
	s_or_b32 exec_lo, exec_lo, s37
	s_waitcnt vmcnt(0) lgkmcnt(0)
	v_cmp_ge_u64_e32 vcc_lo, v[28:29], v[8:9]
	s_xor_b32 s37, s36, -1
	s_delay_alu instid0(SALU_CYCLE_1) | instskip(NEXT) | instid1(SALU_CYCLE_1)
	s_or_b32 vcc_lo, s37, vcc_lo
	s_and_b32 vcc_lo, exec_lo, vcc_lo
	s_delay_alu instid0(SALU_CYCLE_1) | instskip(NEXT) | instid1(SALU_CYCLE_1)
	s_or_b32 s31, vcc_lo, s31
	s_and_not1_b32 exec_lo, exec_lo, s31
	s_cbranch_execz .LBB2_7308
.LBB2_7302:                             ;   Parent Loop BB2_51 Depth=1
                                        ;     Parent Loop BB2_7296 Depth=2
                                        ; =>    This Inner Loop Header: Depth=3
	s_sleep 1
	flat_load_b64 v[28:29], v[20:21] glc
	v_and_b32_e32 v10, 64, v30
	s_and_not1_b32 s36, s36, exec_lo
	s_mov_b32 s37, exec_lo
	s_delay_alu instid0(VALU_DEP_1)
	v_cmpx_eq_u32_e32 0, v10
	s_cbranch_execz .LBB2_7301
; %bb.7303:                             ;   in Loop: Header=BB2_7302 Depth=3
	v_add_nc_u32_e32 v10, 1, v2
	s_mov_b32 s39, -1
	s_mov_b32 s38, exec_lo
	v_cmpx_lt_i32_e32 0x270e, v2
	s_cbranch_execz .LBB2_7300
; %bb.7304:                             ;   in Loop: Header=BB2_7302 Depth=3
	s_cbranch_execnz .LBB2_7587
; %bb.7305:                             ;   in Loop: Header=BB2_7302 Depth=3
	ds_load_b64 v[10:11], v0
	s_mov_b32 s40, exec_lo
	s_waitcnt vmcnt(0) lgkmcnt(0)
	s_waitcnt_vscnt null, 0x0
	flat_load_b32 v2, v[10:11] glc
	s_waitcnt vmcnt(0) lgkmcnt(0)
	buffer_gl1_inv
	buffer_gl0_inv
	v_cmpx_ne_u32_e32 0, v2
	s_cbranch_execz .LBB2_7299
; %bb.7306:                             ;   in Loop: Header=BB2_7302 Depth=3
	ds_store_b32 v0, v2
	s_cbranch_execnz .LBB2_7669
; %bb.7307:                             ;   in Loop: Header=BB2_7302 Depth=3
	v_or_b32_e32 v30, 64, v30
	s_xor_b32 s39, exec_lo, -1
	s_branch .LBB2_7299
.LBB2_7308:                             ;   in Loop: Header=BB2_7296 Depth=2
	s_or_b32 exec_lo, exec_lo, s31
	v_and_b32_e32 v2, 4, v30
.LBB2_7309:                             ;   in Loop: Header=BB2_7296 Depth=2
	s_or_b32 exec_lo, exec_lo, s17
	s_delay_alu instid0(VALU_DEP_1)
	v_cmp_eq_u32_e32 vcc_lo, 0, v2
	;;#ASMSTART
	s_wakeup
	;;#ASMEND
	s_or_not1_b32 s17, vcc_lo, exec_lo
.LBB2_7310:                             ;   in Loop: Header=BB2_7296 Depth=2
	s_or_b32 exec_lo, exec_lo, s16
	s_xor_b32 s13, s13, -1
	s_delay_alu instid0(SALU_CYCLE_1) | instskip(NEXT) | instid1(SALU_CYCLE_1)
	s_and_b32 s13, exec_lo, s13
	s_or_b32 s15, s13, s15
	s_xor_b32 s13, s17, -1
	s_delay_alu instid0(SALU_CYCLE_1)
	s_and_saveexec_b32 s16, s13
	s_cbranch_execz .LBB2_7320
; %bb.7311:                             ;   in Loop: Header=BB2_7296 Depth=2
	v_and_b32_e32 v2, 0x100, v30
	s_mov_b32 s13, -1
                                        ; implicit-def: $vgpr8_vgpr9
	s_delay_alu instid0(VALU_DEP_1)
	v_cmp_ne_u32_e32 vcc_lo, 0, v2
	v_and_b32_e32 v2, 7, v22
	s_and_saveexec_b32 s17, vcc_lo
	s_cbranch_execz .LBB2_7315
; %bb.7312:                             ;   in Loop: Header=BB2_7296 Depth=2
	s_delay_alu instid0(VALU_DEP_1) | instskip(SKIP_4) | instid1(VALU_DEP_1)
	v_mad_u64_u32 v[10:11], null, v2, 24, v[6:7]
	flat_load_b32 v8, v[10:11]
	s_waitcnt vmcnt(0) lgkmcnt(0)
	v_cmp_ne_u32_e32 vcc_lo, 1, v8
	v_cmp_eq_u32_e64 s13, 1, v8
                                        ; implicit-def: $vgpr8_vgpr9
	s_and_saveexec_b32 s31, s13
	s_cbranch_execz .LBB2_7314
; %bb.7313:                             ;   in Loop: Header=BB2_7296 Depth=2
	flat_load_b32 v8, v[10:11] offset:4 glc
	s_waitcnt vmcnt(0) lgkmcnt(0)
	v_ashrrev_i32_e32 v9, 31, v8
.LBB2_7314:                             ;   in Loop: Header=BB2_7296 Depth=2
	s_or_b32 exec_lo, exec_lo, s31
	s_delay_alu instid0(SALU_CYCLE_1)
	s_or_not1_b32 s13, vcc_lo, exec_lo
.LBB2_7315:                             ;   in Loop: Header=BB2_7296 Depth=2
	s_or_b32 exec_lo, exec_lo, s17
	s_and_saveexec_b32 s17, s13
; %bb.7316:                             ;   in Loop: Header=BB2_7296 Depth=2
	v_mad_i64_i32 v[8:9], null, v2, v68, 0
; %bb.7317:                             ;   in Loop: Header=BB2_7296 Depth=2
	s_or_b32 exec_lo, exec_lo, s17
	s_delay_alu instid0(VALU_DEP_1) | instskip(SKIP_1) | instid1(VALU_DEP_3)
	v_add_co_u32 v8, vcc_lo, v24, v8
	v_and_b32_e32 v2, 0x2000, v30
	v_add_co_ci_u32_e32 v9, vcc_lo, v25, v9, vcc_lo
	s_mov_b32 s13, exec_lo
	ds_store_b64 v0, v[8:9] offset:720
	v_cmpx_ne_u32_e32 0, v2
	s_cbranch_execz .LBB2_7319
; %bb.7318:                             ;   in Loop: Header=BB2_7296 Depth=2
	ds_load_b64 v[8:9], v0 offset:584
	s_waitcnt lgkmcnt(0)
	v_add_co_u32 v8, vcc_lo, v8, 1
	v_add_co_ci_u32_e32 v9, vcc_lo, 0, v9, vcc_lo
	ds_store_b64 v0, v[8:9] offset:584
.LBB2_7319:                             ;   in Loop: Header=BB2_7296 Depth=2
	s_or_b32 exec_lo, exec_lo, s13
	v_add_co_u32 v22, vcc_lo, v22, 2
	v_add_co_ci_u32_e32 v23, vcc_lo, 0, v23, vcc_lo
.LBB2_7320:                             ;   in Loop: Header=BB2_7296 Depth=2
	s_or_b32 exec_lo, exec_lo, s16
	s_and_saveexec_b32 s13, s3
	s_cbranch_execz .LBB2_7342
; %bb.7321:                             ;   in Loop: Header=BB2_7296 Depth=2
	s_and_saveexec_b32 s16, s4
	s_delay_alu instid0(SALU_CYCLE_1)
	s_xor_b32 s16, exec_lo, s16
	s_cbranch_execz .LBB2_7339
; %bb.7322:                             ;   in Loop: Header=BB2_7296 Depth=2
	s_and_saveexec_b32 s17, s1
	s_cbranch_execz .LBB2_7338
; %bb.7323:                             ;   in Loop: Header=BB2_7296 Depth=2
	s_mov_b32 s36, exec_lo
	s_mov_b32 s31, exec_lo
	v_mbcnt_lo_u32_b32 v2, s36, 0
	s_waitcnt lgkmcnt(0)
	s_waitcnt_vscnt null, 0x0
	buffer_gl1_inv
	buffer_gl0_inv
	v_cmpx_eq_u32_e32 0, v2
	s_cbranch_execz .LBB2_7325
; %bb.7324:                             ;   in Loop: Header=BB2_7296 Depth=2
	s_bcnt1_i32_b32 vcc_lo, s36
	s_delay_alu instid0(SALU_CYCLE_1)
	v_mov_b32_e32 v2, vcc_lo
	ds_add_u64 v0, v[2:3]
	s_cbranch_execnz .LBB2_7701
.LBB2_7325:                             ;   in Loop: Header=BB2_7296 Depth=2
	s_or_b32 exec_lo, exec_lo, s31
	s_cbranch_execnz .LBB2_7679
; %bb.7326:                             ;   in Loop: Header=BB2_7296 Depth=2
	ds_load_b64 v[8:9], v0
	v_add_co_u32 v12, vcc_lo, v12, v71
	v_add_co_ci_u32_e32 v13, vcc_lo, 0, v13, vcc_lo
	s_mov_b32 s31, exec_lo
	s_waitcnt lgkmcnt(0)
	s_delay_alu instid0(VALU_DEP_1)
	v_cmpx_lt_u64_e64 v[8:9], v[12:13]
	s_cbranch_execz .LBB2_7337
; %bb.7327:                             ;   in Loop: Header=BB2_7296 Depth=2
	s_mov_b32 s36, 0
	s_mov_b32 s39, 0
                                        ; implicit-def: $sgpr37
                                        ; implicit-def: $sgpr38
	s_branch .LBB2_7329
.LBB2_7328:                             ;   in Loop: Header=BB2_7329 Depth=3
	s_or_b32 exec_lo, exec_lo, s41
	s_delay_alu instid0(SALU_CYCLE_1) | instskip(NEXT) | instid1(SALU_CYCLE_1)
	s_and_b32 vcc_lo, exec_lo, vcc_lo
	s_or_b32 s36, vcc_lo, s36
	s_and_not1_b32 vcc_lo, s37, exec_lo
	s_and_b32 s37, s38, exec_lo
	s_delay_alu instid0(SALU_CYCLE_1)
	s_or_b32 s37, vcc_lo, s37
	s_and_not1_b32 exec_lo, exec_lo, s36
	s_cbranch_execz .LBB2_7335
.LBB2_7329:                             ;   Parent Loop BB2_51 Depth=1
                                        ;     Parent Loop BB2_7296 Depth=2
                                        ; =>    This Inner Loop Header: Depth=3
	s_add_i32 s39, s39, 1
                                        ; implicit-def: $sgpr41
	s_delay_alu instid0(SALU_CYCLE_1) | instskip(SKIP_1) | instid1(SALU_CYCLE_1)
	s_cmpk_lg_i32 s39, 0x2710
	s_cselect_b32 s40, -1, 0
	s_and_b32 vcc_lo, exec_lo, s40
	s_cbranch_vccz .LBB2_7333
.LBB2_7330:                             ;   in Loop: Header=BB2_7329 Depth=3
	s_and_not1_b32 s38, s38, exec_lo
	s_and_b32 s41, s41, exec_lo
	s_mov_b32 vcc_lo, -1
	s_or_b32 s38, s38, s41
	s_and_saveexec_b32 s41, s40
	s_cbranch_execz .LBB2_7328
; %bb.7331:                             ;   in Loop: Header=BB2_7329 Depth=3
	s_sleep 1
	s_cbranch_execnz .LBB2_7755
; %bb.7332:                             ;   in Loop: Header=BB2_7329 Depth=3
	ds_load_b64 v[8:9], v0
	s_and_not1_b32 s38, s38, exec_lo
	s_waitcnt lgkmcnt(0)
	v_cmp_ge_u64_e32 vcc_lo, v[8:9], v[12:13]
	s_or_not1_b32 vcc_lo, vcc_lo, exec_lo
	s_branch .LBB2_7328
.LBB2_7333:                             ;   in Loop: Header=BB2_7329 Depth=3
	s_cbranch_execnz .LBB2_7775
; %bb.7334:                             ;   in Loop: Header=BB2_7329 Depth=3
	ds_load_b64 v[8:9], v0
	s_and_not1_b32 s40, s40, exec_lo
	s_mov_b32 s39, 0
	s_mov_b32 s41, -1
	s_waitcnt lgkmcnt(0)
	flat_load_b32 v2, v[8:9] glc
	s_waitcnt vmcnt(0) lgkmcnt(0)
	buffer_gl1_inv
	buffer_gl0_inv
	v_cmp_eq_u32_e32 vcc_lo, 0, v2
	s_and_b32 vcc_lo, vcc_lo, exec_lo
	s_delay_alu instid0(SALU_CYCLE_1)
	s_or_b32 s40, s40, vcc_lo
	s_branch .LBB2_7330
.LBB2_7335:                             ;   in Loop: Header=BB2_7296 Depth=2
	s_or_b32 exec_lo, exec_lo, s36
	s_and_saveexec_b32 vcc_lo, s37
	s_delay_alu instid0(SALU_CYCLE_1)
	s_xor_b32 vcc_lo, exec_lo, vcc_lo
	s_cbranch_execz .LBB2_7337
; %bb.7336:                             ;   in Loop: Header=BB2_7296 Depth=2
	ds_store_b32 v0, v115
	s_cbranch_execnz .LBB2_7905
.LBB2_7337:                             ;   in Loop: Header=BB2_7296 Depth=2
	s_or_b32 exec_lo, exec_lo, s31
	;;#ASMSTART
	s_wakeup
	;;#ASMEND
.LBB2_7338:                             ;   in Loop: Header=BB2_7296 Depth=2
	s_or_b32 exec_lo, exec_lo, s17
.LBB2_7339:                             ;   in Loop: Header=BB2_7296 Depth=2
	s_and_not1_saveexec_b32 s16, s16
	s_cbranch_execz .LBB2_7341
; %bb.7340:                             ;   in Loop: Header=BB2_7296 Depth=2
	s_waitcnt lgkmcnt(0)
	s_waitcnt_vscnt null, 0x0
	buffer_gl1_inv
	buffer_gl0_inv
	s_barrier
.LBB2_7341:                             ;   in Loop: Header=BB2_7296 Depth=2
	s_or_b32 exec_lo, exec_lo, s16
.LBB2_7342:                             ;   in Loop: Header=BB2_7296 Depth=2
	s_delay_alu instid0(SALU_CYCLE_1) | instskip(SKIP_1) | instid1(VALU_DEP_1)
	s_or_b32 exec_lo, exec_lo, s13
	v_sub_nc_u32_e32 v2, v48, v50
	v_min_i32_e32 v49, v49, v2
	s_and_saveexec_b32 s13, s7
	s_delay_alu instid0(SALU_CYCLE_1)
	s_xor_b32 s16, exec_lo, s13
	s_cbranch_execz .LBB2_7347
; %bb.7343:                             ;   in Loop: Header=BB2_7296 Depth=2
	s_cbranch_execnz .LBB2_7583
; %bb.7344:                             ;   in Loop: Header=BB2_7296 Depth=2
	ds_load_b32 v2, v0
	v_cmp_lt_i32_e32 vcc_lo, 0, v49
	s_waitcnt lgkmcnt(0)
	v_readfirstlane_b32 s13, v2
	v_and_b32_e32 v2, 16, v30
	s_delay_alu instid0(VALU_DEP_2) | instskip(NEXT) | instid1(VALU_DEP_1)
	s_cmp_eq_u32 s13, 0
	v_cmp_ne_u32_e64 s13, 0, v2
	s_cselect_b32 s17, -1, 0
	s_delay_alu instid0(SALU_CYCLE_1)
	s_and_b32 s17, vcc_lo, s17
	s_delay_alu instid0(VALU_DEP_1) | instid1(SALU_CYCLE_1)
	s_and_b32 s17, s13, s17
	s_delay_alu instid0(SALU_CYCLE_1)
	s_and_saveexec_b32 s13, s17
	s_cbranch_execz .LBB2_7346
; %bb.7345:                             ;   in Loop: Header=BB2_7296 Depth=2
	s_waitcnt_vscnt null, 0x0
	buffer_gl1_inv
	buffer_gl0_inv
.LBB2_7346:                             ;   in Loop: Header=BB2_7296 Depth=2
	s_or_b32 exec_lo, exec_lo, s13
.LBB2_7347:                             ;   in Loop: Header=BB2_7296 Depth=2
	s_and_not1_saveexec_b32 s13, s16
	s_cbranch_execz .LBB2_7369
; %bb.7348:                             ;   in Loop: Header=BB2_7296 Depth=2
	s_and_saveexec_b32 s16, s4
	s_delay_alu instid0(SALU_CYCLE_1)
	s_xor_b32 s16, exec_lo, s16
	s_cbranch_execz .LBB2_7366
; %bb.7349:                             ;   in Loop: Header=BB2_7296 Depth=2
	s_and_saveexec_b32 s17, s1
	s_cbranch_execz .LBB2_7365
; %bb.7350:                             ;   in Loop: Header=BB2_7296 Depth=2
	s_mov_b32 s36, exec_lo
	s_mov_b32 s31, exec_lo
	v_mbcnt_lo_u32_b32 v2, s36, 0
	;;#ASMSTART
	s_waitcnt lgkmcnt(0) vmcnt(0)
	;;#ASMEND
	s_delay_alu instid0(VALU_DEP_1)
	v_cmpx_eq_u32_e32 0, v2
	s_cbranch_execz .LBB2_7352
; %bb.7351:                             ;   in Loop: Header=BB2_7296 Depth=2
	s_bcnt1_i32_b32 vcc_lo, s36
	s_delay_alu instid0(SALU_CYCLE_1)
	v_mov_b32_e32 v2, vcc_lo
	ds_add_u64 v0, v[2:3]
	s_cbranch_execnz .LBB2_7727
.LBB2_7352:                             ;   in Loop: Header=BB2_7296 Depth=2
	s_or_b32 exec_lo, exec_lo, s31
	s_cbranch_execnz .LBB2_7699
; %bb.7353:                             ;   in Loop: Header=BB2_7296 Depth=2
	ds_load_b64 v[8:9], v0
	v_add_co_u32 v12, vcc_lo, v12, v71
	v_add_co_ci_u32_e32 v13, vcc_lo, 0, v13, vcc_lo
	s_mov_b32 s31, exec_lo
	s_waitcnt lgkmcnt(0)
	s_delay_alu instid0(VALU_DEP_1)
	v_cmpx_lt_u64_e64 v[8:9], v[12:13]
	s_cbranch_execz .LBB2_7364
; %bb.7354:                             ;   in Loop: Header=BB2_7296 Depth=2
	s_mov_b32 s36, 0
	s_mov_b32 s39, 0
                                        ; implicit-def: $sgpr37
                                        ; implicit-def: $sgpr38
	s_branch .LBB2_7356
.LBB2_7355:                             ;   in Loop: Header=BB2_7356 Depth=3
	s_or_b32 exec_lo, exec_lo, s41
	s_delay_alu instid0(SALU_CYCLE_1) | instskip(NEXT) | instid1(SALU_CYCLE_1)
	s_and_b32 vcc_lo, exec_lo, vcc_lo
	s_or_b32 s36, vcc_lo, s36
	s_and_not1_b32 vcc_lo, s37, exec_lo
	s_and_b32 s37, s38, exec_lo
	s_delay_alu instid0(SALU_CYCLE_1)
	s_or_b32 s37, vcc_lo, s37
	s_and_not1_b32 exec_lo, exec_lo, s36
	s_cbranch_execz .LBB2_7362
.LBB2_7356:                             ;   Parent Loop BB2_51 Depth=1
                                        ;     Parent Loop BB2_7296 Depth=2
                                        ; =>    This Inner Loop Header: Depth=3
	s_add_i32 s39, s39, 1
                                        ; implicit-def: $sgpr41
	s_delay_alu instid0(SALU_CYCLE_1) | instskip(SKIP_1) | instid1(SALU_CYCLE_1)
	s_cmpk_lg_i32 s39, 0x2710
	s_cselect_b32 s40, -1, 0
	s_and_b32 vcc_lo, exec_lo, s40
	s_cbranch_vccz .LBB2_7360
.LBB2_7357:                             ;   in Loop: Header=BB2_7356 Depth=3
	s_and_not1_b32 s38, s38, exec_lo
	s_and_b32 s41, s41, exec_lo
	s_mov_b32 vcc_lo, -1
	s_or_b32 s38, s38, s41
	s_and_saveexec_b32 s41, s40
	s_cbranch_execz .LBB2_7355
; %bb.7358:                             ;   in Loop: Header=BB2_7356 Depth=3
	s_sleep 1
	s_cbranch_execnz .LBB2_7787
; %bb.7359:                             ;   in Loop: Header=BB2_7356 Depth=3
	ds_load_b64 v[8:9], v0
	s_and_not1_b32 s38, s38, exec_lo
	s_waitcnt lgkmcnt(0)
	v_cmp_ge_u64_e32 vcc_lo, v[8:9], v[12:13]
	s_or_not1_b32 vcc_lo, vcc_lo, exec_lo
	s_branch .LBB2_7355
.LBB2_7360:                             ;   in Loop: Header=BB2_7356 Depth=3
	s_cbranch_execnz .LBB2_7805
; %bb.7361:                             ;   in Loop: Header=BB2_7356 Depth=3
	ds_load_b64 v[8:9], v0
	s_and_not1_b32 s40, s40, exec_lo
	s_mov_b32 s39, 0
	s_mov_b32 s41, -1
	s_waitcnt lgkmcnt(0)
	s_waitcnt_vscnt null, 0x0
	flat_load_b32 v2, v[8:9] glc
	s_waitcnt vmcnt(0) lgkmcnt(0)
	buffer_gl1_inv
	buffer_gl0_inv
	v_cmp_eq_u32_e32 vcc_lo, 0, v2
	s_and_b32 vcc_lo, vcc_lo, exec_lo
	s_delay_alu instid0(SALU_CYCLE_1)
	s_or_b32 s40, s40, vcc_lo
	s_branch .LBB2_7357
.LBB2_7362:                             ;   in Loop: Header=BB2_7296 Depth=2
	s_or_b32 exec_lo, exec_lo, s36
	s_and_saveexec_b32 vcc_lo, s37
	s_delay_alu instid0(SALU_CYCLE_1)
	s_xor_b32 vcc_lo, exec_lo, vcc_lo
	s_cbranch_execz .LBB2_7364
; %bb.7363:                             ;   in Loop: Header=BB2_7296 Depth=2
	ds_store_b32 v0, v115
	s_cbranch_execnz .LBB2_7915
.LBB2_7364:                             ;   in Loop: Header=BB2_7296 Depth=2
	s_or_b32 exec_lo, exec_lo, s31
	;;#ASMSTART
	s_wakeup
	;;#ASMEND
.LBB2_7365:                             ;   in Loop: Header=BB2_7296 Depth=2
	s_or_b32 exec_lo, exec_lo, s17
.LBB2_7366:                             ;   in Loop: Header=BB2_7296 Depth=2
	s_and_not1_saveexec_b32 s16, s16
	s_cbranch_execz .LBB2_7368
; %bb.7367:                             ;   in Loop: Header=BB2_7296 Depth=2
	;;#ASMSTART
	s_waitcnt lgkmcnt(0) vmcnt(0)
	;;#ASMEND
	s_waitcnt lgkmcnt(0)
	s_waitcnt_vscnt null, 0x0
	s_barrier
.LBB2_7368:                             ;   in Loop: Header=BB2_7296 Depth=2
	s_or_b32 exec_lo, exec_lo, s16
.LBB2_7369:                             ;   in Loop: Header=BB2_7296 Depth=2
	s_delay_alu instid0(SALU_CYCLE_1) | instskip(SKIP_2) | instid1(VALU_DEP_1)
	s_or_b32 exec_lo, exec_lo, s13
	v_and_b32_e32 v2, 32, v30
	s_mov_b32 s13, exec_lo
	v_cmpx_ne_u32_e32 0, v2
	s_cbranch_execz .LBB2_7371
; %bb.7370:                             ;   in Loop: Header=BB2_7296 Depth=2
	v_add_co_u32 v22, vcc_lo, v22, 2
	v_add_co_ci_u32_e32 v23, vcc_lo, 0, v23, vcc_lo
	s_waitcnt lgkmcnt(0)
	s_waitcnt_vscnt null, 0x0
	flat_store_b64 v[20:21], v[22:23]
.LBB2_7371:                             ;   in Loop: Header=BB2_7296 Depth=2
	s_or_b32 exec_lo, exec_lo, s13
	v_add_nc_u32_e32 v50, v49, v50
	s_mov_b32 s13, 0
	s_and_not1_b32 exec_lo, exec_lo, s15
	s_cbranch_execnz .LBB2_7296
; %bb.7372:                             ;   in Loop: Header=BB2_51 Depth=1
	s_or_b32 exec_lo, exec_lo, s15
.LBB2_7373:                             ;   in Loop: Header=BB2_51 Depth=1
	s_delay_alu instid0(SALU_CYCLE_1) | instskip(SKIP_4) | instid1(VALU_DEP_3)
	s_or_b32 exec_lo, exec_lo, s14
	v_add_co_u32 v36, vcc_lo, v36, v32
	v_add_co_ci_u32_e32 v37, vcc_lo, v37, v33, vcc_lo
	v_readlane_b32 s14, v46, 3
	v_readlane_b32 s31, v46, 1
	v_cmp_ge_i64_e32 vcc_lo, v[36:37], v[4:5]
	s_or_b32 s24, vcc_lo, s24
	s_delay_alu instid0(SALU_CYCLE_1)
	s_and_not1_b32 exec_lo, exec_lo, s24
	s_cbranch_execz .LBB2_7374
; %bb.8197:                             ;   in Loop: Header=BB2_51 Depth=1
	s_getpc_b64 s[48:49]
.Lpost_getpc131:
	s_add_u32 s48, s48, (.LBB2_51-.Lpost_getpc131)&4294967295
	s_addc_u32 s49, s49, (.LBB2_51-.Lpost_getpc131)>>32
	s_setpc_b64 s[48:49]
.LBB2_7374:
	s_or_b32 exec_lo, exec_lo, s24
.LBB2_7375:
	s_delay_alu instid0(SALU_CYCLE_1)
	s_or_b32 exec_lo, exec_lo, s20
; %bb.7376:
	v_and_b32_e32 v0, 0x800, v30
	s_mov_b32 s0, exec_lo
	s_delay_alu instid0(VALU_DEP_1)
	v_cmpx_eq_u32_e32 0, v0
	s_cbranch_execz .LBB2_7633
; %bb.7377:
	v_and_b32_e32 v0, 48, v30
	s_mov_b32 s1, exec_lo
	s_delay_alu instid0(VALU_DEP_1)
	v_cmpx_ne_u32_e32 0, v0
	s_cbranch_execz .LBB2_7379
; %bb.7378:
	flat_store_b64 v[18:19], v[22:23] offset:104
.LBB2_7379:
	s_or_b32 exec_lo, exec_lo, s1
	v_and_b32_e32 v0, 0x88, v30
	s_mov_b32 s1, exec_lo
	s_delay_alu instid0(VALU_DEP_1)
	v_cmpx_eq_u32_e32 0x88, v0
	s_cbranch_execz .LBB2_7429
; %bb.7380:
	v_add_nc_u32_e32 v0, 6, v22
	s_mov_b32 s2, 0
                                        ; implicit-def: $sgpr3
	s_delay_alu instid0(VALU_DEP_1) | instskip(NEXT) | instid1(VALU_DEP_1)
	v_and_b32_e32 v0, 7, v0
	v_mad_u64_u32 v[2:3], null, v0, 24, v[6:7]
	v_mov_b32_e32 v0, 0
	s_delay_alu instid0(VALU_DEP_2) | instskip(NEXT) | instid1(VALU_DEP_3)
	v_add_co_u32 v2, vcc_lo, v2, 8
	v_add_co_ci_u32_e32 v3, vcc_lo, 0, v3, vcc_lo
	s_branch .LBB2_7415
.LBB2_7381:
	s_trap 2
	s_sendmsg_rtn_b32 s0, sendmsg(MSG_RTN_GET_DOORBELL)
	s_mov_b32 ttmp2, m0
	s_waitcnt lgkmcnt(0)
	s_and_b32 s0, s0, 0x3ff
	s_delay_alu instid0(SALU_CYCLE_1) | instskip(NEXT) | instid1(SALU_CYCLE_1)
	s_bitset1_b32 s0, 10
	s_mov_b32 m0, s0
	s_sendmsg sendmsg(MSG_INTERRUPT)
	s_mov_b32 m0, ttmp2
.LBB2_7382:                             ; =>This Inner Loop Header: Depth=1
	s_sethalt 5
	s_branch .LBB2_7382
.LBB2_7383:
	v_bfe_u32 v9, v7, 8, 8
	v_not_b32_e32 v8, v8
	s_mov_b32 s1, exec_lo
                                        ; implicit-def: $vgpr32_vgpr33
                                        ; implicit-def: $vgpr14_vgpr15
                                        ; implicit-def: $vgpr4_vgpr5
	s_delay_alu instid0(VALU_DEP_2)
	v_cmpx_ne_u32_e64 v9, v6
	s_xor_b32 s1, exec_lo, s1
	s_cbranch_execz .LBB2_7385
; %bb.7384:
	s_clause 0x1
	flat_load_b128 v[9:12], v[2:3] offset:72
	flat_load_b64 v[4:5], v[2:3] offset:96
	v_add_nc_u32_e32 v6, v6, v8
                                        ; implicit-def: $vgpr8
	s_waitcnt vmcnt(0) lgkmcnt(0)
	v_lshrrev_b64 v[32:33], 12, v[4:5]
	v_dual_mov_b32 v4, v11 :: v_dual_mov_b32 v5, v12
	s_delay_alu instid0(VALU_DEP_3) | instskip(SKIP_2) | instid1(VALU_DEP_3)
	v_ashrrev_i32_e32 v7, 31, v6
	v_mad_u64_u32 v[14:15], null, v11, v6, v[9:10]
	v_mul_lo_u32 v6, v12, v6
                                        ; implicit-def: $vgpr9
	v_mul_lo_u32 v7, v11, v7
	s_delay_alu instid0(VALU_DEP_1)
	v_add3_u32 v15, v6, v15, v7
.LBB2_7385:
	s_and_not1_saveexec_b32 s1, s1
	s_cbranch_execz .LBB2_7387
; %bb.7386:
	s_clause 0x1
	flat_load_b128 v[10:13], v[2:3] offset:72
	flat_load_b128 v[4:7], v[2:3] offset:88
	s_waitcnt vmcnt(0) lgkmcnt(0)
	v_add_nc_u32_e32 v6, v9, v8
	s_delay_alu instid0(VALU_DEP_1) | instskip(NEXT) | instid1(VALU_DEP_1)
	v_ashrrev_i32_e32 v8, 31, v6
	v_mul_lo_u32 v8, v12, v8
	v_mad_u64_u32 v[14:15], null, v12, v6, v[10:11]
	v_mul_lo_u32 v6, v13, v6
	v_lshrrev_b32_e32 v32, 1, v7
	s_delay_alu instid0(VALU_DEP_2)
	v_add3_u32 v15, v6, v15, v8
.LBB2_7387:
	s_or_b32 exec_lo, exec_lo, s1
	s_and_not1_saveexec_b32 s0, s0
	s_cbranch_execnz .LBB2_7388
; %bb.8199:
	s_getpc_b64 s[48:49]
.Lpost_getpc132:
	s_add_u32 s48, s48, (.LBB2_3-.Lpost_getpc132)&4294967295
	s_addc_u32 s49, s49, (.LBB2_3-.Lpost_getpc132)>>32
	s_setpc_b64 s[48:49]
.LBB2_7388:
	s_clause 0x1
	flat_load_b64 v[6:7], v[2:3] offset:96
	flat_load_b64 v[4:5], v[2:3] offset:72
	v_mov_b32_e32 v14, 0
	v_mov_b32_e32 v15, 0
	s_waitcnt vmcnt(1) lgkmcnt(1)
	v_lshlrev_b64 v[32:33], 9, v[6:7]
	s_or_b32 exec_lo, exec_lo, s0
	s_cbranch_execnz .LBB2_7389
; %bb.8201:
	s_getpc_b64 s[48:49]
.Lpost_getpc133:
	s_add_u32 s48, s48, (.LBB2_4-.Lpost_getpc133)&4294967295
	s_addc_u32 s49, s49, (.LBB2_4-.Lpost_getpc133)>>32
	s_setpc_b64 s[48:49]
.LBB2_7389:
	s_trap 2
	s_sendmsg_rtn_b32 s0, sendmsg(MSG_RTN_GET_DOORBELL)
	s_mov_b32 ttmp2, m0
	s_waitcnt lgkmcnt(0)
	s_and_b32 s0, s0, 0x3ff
	s_delay_alu instid0(SALU_CYCLE_1) | instskip(NEXT) | instid1(SALU_CYCLE_1)
	s_bitset1_b32 s0, 10
	s_mov_b32 m0, s0
	s_sendmsg sendmsg(MSG_INTERRUPT)
	s_mov_b32 m0, ttmp2
.LBB2_7390:                             ; =>This Inner Loop Header: Depth=1
	s_sethalt 5
	s_branch .LBB2_7390
.LBB2_7391:
	s_trap 2
	s_sendmsg_rtn_b32 s0, sendmsg(MSG_RTN_GET_DOORBELL)
	s_mov_b32 ttmp2, m0
	s_waitcnt lgkmcnt(0)
	s_and_b32 s0, s0, 0x3ff
	s_delay_alu instid0(SALU_CYCLE_1) | instskip(NEXT) | instid1(SALU_CYCLE_1)
	s_bitset1_b32 s0, 10
	s_mov_b32 m0, s0
	s_sendmsg sendmsg(MSG_INTERRUPT)
	s_mov_b32 m0, ttmp2
.LBB2_7392:                             ; =>This Inner Loop Header: Depth=1
	s_sethalt 5
	s_branch .LBB2_7392
.LBB2_7393:
	s_trap 2
	s_sendmsg_rtn_b32 s0, sendmsg(MSG_RTN_GET_DOORBELL)
	s_mov_b32 ttmp2, m0
	s_waitcnt lgkmcnt(0)
	s_and_b32 s0, s0, 0x3ff
	s_delay_alu instid0(SALU_CYCLE_1) | instskip(NEXT) | instid1(SALU_CYCLE_1)
	s_bitset1_b32 s0, 10
	s_mov_b32 m0, s0
	s_sendmsg sendmsg(MSG_INTERRUPT)
	s_mov_b32 m0, ttmp2
.LBB2_7394:                             ; =>This Inner Loop Header: Depth=1
	s_sethalt 5
	s_branch .LBB2_7394
.LBB2_7395:
	s_trap 2
	s_sendmsg_rtn_b32 s0, sendmsg(MSG_RTN_GET_DOORBELL)
	s_mov_b32 ttmp2, m0
	s_waitcnt lgkmcnt(0)
	s_and_b32 s0, s0, 0x3ff
	s_delay_alu instid0(SALU_CYCLE_1) | instskip(NEXT) | instid1(SALU_CYCLE_1)
	s_bitset1_b32 s0, 10
	s_mov_b32 m0, s0
	s_sendmsg sendmsg(MSG_INTERRUPT)
	s_mov_b32 m0, ttmp2
.LBB2_7396:                             ; =>This Inner Loop Header: Depth=1
	s_sethalt 5
	s_branch .LBB2_7396
.LBB2_7397:
	s_trap 2
	s_sendmsg_rtn_b32 s0, sendmsg(MSG_RTN_GET_DOORBELL)
	s_mov_b32 ttmp2, m0
	s_waitcnt lgkmcnt(0)
	s_and_b32 s0, s0, 0x3ff
	s_delay_alu instid0(SALU_CYCLE_1) | instskip(NEXT) | instid1(SALU_CYCLE_1)
	s_bitset1_b32 s0, 10
	s_mov_b32 m0, s0
	s_sendmsg sendmsg(MSG_INTERRUPT)
	s_mov_b32 m0, ttmp2
.LBB2_7398:                             ; =>This Inner Loop Header: Depth=1
	s_sethalt 5
	s_branch .LBB2_7398
.LBB2_7399:
	s_trap 2
	s_sendmsg_rtn_b32 s0, sendmsg(MSG_RTN_GET_DOORBELL)
	s_mov_b32 ttmp2, m0
	s_waitcnt lgkmcnt(0)
	s_and_b32 s0, s0, 0x3ff
	s_delay_alu instid0(SALU_CYCLE_1) | instskip(NEXT) | instid1(SALU_CYCLE_1)
	s_bitset1_b32 s0, 10
	s_mov_b32 m0, s0
	s_sendmsg sendmsg(MSG_INTERRUPT)
	s_mov_b32 m0, ttmp2
.LBB2_7400:                             ; =>This Inner Loop Header: Depth=1
	s_sethalt 5
	s_branch .LBB2_7400
.LBB2_7401:
	s_trap 2
	s_sendmsg_rtn_b32 s0, sendmsg(MSG_RTN_GET_DOORBELL)
	s_mov_b32 ttmp2, m0
	s_waitcnt lgkmcnt(0)
	s_and_b32 s0, s0, 0x3ff
	s_delay_alu instid0(SALU_CYCLE_1) | instskip(NEXT) | instid1(SALU_CYCLE_1)
	s_bitset1_b32 s0, 10
	s_mov_b32 m0, s0
	s_sendmsg sendmsg(MSG_INTERRUPT)
	s_mov_b32 m0, ttmp2
.LBB2_7402:                             ; =>This Inner Loop Header: Depth=1
	s_sethalt 5
	s_branch .LBB2_7402
.LBB2_7403:
	s_trap 2
	s_sendmsg_rtn_b32 s0, sendmsg(MSG_RTN_GET_DOORBELL)
	s_mov_b32 ttmp2, m0
	s_waitcnt lgkmcnt(0)
	s_and_b32 s0, s0, 0x3ff
	s_delay_alu instid0(SALU_CYCLE_1) | instskip(NEXT) | instid1(SALU_CYCLE_1)
	s_bitset1_b32 s0, 10
	s_mov_b32 m0, s0
	s_sendmsg sendmsg(MSG_INTERRUPT)
	s_mov_b32 m0, ttmp2
.LBB2_7404:                             ; =>This Inner Loop Header: Depth=1
	s_sethalt 5
	s_branch .LBB2_7404
.LBB2_7405:
	s_trap 2
	s_sendmsg_rtn_b32 s0, sendmsg(MSG_RTN_GET_DOORBELL)
	s_mov_b32 ttmp2, m0
	s_waitcnt lgkmcnt(0)
	s_and_b32 s0, s0, 0x3ff
	s_delay_alu instid0(SALU_CYCLE_1) | instskip(NEXT) | instid1(SALU_CYCLE_1)
	s_bitset1_b32 s0, 10
	s_mov_b32 m0, s0
	s_sendmsg sendmsg(MSG_INTERRUPT)
	s_mov_b32 m0, ttmp2
.LBB2_7406:                             ; =>This Inner Loop Header: Depth=1
	s_sethalt 5
	s_branch .LBB2_7406
.LBB2_7407:
	s_trap 2
	s_sendmsg_rtn_b32 s0, sendmsg(MSG_RTN_GET_DOORBELL)
	s_mov_b32 ttmp2, m0
	s_waitcnt lgkmcnt(0)
	s_and_b32 s0, s0, 0x3ff
	s_delay_alu instid0(SALU_CYCLE_1) | instskip(NEXT) | instid1(SALU_CYCLE_1)
	s_bitset1_b32 s0, 10
	s_mov_b32 m0, s0
	s_sendmsg sendmsg(MSG_INTERRUPT)
	s_mov_b32 m0, ttmp2
.LBB2_7408:                             ; =>This Inner Loop Header: Depth=1
	s_sethalt 5
	s_branch .LBB2_7408
.LBB2_7409:
	s_trap 2
	s_sendmsg_rtn_b32 s0, sendmsg(MSG_RTN_GET_DOORBELL)
	s_mov_b32 ttmp2, m0
	s_waitcnt lgkmcnt(0)
	s_and_b32 s0, s0, 0x3ff
	s_delay_alu instid0(SALU_CYCLE_1) | instskip(NEXT) | instid1(SALU_CYCLE_1)
	s_bitset1_b32 s0, 10
	s_mov_b32 m0, s0
	s_sendmsg sendmsg(MSG_INTERRUPT)
	s_mov_b32 m0, ttmp2
.LBB2_7410:                             ; =>This Inner Loop Header: Depth=1
	s_sethalt 5
	s_branch .LBB2_7410
.LBB2_7411:                             ;   in Loop: Header=BB2_7415 Depth=1
	s_or_b32 exec_lo, exec_lo, s10
	v_mov_b32_e32 v4, 0
	s_or_not1_b32 s7, s7, exec_lo
.LBB2_7412:                             ;   in Loop: Header=BB2_7415 Depth=1
	s_or_b32 exec_lo, exec_lo, s6
	s_delay_alu instid0(VALU_DEP_1)
	v_mov_b32_e32 v0, v4
	s_and_b32 s6, s7, exec_lo
.LBB2_7413:                             ;   in Loop: Header=BB2_7415 Depth=1
	s_or_b32 exec_lo, exec_lo, s5
	s_xor_b32 s5, s6, -1
	s_and_not1_b32 s3, s3, exec_lo
	s_and_b32 s5, s5, exec_lo
	s_delay_alu instid0(SALU_CYCLE_1)
	s_or_b32 s3, s3, s5
.LBB2_7414:                             ;   in Loop: Header=BB2_7415 Depth=1
	s_or_b32 exec_lo, exec_lo, s4
	s_delay_alu instid0(SALU_CYCLE_1) | instskip(NEXT) | instid1(SALU_CYCLE_1)
	s_and_b32 s4, exec_lo, s3
	s_or_b32 s2, s4, s2
	s_delay_alu instid0(SALU_CYCLE_1)
	s_and_not1_b32 exec_lo, exec_lo, s2
	s_cbranch_execz .LBB2_7428
.LBB2_7415:                             ; =>This Inner Loop Header: Depth=1
	flat_load_b64 v[4:5], v[2:3] glc dlc
	s_waitcnt vmcnt(0)
	s_or_b32 s3, s3, exec_lo
	s_mov_b32 s4, exec_lo
	s_waitcnt lgkmcnt(0)
	v_cmpx_ne_u64_e32 -1, v[4:5]
	s_cbranch_execz .LBB2_7414
; %bb.7416:                             ;   in Loop: Header=BB2_7415 Depth=1
	v_and_b32_e32 v4, 64, v30
	s_mov_b32 s6, 0
	s_mov_b32 s5, exec_lo
	s_delay_alu instid0(VALU_DEP_1)
	v_cmpx_eq_u32_e32 0, v4
	s_cbranch_execz .LBB2_7413
; %bb.7417:                             ;   in Loop: Header=BB2_7415 Depth=1
	v_add_nc_u32_e32 v4, 1, v0
	s_mov_b32 s7, -1
	s_mov_b32 s6, exec_lo
	v_cmpx_lt_i32_e32 0x270e, v0
	s_cbranch_execz .LBB2_7412
; %bb.7418:                             ;   in Loop: Header=BB2_7415 Depth=1
	s_cbranch_execnz .LBB2_7422
; %bb.7419:                             ;   in Loop: Header=BB2_7415 Depth=1
	ds_load_b64 v[4:5], v0
	s_mov_b32 s10, exec_lo
	s_waitcnt lgkmcnt(0)
	s_waitcnt_vscnt null, 0x0
	flat_load_b32 v0, v[4:5] glc
	s_waitcnt vmcnt(0) lgkmcnt(0)
	buffer_gl1_inv
	buffer_gl0_inv
	v_cmpx_ne_u32_e32 0, v0
	s_cbranch_execz .LBB2_7411
; %bb.7420:                             ;   in Loop: Header=BB2_7415 Depth=1
	ds_store_b32 v0, v0
	s_cbranch_execnz .LBB2_7446
; %bb.7421:                             ;   in Loop: Header=BB2_7415 Depth=1
	v_or_b32_e32 v30, 64, v30
	s_xor_b32 s7, exec_lo, -1
	s_branch .LBB2_7411
.LBB2_7422:
	s_trap 2
	s_sendmsg_rtn_b32 s0, sendmsg(MSG_RTN_GET_DOORBELL)
	s_mov_b32 ttmp2, m0
	s_waitcnt lgkmcnt(0)
	s_and_b32 s0, s0, 0x3ff
	s_delay_alu instid0(SALU_CYCLE_1) | instskip(NEXT) | instid1(SALU_CYCLE_1)
	s_bitset1_b32 s0, 10
	s_mov_b32 m0, s0
	s_sendmsg sendmsg(MSG_INTERRUPT)
	s_mov_b32 m0, ttmp2
.LBB2_7423:                             ; =>This Inner Loop Header: Depth=1
	s_sethalt 5
	s_branch .LBB2_7423
.LBB2_7424:
	s_trap 2
	s_sendmsg_rtn_b32 s0, sendmsg(MSG_RTN_GET_DOORBELL)
	s_mov_b32 ttmp2, m0
	s_waitcnt lgkmcnt(0)
	s_and_b32 s0, s0, 0x3ff
	s_delay_alu instid0(SALU_CYCLE_1) | instskip(NEXT) | instid1(SALU_CYCLE_1)
	s_bitset1_b32 s0, 10
	s_mov_b32 m0, s0
	s_sendmsg sendmsg(MSG_INTERRUPT)
	s_mov_b32 m0, ttmp2
.LBB2_7425:                             ; =>This Inner Loop Header: Depth=1
	s_sethalt 5
	s_branch .LBB2_7425
.LBB2_7426:
	s_trap 2
	s_sendmsg_rtn_b32 s0, sendmsg(MSG_RTN_GET_DOORBELL)
	s_mov_b32 ttmp2, m0
	s_waitcnt lgkmcnt(0)
	s_and_b32 s0, s0, 0x3ff
	s_delay_alu instid0(SALU_CYCLE_1) | instskip(NEXT) | instid1(SALU_CYCLE_1)
	s_bitset1_b32 s0, 10
	s_mov_b32 m0, s0
	s_sendmsg sendmsg(MSG_INTERRUPT)
	s_mov_b32 m0, ttmp2
.LBB2_7427:                             ; =>This Inner Loop Header: Depth=1
	s_sethalt 5
	s_branch .LBB2_7427
.LBB2_7428:
	s_or_b32 exec_lo, exec_lo, s2
.LBB2_7429:
	s_delay_alu instid0(SALU_CYCLE_1) | instskip(SKIP_2) | instid1(VALU_DEP_1)
	s_or_b32 exec_lo, exec_lo, s1
	v_and_b32_e32 v0, 0x2000, v30
	s_mov_b32 s1, exec_lo
	v_cmpx_ne_u32_e32 0, v0
	s_cbranch_execz .LBB2_7432
; %bb.7430:
	s_cbranch_execnz .LBB2_7440
; %bb.7431:
	ds_load_b64 v[2:3], v0
	s_waitcnt lgkmcnt(0)
	flat_store_b64 v[16:17], v[2:3] offset:16
.LBB2_7432:
	s_or_b32 exec_lo, exec_lo, s1
	v_cmp_ne_u32_e32 vcc_lo, 32, v1
	s_and_b32 exec_lo, exec_lo, vcc_lo
	s_cbranch_execz .LBB2_7633
; %bb.7433:
	s_mov_b32 s1, exec_lo
	v_cmpx_ne_u32_e64 v69, v1
	s_xor_b32 s1, exec_lo, s1
	s_cbranch_execz .LBB2_7631
; %bb.7434:
	v_and_b32_e32 v0, 31, v31
	s_mov_b32 s2, exec_lo
	s_delay_alu instid0(VALU_DEP_1)
	v_cmpx_eq_u32_e32 0, v0
	s_cbranch_execz .LBB2_7630
; %bb.7435:
	s_mov_b32 s4, exec_lo
	s_mov_b32 s3, exec_lo
	v_mbcnt_lo_u32_b32 v0, s4, 0
	s_waitcnt lgkmcnt(0)
	s_waitcnt_vscnt null, 0x0
	buffer_gl1_inv
	buffer_gl0_inv
	v_cmpx_eq_u32_e32 0, v0
	s_cbranch_execz .LBB2_7437
; %bb.7436:
	s_bcnt1_i32_b32 s4, s4
	s_delay_alu instid0(SALU_CYCLE_1)
	v_dual_mov_b32 v3, 0 :: v_dual_mov_b32 v2, s4
	ds_add_u64 v0, v[2:3]
	s_cbranch_execnz .LBB2_7475
.LBB2_7437:
	s_or_b32 exec_lo, exec_lo, s3
	s_cbranch_execnz .LBB2_7454
; %bb.7438:
	v_ashrrev_i32_e32 v0, 31, v1
	s_mov_b32 s3, exec_lo
	s_delay_alu instid0(VALU_DEP_1) | instskip(NEXT) | instid1(VALU_DEP_1)
	v_lshrrev_b32_e32 v0, 27, v0
	v_add_nc_u32_e32 v0, v1, v0
	ds_load_b64 v[2:3], v0
	v_ashrrev_i32_e32 v0, 5, v0
	s_delay_alu instid0(VALU_DEP_1) | instskip(SKIP_1) | instid1(VALU_DEP_2)
	v_ashrrev_i32_e32 v1, 31, v0
	v_add_co_u32 v0, vcc_lo, v12, v0
	v_add_co_ci_u32_e32 v1, vcc_lo, v13, v1, vcc_lo
	s_waitcnt lgkmcnt(0)
	s_delay_alu instid0(VALU_DEP_1)
	v_cmpx_lt_u64_e64 v[2:3], v[0:1]
	s_cbranch_execz .LBB2_7629
; %bb.7439:
	s_mov_b32 s4, 0
	s_mov_b32 s7, 0
                                        ; implicit-def: $sgpr5
                                        ; implicit-def: $sgpr6
	s_branch .LBB2_7461
.LBB2_7440:
	s_trap 2
	s_sendmsg_rtn_b32 s0, sendmsg(MSG_RTN_GET_DOORBELL)
	s_mov_b32 ttmp2, m0
	s_waitcnt lgkmcnt(0)
	s_and_b32 s0, s0, 0x3ff
	s_delay_alu instid0(SALU_CYCLE_1) | instskip(NEXT) | instid1(SALU_CYCLE_1)
	s_bitset1_b32 s0, 10
	s_mov_b32 m0, s0
	s_sendmsg sendmsg(MSG_INTERRUPT)
	s_mov_b32 m0, ttmp2
.LBB2_7441:                             ; =>This Inner Loop Header: Depth=1
	s_sethalt 5
	s_branch .LBB2_7441
.LBB2_7442:
	s_trap 2
	s_sendmsg_rtn_b32 s0, sendmsg(MSG_RTN_GET_DOORBELL)
	s_mov_b32 ttmp2, m0
	s_waitcnt lgkmcnt(0)
	s_and_b32 s0, s0, 0x3ff
	s_delay_alu instid0(SALU_CYCLE_1) | instskip(NEXT) | instid1(SALU_CYCLE_1)
	s_bitset1_b32 s0, 10
	s_mov_b32 m0, s0
	s_sendmsg sendmsg(MSG_INTERRUPT)
	s_mov_b32 m0, ttmp2
.LBB2_7443:                             ; =>This Inner Loop Header: Depth=1
	s_sethalt 5
	s_branch .LBB2_7443
.LBB2_7444:
	s_trap 2
	s_sendmsg_rtn_b32 s0, sendmsg(MSG_RTN_GET_DOORBELL)
	s_mov_b32 ttmp2, m0
	s_waitcnt lgkmcnt(0)
	s_and_b32 s0, s0, 0x3ff
	s_delay_alu instid0(SALU_CYCLE_1) | instskip(NEXT) | instid1(SALU_CYCLE_1)
	s_bitset1_b32 s0, 10
	s_mov_b32 m0, s0
	s_sendmsg sendmsg(MSG_INTERRUPT)
	s_mov_b32 m0, ttmp2
.LBB2_7445:                             ; =>This Inner Loop Header: Depth=1
	s_sethalt 5
	s_branch .LBB2_7445
.LBB2_7446:
	s_trap 2
	s_sendmsg_rtn_b32 s0, sendmsg(MSG_RTN_GET_DOORBELL)
	s_mov_b32 ttmp2, m0
	s_waitcnt lgkmcnt(0)
	s_and_b32 s0, s0, 0x3ff
	s_delay_alu instid0(SALU_CYCLE_1) | instskip(NEXT) | instid1(SALU_CYCLE_1)
	s_bitset1_b32 s0, 10
	s_mov_b32 m0, s0
	s_sendmsg sendmsg(MSG_INTERRUPT)
	s_mov_b32 m0, ttmp2
.LBB2_7447:                             ; =>This Inner Loop Header: Depth=1
	s_sethalt 5
	s_branch .LBB2_7447
.LBB2_7448:
	s_trap 2
	s_sendmsg_rtn_b32 s0, sendmsg(MSG_RTN_GET_DOORBELL)
	s_mov_b32 ttmp2, m0
	s_waitcnt lgkmcnt(0)
	s_and_b32 s0, s0, 0x3ff
	s_delay_alu instid0(SALU_CYCLE_1) | instskip(NEXT) | instid1(SALU_CYCLE_1)
	s_bitset1_b32 s0, 10
	s_mov_b32 m0, s0
	s_sendmsg sendmsg(MSG_INTERRUPT)
	s_mov_b32 m0, ttmp2
.LBB2_7449:                             ; =>This Inner Loop Header: Depth=1
	s_sethalt 5
	s_branch .LBB2_7449
.LBB2_7450:
	s_trap 2
	s_sendmsg_rtn_b32 s0, sendmsg(MSG_RTN_GET_DOORBELL)
	s_mov_b32 ttmp2, m0
	s_waitcnt lgkmcnt(0)
	s_and_b32 s0, s0, 0x3ff
	s_delay_alu instid0(SALU_CYCLE_1) | instskip(NEXT) | instid1(SALU_CYCLE_1)
	s_bitset1_b32 s0, 10
	s_mov_b32 m0, s0
	s_sendmsg sendmsg(MSG_INTERRUPT)
	s_mov_b32 m0, ttmp2
.LBB2_7451:                             ; =>This Inner Loop Header: Depth=1
	s_sethalt 5
	s_branch .LBB2_7451
.LBB2_7452:
	s_trap 2
	s_sendmsg_rtn_b32 s0, sendmsg(MSG_RTN_GET_DOORBELL)
	s_mov_b32 ttmp2, m0
	s_waitcnt lgkmcnt(0)
	s_and_b32 s0, s0, 0x3ff
	s_delay_alu instid0(SALU_CYCLE_1) | instskip(NEXT) | instid1(SALU_CYCLE_1)
	s_bitset1_b32 s0, 10
	s_mov_b32 m0, s0
	s_sendmsg sendmsg(MSG_INTERRUPT)
	s_mov_b32 m0, ttmp2
.LBB2_7453:                             ; =>This Inner Loop Header: Depth=1
	s_sethalt 5
	s_branch .LBB2_7453
.LBB2_7454:
	s_trap 2
	s_sendmsg_rtn_b32 s0, sendmsg(MSG_RTN_GET_DOORBELL)
	s_mov_b32 ttmp2, m0
	s_waitcnt lgkmcnt(0)
	s_and_b32 s0, s0, 0x3ff
	s_delay_alu instid0(SALU_CYCLE_1) | instskip(NEXT) | instid1(SALU_CYCLE_1)
	s_bitset1_b32 s0, 10
	s_mov_b32 m0, s0
	s_sendmsg sendmsg(MSG_INTERRUPT)
	s_mov_b32 m0, ttmp2
.LBB2_7455:                             ; =>This Inner Loop Header: Depth=1
	s_sethalt 5
	s_branch .LBB2_7455
.LBB2_7456:
	s_trap 2
	s_sendmsg_rtn_b32 s0, sendmsg(MSG_RTN_GET_DOORBELL)
	s_mov_b32 ttmp2, m0
	s_waitcnt lgkmcnt(0)
	s_and_b32 s0, s0, 0x3ff
	s_delay_alu instid0(SALU_CYCLE_1) | instskip(NEXT) | instid1(SALU_CYCLE_1)
	s_bitset1_b32 s0, 10
	s_mov_b32 m0, s0
	s_sendmsg sendmsg(MSG_INTERRUPT)
	s_mov_b32 m0, ttmp2
.LBB2_7457:                             ; =>This Inner Loop Header: Depth=1
	s_sethalt 5
	s_branch .LBB2_7457
.LBB2_7458:
	s_trap 2
	s_sendmsg_rtn_b32 s0, sendmsg(MSG_RTN_GET_DOORBELL)
	s_mov_b32 ttmp2, m0
	s_waitcnt lgkmcnt(0)
	s_and_b32 s0, s0, 0x3ff
	s_delay_alu instid0(SALU_CYCLE_1) | instskip(NEXT) | instid1(SALU_CYCLE_1)
	s_bitset1_b32 s0, 10
	s_mov_b32 m0, s0
	s_sendmsg sendmsg(MSG_INTERRUPT)
	s_mov_b32 m0, ttmp2
.LBB2_7459:                             ; =>This Inner Loop Header: Depth=1
	s_sethalt 5
	s_branch .LBB2_7459
.LBB2_7460:                             ;   in Loop: Header=BB2_7461 Depth=1
	s_or_b32 exec_lo, exec_lo, s12
	s_delay_alu instid0(SALU_CYCLE_1) | instskip(NEXT) | instid1(SALU_CYCLE_1)
	s_and_b32 s10, exec_lo, s11
	s_or_b32 s4, s10, s4
	s_and_not1_b32 s5, s5, exec_lo
	s_and_b32 s10, s6, exec_lo
	s_delay_alu instid0(SALU_CYCLE_1)
	s_or_b32 s5, s5, s10
	s_and_not1_b32 exec_lo, exec_lo, s4
	s_cbranch_execz .LBB2_7627
.LBB2_7461:                             ; =>This Inner Loop Header: Depth=1
	s_add_i32 s7, s7, 1
                                        ; implicit-def: $sgpr11
	s_delay_alu instid0(SALU_CYCLE_1) | instskip(SKIP_1) | instid1(SALU_CYCLE_1)
	s_cmpk_lg_i32 s7, 0x2710
	s_cselect_b32 s10, -1, 0
	s_and_b32 vcc_lo, exec_lo, s10
	s_cbranch_vccz .LBB2_7465
.LBB2_7462:                             ;   in Loop: Header=BB2_7461 Depth=1
	s_and_not1_b32 s6, s6, exec_lo
	s_and_b32 s12, s11, exec_lo
	s_mov_b32 s11, -1
	s_or_b32 s6, s6, s12
	s_and_saveexec_b32 s12, s10
	s_cbranch_execz .LBB2_7460
; %bb.7463:                             ;   in Loop: Header=BB2_7461 Depth=1
	s_sleep 1
	s_cbranch_execnz .LBB2_7513
; %bb.7464:                             ;   in Loop: Header=BB2_7461 Depth=1
	ds_load_b64 v[2:3], v0
	s_and_not1_b32 s6, s6, exec_lo
	s_waitcnt lgkmcnt(0)
	v_cmp_ge_u64_e32 vcc_lo, v[2:3], v[0:1]
	s_or_not1_b32 s11, vcc_lo, exec_lo
	s_branch .LBB2_7460
.LBB2_7465:                             ;   in Loop: Header=BB2_7461 Depth=1
	s_cbranch_execnz .LBB2_7515
; %bb.7466:                             ;   in Loop: Header=BB2_7461 Depth=1
	ds_load_b64 v[2:3], v0
	s_and_not1_b32 s10, s10, exec_lo
	s_mov_b32 s7, 0
	s_mov_b32 s11, -1
	s_waitcnt lgkmcnt(0)
	flat_load_b32 v2, v[2:3] glc
	s_waitcnt vmcnt(0) lgkmcnt(0)
	buffer_gl1_inv
	buffer_gl0_inv
	v_cmp_eq_u32_e32 vcc_lo, 0, v2
	s_and_b32 s12, vcc_lo, exec_lo
	s_delay_alu instid0(SALU_CYCLE_1)
	s_or_b32 s10, s10, s12
	s_branch .LBB2_7462
.LBB2_7467:
	s_trap 2
	s_sendmsg_rtn_b32 s0, sendmsg(MSG_RTN_GET_DOORBELL)
	s_mov_b32 ttmp2, m0
	s_waitcnt lgkmcnt(0)
	s_and_b32 s0, s0, 0x3ff
	s_delay_alu instid0(SALU_CYCLE_1) | instskip(NEXT) | instid1(SALU_CYCLE_1)
	s_bitset1_b32 s0, 10
	s_mov_b32 m0, s0
	s_sendmsg sendmsg(MSG_INTERRUPT)
	s_mov_b32 m0, ttmp2
.LBB2_7468:                             ; =>This Inner Loop Header: Depth=1
	s_sethalt 5
	s_branch .LBB2_7468
.LBB2_7469:
	s_trap 2
	s_sendmsg_rtn_b32 s0, sendmsg(MSG_RTN_GET_DOORBELL)
	s_mov_b32 ttmp2, m0
	s_waitcnt lgkmcnt(0)
	s_and_b32 s0, s0, 0x3ff
	s_delay_alu instid0(SALU_CYCLE_1) | instskip(NEXT) | instid1(SALU_CYCLE_1)
	s_bitset1_b32 s0, 10
	s_mov_b32 m0, s0
	s_sendmsg sendmsg(MSG_INTERRUPT)
	s_mov_b32 m0, ttmp2
.LBB2_7470:                             ; =>This Inner Loop Header: Depth=1
	s_sethalt 5
	s_branch .LBB2_7470
.LBB2_7471:
	s_trap 2
	s_sendmsg_rtn_b32 s0, sendmsg(MSG_RTN_GET_DOORBELL)
	s_mov_b32 ttmp2, m0
	s_waitcnt lgkmcnt(0)
	s_and_b32 s0, s0, 0x3ff
	s_delay_alu instid0(SALU_CYCLE_1) | instskip(NEXT) | instid1(SALU_CYCLE_1)
	s_bitset1_b32 s0, 10
	s_mov_b32 m0, s0
	s_sendmsg sendmsg(MSG_INTERRUPT)
	s_mov_b32 m0, ttmp2
.LBB2_7472:                             ; =>This Inner Loop Header: Depth=1
	s_sethalt 5
	s_branch .LBB2_7472
.LBB2_7473:
	s_trap 2
	s_sendmsg_rtn_b32 s0, sendmsg(MSG_RTN_GET_DOORBELL)
	s_mov_b32 ttmp2, m0
	s_waitcnt lgkmcnt(0)
	s_and_b32 s0, s0, 0x3ff
	s_delay_alu instid0(SALU_CYCLE_1) | instskip(NEXT) | instid1(SALU_CYCLE_1)
	s_bitset1_b32 s0, 10
	s_mov_b32 m0, s0
	s_sendmsg sendmsg(MSG_INTERRUPT)
	s_mov_b32 m0, ttmp2
.LBB2_7474:                             ; =>This Inner Loop Header: Depth=1
	s_sethalt 5
	s_branch .LBB2_7474
.LBB2_7475:
	s_trap 2
	s_sendmsg_rtn_b32 s0, sendmsg(MSG_RTN_GET_DOORBELL)
	s_mov_b32 ttmp2, m0
	s_waitcnt lgkmcnt(0)
	s_and_b32 s0, s0, 0x3ff
	s_delay_alu instid0(SALU_CYCLE_1) | instskip(NEXT) | instid1(SALU_CYCLE_1)
	s_bitset1_b32 s0, 10
	s_mov_b32 m0, s0
	s_sendmsg sendmsg(MSG_INTERRUPT)
	s_mov_b32 m0, ttmp2
.LBB2_7476:                             ; =>This Inner Loop Header: Depth=1
	s_sethalt 5
	s_branch .LBB2_7476
.LBB2_7477:
	s_trap 2
	s_sendmsg_rtn_b32 s0, sendmsg(MSG_RTN_GET_DOORBELL)
	s_mov_b32 ttmp2, m0
	s_waitcnt lgkmcnt(0)
	s_and_b32 s0, s0, 0x3ff
	s_delay_alu instid0(SALU_CYCLE_1) | instskip(NEXT) | instid1(SALU_CYCLE_1)
	s_bitset1_b32 s0, 10
	s_mov_b32 m0, s0
	s_sendmsg sendmsg(MSG_INTERRUPT)
	s_mov_b32 m0, ttmp2
.LBB2_7478:                             ; =>This Inner Loop Header: Depth=1
	s_sethalt 5
	s_branch .LBB2_7478
.LBB2_7479:
	s_trap 2
	s_sendmsg_rtn_b32 s0, sendmsg(MSG_RTN_GET_DOORBELL)
	s_mov_b32 ttmp2, m0
	s_waitcnt lgkmcnt(0)
	s_and_b32 s0, s0, 0x3ff
	s_delay_alu instid0(SALU_CYCLE_1) | instskip(NEXT) | instid1(SALU_CYCLE_1)
	s_bitset1_b32 s0, 10
	s_mov_b32 m0, s0
	s_sendmsg sendmsg(MSG_INTERRUPT)
	s_mov_b32 m0, ttmp2
.LBB2_7480:                             ; =>This Inner Loop Header: Depth=1
	s_sethalt 5
	s_branch .LBB2_7480
.LBB2_7481:
	s_trap 2
	s_sendmsg_rtn_b32 s0, sendmsg(MSG_RTN_GET_DOORBELL)
	s_mov_b32 ttmp2, m0
	s_waitcnt lgkmcnt(0)
	s_and_b32 s0, s0, 0x3ff
	s_delay_alu instid0(SALU_CYCLE_1) | instskip(NEXT) | instid1(SALU_CYCLE_1)
	s_bitset1_b32 s0, 10
	s_mov_b32 m0, s0
	s_sendmsg sendmsg(MSG_INTERRUPT)
	s_mov_b32 m0, ttmp2
.LBB2_7482:                             ; =>This Inner Loop Header: Depth=1
	s_sethalt 5
	s_branch .LBB2_7482
.LBB2_7483:
	s_trap 2
	s_sendmsg_rtn_b32 s0, sendmsg(MSG_RTN_GET_DOORBELL)
	s_mov_b32 ttmp2, m0
	s_waitcnt lgkmcnt(0)
	s_and_b32 s0, s0, 0x3ff
	s_delay_alu instid0(SALU_CYCLE_1) | instskip(NEXT) | instid1(SALU_CYCLE_1)
	s_bitset1_b32 s0, 10
	s_mov_b32 m0, s0
	s_sendmsg sendmsg(MSG_INTERRUPT)
	s_mov_b32 m0, ttmp2
.LBB2_7484:                             ; =>This Inner Loop Header: Depth=1
	s_sethalt 5
	s_branch .LBB2_7484
.LBB2_7485:
	s_trap 2
	s_sendmsg_rtn_b32 s0, sendmsg(MSG_RTN_GET_DOORBELL)
	s_mov_b32 ttmp2, m0
	s_waitcnt lgkmcnt(0)
	s_and_b32 s0, s0, 0x3ff
	s_delay_alu instid0(SALU_CYCLE_1) | instskip(NEXT) | instid1(SALU_CYCLE_1)
	s_bitset1_b32 s0, 10
	s_mov_b32 m0, s0
	s_sendmsg sendmsg(MSG_INTERRUPT)
	s_mov_b32 m0, ttmp2
.LBB2_7486:                             ; =>This Inner Loop Header: Depth=1
	s_sethalt 5
	s_branch .LBB2_7486
.LBB2_7487:
	s_trap 2
	s_sendmsg_rtn_b32 s0, sendmsg(MSG_RTN_GET_DOORBELL)
	s_mov_b32 ttmp2, m0
	s_waitcnt lgkmcnt(0)
	s_and_b32 s0, s0, 0x3ff
	s_delay_alu instid0(SALU_CYCLE_1) | instskip(NEXT) | instid1(SALU_CYCLE_1)
	s_bitset1_b32 s0, 10
	s_mov_b32 m0, s0
	s_sendmsg sendmsg(MSG_INTERRUPT)
	s_mov_b32 m0, ttmp2
.LBB2_7488:                             ; =>This Inner Loop Header: Depth=1
	s_sethalt 5
	s_branch .LBB2_7488
.LBB2_7489:
	s_trap 2
	s_sendmsg_rtn_b32 s0, sendmsg(MSG_RTN_GET_DOORBELL)
	s_mov_b32 ttmp2, m0
	s_waitcnt lgkmcnt(0)
	s_and_b32 s0, s0, 0x3ff
	s_delay_alu instid0(SALU_CYCLE_1) | instskip(NEXT) | instid1(SALU_CYCLE_1)
	s_bitset1_b32 s0, 10
	s_mov_b32 m0, s0
	s_sendmsg sendmsg(MSG_INTERRUPT)
	s_mov_b32 m0, ttmp2
.LBB2_7490:                             ; =>This Inner Loop Header: Depth=1
	s_sethalt 5
	s_branch .LBB2_7490
.LBB2_7491:
	s_trap 2
	s_sendmsg_rtn_b32 s0, sendmsg(MSG_RTN_GET_DOORBELL)
	s_mov_b32 ttmp2, m0
	s_waitcnt lgkmcnt(0)
	s_and_b32 s0, s0, 0x3ff
	s_delay_alu instid0(SALU_CYCLE_1) | instskip(NEXT) | instid1(SALU_CYCLE_1)
	s_bitset1_b32 s0, 10
	s_mov_b32 m0, s0
	s_sendmsg sendmsg(MSG_INTERRUPT)
	s_mov_b32 m0, ttmp2
.LBB2_7492:                             ; =>This Inner Loop Header: Depth=1
	s_sethalt 5
	s_branch .LBB2_7492
.LBB2_7493:
	s_trap 2
	s_sendmsg_rtn_b32 s0, sendmsg(MSG_RTN_GET_DOORBELL)
	s_mov_b32 ttmp2, m0
	s_waitcnt lgkmcnt(0)
	s_and_b32 s0, s0, 0x3ff
	s_delay_alu instid0(SALU_CYCLE_1) | instskip(NEXT) | instid1(SALU_CYCLE_1)
	s_bitset1_b32 s0, 10
	s_mov_b32 m0, s0
	s_sendmsg sendmsg(MSG_INTERRUPT)
	s_mov_b32 m0, ttmp2
.LBB2_7494:                             ; =>This Inner Loop Header: Depth=1
	s_sethalt 5
	s_branch .LBB2_7494
.LBB2_7495:
	s_trap 2
	s_sendmsg_rtn_b32 s0, sendmsg(MSG_RTN_GET_DOORBELL)
	s_mov_b32 ttmp2, m0
	s_waitcnt lgkmcnt(0)
	s_and_b32 s0, s0, 0x3ff
	s_delay_alu instid0(SALU_CYCLE_1) | instskip(NEXT) | instid1(SALU_CYCLE_1)
	s_bitset1_b32 s0, 10
	s_mov_b32 m0, s0
	s_sendmsg sendmsg(MSG_INTERRUPT)
	s_mov_b32 m0, ttmp2
.LBB2_7496:                             ; =>This Inner Loop Header: Depth=1
	s_sethalt 5
	s_branch .LBB2_7496
.LBB2_7497:
	s_trap 2
	s_sendmsg_rtn_b32 s0, sendmsg(MSG_RTN_GET_DOORBELL)
	s_mov_b32 ttmp2, m0
	s_waitcnt lgkmcnt(0)
	s_and_b32 s0, s0, 0x3ff
	s_delay_alu instid0(SALU_CYCLE_1) | instskip(NEXT) | instid1(SALU_CYCLE_1)
	s_bitset1_b32 s0, 10
	s_mov_b32 m0, s0
	s_sendmsg sendmsg(MSG_INTERRUPT)
	s_mov_b32 m0, ttmp2
.LBB2_7498:                             ; =>This Inner Loop Header: Depth=1
	s_sethalt 5
	s_branch .LBB2_7498
.LBB2_7499:
	s_trap 2
	s_sendmsg_rtn_b32 s0, sendmsg(MSG_RTN_GET_DOORBELL)
	s_mov_b32 ttmp2, m0
	s_waitcnt lgkmcnt(0)
	s_and_b32 s0, s0, 0x3ff
	s_delay_alu instid0(SALU_CYCLE_1) | instskip(NEXT) | instid1(SALU_CYCLE_1)
	s_bitset1_b32 s0, 10
	s_mov_b32 m0, s0
	s_sendmsg sendmsg(MSG_INTERRUPT)
	s_mov_b32 m0, ttmp2
.LBB2_7500:                             ; =>This Inner Loop Header: Depth=1
	s_sethalt 5
	s_branch .LBB2_7500
.LBB2_7501:
	s_trap 2
	s_sendmsg_rtn_b32 s0, sendmsg(MSG_RTN_GET_DOORBELL)
	s_mov_b32 ttmp2, m0
	s_waitcnt lgkmcnt(0)
	s_and_b32 s0, s0, 0x3ff
	s_delay_alu instid0(SALU_CYCLE_1) | instskip(NEXT) | instid1(SALU_CYCLE_1)
	s_bitset1_b32 s0, 10
	s_mov_b32 m0, s0
	s_sendmsg sendmsg(MSG_INTERRUPT)
	s_mov_b32 m0, ttmp2
.LBB2_7502:                             ; =>This Inner Loop Header: Depth=1
	s_sethalt 5
	s_branch .LBB2_7502
.LBB2_7503:
	s_trap 2
	s_sendmsg_rtn_b32 s0, sendmsg(MSG_RTN_GET_DOORBELL)
	s_mov_b32 ttmp2, m0
	s_waitcnt lgkmcnt(0)
	s_and_b32 s0, s0, 0x3ff
	s_delay_alu instid0(SALU_CYCLE_1) | instskip(NEXT) | instid1(SALU_CYCLE_1)
	s_bitset1_b32 s0, 10
	s_mov_b32 m0, s0
	s_sendmsg sendmsg(MSG_INTERRUPT)
	s_mov_b32 m0, ttmp2
.LBB2_7504:                             ; =>This Inner Loop Header: Depth=1
	s_sethalt 5
	s_branch .LBB2_7504
.LBB2_7505:
	s_trap 2
	s_sendmsg_rtn_b32 s0, sendmsg(MSG_RTN_GET_DOORBELL)
	s_mov_b32 ttmp2, m0
	s_waitcnt lgkmcnt(0)
	s_and_b32 s0, s0, 0x3ff
	s_delay_alu instid0(SALU_CYCLE_1) | instskip(NEXT) | instid1(SALU_CYCLE_1)
	s_bitset1_b32 s0, 10
	s_mov_b32 m0, s0
	s_sendmsg sendmsg(MSG_INTERRUPT)
	s_mov_b32 m0, ttmp2
.LBB2_7506:                             ; =>This Inner Loop Header: Depth=1
	s_sethalt 5
	s_branch .LBB2_7506
.LBB2_7507:
	s_trap 2
	s_sendmsg_rtn_b32 s0, sendmsg(MSG_RTN_GET_DOORBELL)
	s_mov_b32 ttmp2, m0
	s_waitcnt lgkmcnt(0)
	s_and_b32 s0, s0, 0x3ff
	s_delay_alu instid0(SALU_CYCLE_1) | instskip(NEXT) | instid1(SALU_CYCLE_1)
	s_bitset1_b32 s0, 10
	s_mov_b32 m0, s0
	s_sendmsg sendmsg(MSG_INTERRUPT)
	s_mov_b32 m0, ttmp2
.LBB2_7508:                             ; =>This Inner Loop Header: Depth=1
	s_sethalt 5
	s_branch .LBB2_7508
.LBB2_7509:
	s_trap 2
	s_sendmsg_rtn_b32 s0, sendmsg(MSG_RTN_GET_DOORBELL)
	s_mov_b32 ttmp2, m0
	s_waitcnt lgkmcnt(0)
	s_and_b32 s0, s0, 0x3ff
	s_delay_alu instid0(SALU_CYCLE_1) | instskip(NEXT) | instid1(SALU_CYCLE_1)
	s_bitset1_b32 s0, 10
	s_mov_b32 m0, s0
	s_sendmsg sendmsg(MSG_INTERRUPT)
	s_mov_b32 m0, ttmp2
.LBB2_7510:                             ; =>This Inner Loop Header: Depth=1
	s_sethalt 5
	s_branch .LBB2_7510
.LBB2_7511:
	s_trap 2
	s_sendmsg_rtn_b32 s0, sendmsg(MSG_RTN_GET_DOORBELL)
	s_mov_b32 ttmp2, m0
	s_waitcnt lgkmcnt(0)
	s_and_b32 s0, s0, 0x3ff
	s_delay_alu instid0(SALU_CYCLE_1) | instskip(NEXT) | instid1(SALU_CYCLE_1)
	s_bitset1_b32 s0, 10
	s_mov_b32 m0, s0
	s_sendmsg sendmsg(MSG_INTERRUPT)
	s_mov_b32 m0, ttmp2
.LBB2_7512:                             ; =>This Inner Loop Header: Depth=1
	s_sethalt 5
	s_branch .LBB2_7512
.LBB2_7513:
	s_trap 2
	s_sendmsg_rtn_b32 s0, sendmsg(MSG_RTN_GET_DOORBELL)
	s_mov_b32 ttmp2, m0
	s_waitcnt lgkmcnt(0)
	s_and_b32 s0, s0, 0x3ff
	s_delay_alu instid0(SALU_CYCLE_1) | instskip(NEXT) | instid1(SALU_CYCLE_1)
	s_bitset1_b32 s0, 10
	s_mov_b32 m0, s0
	s_sendmsg sendmsg(MSG_INTERRUPT)
	s_mov_b32 m0, ttmp2
.LBB2_7514:                             ; =>This Inner Loop Header: Depth=1
	s_sethalt 5
	s_branch .LBB2_7514
.LBB2_7515:
	s_trap 2
	s_sendmsg_rtn_b32 s0, sendmsg(MSG_RTN_GET_DOORBELL)
	s_mov_b32 ttmp2, m0
	s_waitcnt lgkmcnt(0)
	s_and_b32 s0, s0, 0x3ff
	s_delay_alu instid0(SALU_CYCLE_1) | instskip(NEXT) | instid1(SALU_CYCLE_1)
	s_bitset1_b32 s0, 10
	s_mov_b32 m0, s0
	s_sendmsg sendmsg(MSG_INTERRUPT)
	s_mov_b32 m0, ttmp2
.LBB2_7516:                             ; =>This Inner Loop Header: Depth=1
	s_sethalt 5
	s_branch .LBB2_7516
.LBB2_7517:
	s_trap 2
	s_sendmsg_rtn_b32 s0, sendmsg(MSG_RTN_GET_DOORBELL)
	s_mov_b32 ttmp2, m0
	s_waitcnt lgkmcnt(0)
	s_and_b32 s0, s0, 0x3ff
	s_delay_alu instid0(SALU_CYCLE_1) | instskip(NEXT) | instid1(SALU_CYCLE_1)
	s_bitset1_b32 s0, 10
	s_mov_b32 m0, s0
	s_sendmsg sendmsg(MSG_INTERRUPT)
	s_mov_b32 m0, ttmp2
.LBB2_7518:                             ; =>This Inner Loop Header: Depth=1
	s_sethalt 5
	s_branch .LBB2_7518
.LBB2_7519:
	s_trap 2
	s_sendmsg_rtn_b32 s0, sendmsg(MSG_RTN_GET_DOORBELL)
	s_mov_b32 ttmp2, m0
	s_waitcnt lgkmcnt(0)
	s_and_b32 s0, s0, 0x3ff
	s_delay_alu instid0(SALU_CYCLE_1) | instskip(NEXT) | instid1(SALU_CYCLE_1)
	s_bitset1_b32 s0, 10
	s_mov_b32 m0, s0
	s_sendmsg sendmsg(MSG_INTERRUPT)
	s_mov_b32 m0, ttmp2
.LBB2_7520:                             ; =>This Inner Loop Header: Depth=1
	s_sethalt 5
	s_branch .LBB2_7520
.LBB2_7521:
	s_trap 2
	s_sendmsg_rtn_b32 s0, sendmsg(MSG_RTN_GET_DOORBELL)
	s_mov_b32 ttmp2, m0
	s_waitcnt lgkmcnt(0)
	s_and_b32 s0, s0, 0x3ff
	s_delay_alu instid0(SALU_CYCLE_1) | instskip(NEXT) | instid1(SALU_CYCLE_1)
	s_bitset1_b32 s0, 10
	s_mov_b32 m0, s0
	s_sendmsg sendmsg(MSG_INTERRUPT)
	s_mov_b32 m0, ttmp2
.LBB2_7522:                             ; =>This Inner Loop Header: Depth=1
	s_sethalt 5
	s_branch .LBB2_7522
.LBB2_7523:
	s_trap 2
	s_sendmsg_rtn_b32 s0, sendmsg(MSG_RTN_GET_DOORBELL)
	s_mov_b32 ttmp2, m0
	s_waitcnt lgkmcnt(0)
	s_and_b32 s0, s0, 0x3ff
	s_delay_alu instid0(SALU_CYCLE_1) | instskip(NEXT) | instid1(SALU_CYCLE_1)
	s_bitset1_b32 s0, 10
	s_mov_b32 m0, s0
	s_sendmsg sendmsg(MSG_INTERRUPT)
	s_mov_b32 m0, ttmp2
.LBB2_7524:                             ; =>This Inner Loop Header: Depth=1
	s_sethalt 5
	s_branch .LBB2_7524
.LBB2_7525:
	s_trap 2
	s_sendmsg_rtn_b32 s0, sendmsg(MSG_RTN_GET_DOORBELL)
	s_mov_b32 ttmp2, m0
	s_waitcnt lgkmcnt(0)
	s_and_b32 s0, s0, 0x3ff
	s_delay_alu instid0(SALU_CYCLE_1) | instskip(NEXT) | instid1(SALU_CYCLE_1)
	s_bitset1_b32 s0, 10
	s_mov_b32 m0, s0
	s_sendmsg sendmsg(MSG_INTERRUPT)
	s_mov_b32 m0, ttmp2
.LBB2_7526:                             ; =>This Inner Loop Header: Depth=1
	s_sethalt 5
	s_branch .LBB2_7526
.LBB2_7527:
	s_trap 2
	s_sendmsg_rtn_b32 s0, sendmsg(MSG_RTN_GET_DOORBELL)
	s_mov_b32 ttmp2, m0
	s_waitcnt lgkmcnt(0)
	s_and_b32 s0, s0, 0x3ff
	s_delay_alu instid0(SALU_CYCLE_1) | instskip(NEXT) | instid1(SALU_CYCLE_1)
	s_bitset1_b32 s0, 10
	s_mov_b32 m0, s0
	s_sendmsg sendmsg(MSG_INTERRUPT)
	s_mov_b32 m0, ttmp2
.LBB2_7528:                             ; =>This Inner Loop Header: Depth=1
	s_sethalt 5
	s_branch .LBB2_7528
.LBB2_7529:
	s_trap 2
	s_sendmsg_rtn_b32 s0, sendmsg(MSG_RTN_GET_DOORBELL)
	s_mov_b32 ttmp2, m0
	s_waitcnt lgkmcnt(0)
	s_and_b32 s0, s0, 0x3ff
	s_delay_alu instid0(SALU_CYCLE_1) | instskip(NEXT) | instid1(SALU_CYCLE_1)
	s_bitset1_b32 s0, 10
	s_mov_b32 m0, s0
	s_sendmsg sendmsg(MSG_INTERRUPT)
	s_mov_b32 m0, ttmp2
.LBB2_7530:                             ; =>This Inner Loop Header: Depth=1
	s_sethalt 5
	s_branch .LBB2_7530
.LBB2_7531:
	s_trap 2
	s_sendmsg_rtn_b32 s0, sendmsg(MSG_RTN_GET_DOORBELL)
	s_mov_b32 ttmp2, m0
	s_waitcnt lgkmcnt(0)
	s_and_b32 s0, s0, 0x3ff
	s_delay_alu instid0(SALU_CYCLE_1) | instskip(NEXT) | instid1(SALU_CYCLE_1)
	s_bitset1_b32 s0, 10
	s_mov_b32 m0, s0
	s_sendmsg sendmsg(MSG_INTERRUPT)
	s_mov_b32 m0, ttmp2
.LBB2_7532:                             ; =>This Inner Loop Header: Depth=1
	s_sethalt 5
	s_branch .LBB2_7532
.LBB2_7533:
	s_trap 2
	s_sendmsg_rtn_b32 s0, sendmsg(MSG_RTN_GET_DOORBELL)
	s_mov_b32 ttmp2, m0
	s_waitcnt lgkmcnt(0)
	s_and_b32 s0, s0, 0x3ff
	s_delay_alu instid0(SALU_CYCLE_1) | instskip(NEXT) | instid1(SALU_CYCLE_1)
	s_bitset1_b32 s0, 10
	s_mov_b32 m0, s0
	s_sendmsg sendmsg(MSG_INTERRUPT)
	s_mov_b32 m0, ttmp2
.LBB2_7534:                             ; =>This Inner Loop Header: Depth=1
	s_sethalt 5
	s_branch .LBB2_7534
.LBB2_7535:
	s_trap 2
	s_sendmsg_rtn_b32 s0, sendmsg(MSG_RTN_GET_DOORBELL)
	s_mov_b32 ttmp2, m0
	s_waitcnt lgkmcnt(0)
	s_and_b32 s0, s0, 0x3ff
	s_delay_alu instid0(SALU_CYCLE_1) | instskip(NEXT) | instid1(SALU_CYCLE_1)
	s_bitset1_b32 s0, 10
	s_mov_b32 m0, s0
	s_sendmsg sendmsg(MSG_INTERRUPT)
	s_mov_b32 m0, ttmp2
.LBB2_7536:                             ; =>This Inner Loop Header: Depth=1
	s_sethalt 5
	s_branch .LBB2_7536
.LBB2_7537:
	s_trap 2
	s_sendmsg_rtn_b32 s0, sendmsg(MSG_RTN_GET_DOORBELL)
	s_mov_b32 ttmp2, m0
	s_waitcnt lgkmcnt(0)
	s_and_b32 s0, s0, 0x3ff
	s_delay_alu instid0(SALU_CYCLE_1) | instskip(NEXT) | instid1(SALU_CYCLE_1)
	s_bitset1_b32 s0, 10
	s_mov_b32 m0, s0
	s_sendmsg sendmsg(MSG_INTERRUPT)
	s_mov_b32 m0, ttmp2
.LBB2_7538:                             ; =>This Inner Loop Header: Depth=1
	s_sethalt 5
	s_branch .LBB2_7538
.LBB2_7539:
	s_trap 2
	s_sendmsg_rtn_b32 s0, sendmsg(MSG_RTN_GET_DOORBELL)
	s_mov_b32 ttmp2, m0
	s_waitcnt lgkmcnt(0)
	s_and_b32 s0, s0, 0x3ff
	s_delay_alu instid0(SALU_CYCLE_1) | instskip(NEXT) | instid1(SALU_CYCLE_1)
	s_bitset1_b32 s0, 10
	s_mov_b32 m0, s0
	s_sendmsg sendmsg(MSG_INTERRUPT)
	s_mov_b32 m0, ttmp2
.LBB2_7540:                             ; =>This Inner Loop Header: Depth=1
	s_sethalt 5
	s_branch .LBB2_7540
.LBB2_7541:
	s_trap 2
	s_sendmsg_rtn_b32 s0, sendmsg(MSG_RTN_GET_DOORBELL)
	s_mov_b32 ttmp2, m0
	s_waitcnt lgkmcnt(0)
	s_and_b32 s0, s0, 0x3ff
	s_delay_alu instid0(SALU_CYCLE_1) | instskip(NEXT) | instid1(SALU_CYCLE_1)
	s_bitset1_b32 s0, 10
	s_mov_b32 m0, s0
	s_sendmsg sendmsg(MSG_INTERRUPT)
	s_mov_b32 m0, ttmp2
.LBB2_7542:                             ; =>This Inner Loop Header: Depth=1
	s_sethalt 5
	s_branch .LBB2_7542
.LBB2_7543:
	s_trap 2
	s_sendmsg_rtn_b32 s0, sendmsg(MSG_RTN_GET_DOORBELL)
	s_mov_b32 ttmp2, m0
	s_waitcnt lgkmcnt(0)
	s_and_b32 s0, s0, 0x3ff
	s_delay_alu instid0(SALU_CYCLE_1) | instskip(NEXT) | instid1(SALU_CYCLE_1)
	s_bitset1_b32 s0, 10
	s_mov_b32 m0, s0
	s_sendmsg sendmsg(MSG_INTERRUPT)
	s_mov_b32 m0, ttmp2
.LBB2_7544:                             ; =>This Inner Loop Header: Depth=1
	s_sethalt 5
	s_branch .LBB2_7544
.LBB2_7545:
	s_trap 2
	s_sendmsg_rtn_b32 s0, sendmsg(MSG_RTN_GET_DOORBELL)
	s_mov_b32 ttmp2, m0
	s_waitcnt lgkmcnt(0)
	s_and_b32 s0, s0, 0x3ff
	s_delay_alu instid0(SALU_CYCLE_1) | instskip(NEXT) | instid1(SALU_CYCLE_1)
	s_bitset1_b32 s0, 10
	s_mov_b32 m0, s0
	s_sendmsg sendmsg(MSG_INTERRUPT)
	s_mov_b32 m0, ttmp2
.LBB2_7546:                             ; =>This Inner Loop Header: Depth=1
	s_sethalt 5
	s_branch .LBB2_7546
.LBB2_7547:
	s_trap 2
	s_sendmsg_rtn_b32 s0, sendmsg(MSG_RTN_GET_DOORBELL)
	s_mov_b32 ttmp2, m0
	s_waitcnt lgkmcnt(0)
	s_and_b32 s0, s0, 0x3ff
	s_delay_alu instid0(SALU_CYCLE_1) | instskip(NEXT) | instid1(SALU_CYCLE_1)
	s_bitset1_b32 s0, 10
	s_mov_b32 m0, s0
	s_sendmsg sendmsg(MSG_INTERRUPT)
	s_mov_b32 m0, ttmp2
.LBB2_7548:                             ; =>This Inner Loop Header: Depth=1
	s_sethalt 5
	s_branch .LBB2_7548
.LBB2_7549:
	s_trap 2
	s_sendmsg_rtn_b32 s0, sendmsg(MSG_RTN_GET_DOORBELL)
	s_mov_b32 ttmp2, m0
	s_waitcnt lgkmcnt(0)
	s_and_b32 s0, s0, 0x3ff
	s_delay_alu instid0(SALU_CYCLE_1) | instskip(NEXT) | instid1(SALU_CYCLE_1)
	s_bitset1_b32 s0, 10
	s_mov_b32 m0, s0
	s_sendmsg sendmsg(MSG_INTERRUPT)
	s_mov_b32 m0, ttmp2
.LBB2_7550:                             ; =>This Inner Loop Header: Depth=1
	s_sethalt 5
	s_branch .LBB2_7550
.LBB2_7551:
	s_trap 2
	s_sendmsg_rtn_b32 s0, sendmsg(MSG_RTN_GET_DOORBELL)
	s_mov_b32 ttmp2, m0
	s_waitcnt lgkmcnt(0)
	s_and_b32 s0, s0, 0x3ff
	s_delay_alu instid0(SALU_CYCLE_1) | instskip(NEXT) | instid1(SALU_CYCLE_1)
	s_bitset1_b32 s0, 10
	s_mov_b32 m0, s0
	s_sendmsg sendmsg(MSG_INTERRUPT)
	s_mov_b32 m0, ttmp2
.LBB2_7552:                             ; =>This Inner Loop Header: Depth=1
	s_sethalt 5
	s_branch .LBB2_7552
.LBB2_7553:
	s_trap 2
	s_sendmsg_rtn_b32 s0, sendmsg(MSG_RTN_GET_DOORBELL)
	s_mov_b32 ttmp2, m0
	s_waitcnt lgkmcnt(0)
	s_and_b32 s0, s0, 0x3ff
	s_delay_alu instid0(SALU_CYCLE_1) | instskip(NEXT) | instid1(SALU_CYCLE_1)
	s_bitset1_b32 s0, 10
	s_mov_b32 m0, s0
	s_sendmsg sendmsg(MSG_INTERRUPT)
	s_mov_b32 m0, ttmp2
.LBB2_7554:                             ; =>This Inner Loop Header: Depth=1
	s_sethalt 5
	s_branch .LBB2_7554
.LBB2_7555:
	s_trap 2
	s_sendmsg_rtn_b32 s0, sendmsg(MSG_RTN_GET_DOORBELL)
	s_mov_b32 ttmp2, m0
	s_waitcnt lgkmcnt(0)
	s_and_b32 s0, s0, 0x3ff
	s_delay_alu instid0(SALU_CYCLE_1) | instskip(NEXT) | instid1(SALU_CYCLE_1)
	s_bitset1_b32 s0, 10
	s_mov_b32 m0, s0
	s_sendmsg sendmsg(MSG_INTERRUPT)
	s_mov_b32 m0, ttmp2
.LBB2_7556:                             ; =>This Inner Loop Header: Depth=1
	s_sethalt 5
	s_branch .LBB2_7556
.LBB2_7557:
	s_trap 2
	s_sendmsg_rtn_b32 s0, sendmsg(MSG_RTN_GET_DOORBELL)
	s_mov_b32 ttmp2, m0
	s_waitcnt lgkmcnt(0)
	s_and_b32 s0, s0, 0x3ff
	s_delay_alu instid0(SALU_CYCLE_1) | instskip(NEXT) | instid1(SALU_CYCLE_1)
	s_bitset1_b32 s0, 10
	s_mov_b32 m0, s0
	s_sendmsg sendmsg(MSG_INTERRUPT)
	s_mov_b32 m0, ttmp2
.LBB2_7558:                             ; =>This Inner Loop Header: Depth=1
	s_sethalt 5
	s_branch .LBB2_7558
.LBB2_7559:
	s_trap 2
	s_sendmsg_rtn_b32 s0, sendmsg(MSG_RTN_GET_DOORBELL)
	s_mov_b32 ttmp2, m0
	s_waitcnt lgkmcnt(0)
	s_and_b32 s0, s0, 0x3ff
	s_delay_alu instid0(SALU_CYCLE_1) | instskip(NEXT) | instid1(SALU_CYCLE_1)
	s_bitset1_b32 s0, 10
	s_mov_b32 m0, s0
	s_sendmsg sendmsg(MSG_INTERRUPT)
	s_mov_b32 m0, ttmp2
.LBB2_7560:                             ; =>This Inner Loop Header: Depth=1
	s_sethalt 5
	s_branch .LBB2_7560
.LBB2_7561:
	s_trap 2
	s_sendmsg_rtn_b32 s0, sendmsg(MSG_RTN_GET_DOORBELL)
	s_mov_b32 ttmp2, m0
	s_waitcnt lgkmcnt(0)
	s_and_b32 s0, s0, 0x3ff
	s_delay_alu instid0(SALU_CYCLE_1) | instskip(NEXT) | instid1(SALU_CYCLE_1)
	s_bitset1_b32 s0, 10
	s_mov_b32 m0, s0
	s_sendmsg sendmsg(MSG_INTERRUPT)
	s_mov_b32 m0, ttmp2
.LBB2_7562:                             ; =>This Inner Loop Header: Depth=1
	s_sethalt 5
	s_branch .LBB2_7562
.LBB2_7563:
	s_trap 2
	s_sendmsg_rtn_b32 s0, sendmsg(MSG_RTN_GET_DOORBELL)
	s_mov_b32 ttmp2, m0
	s_waitcnt lgkmcnt(0)
	s_and_b32 s0, s0, 0x3ff
	s_delay_alu instid0(SALU_CYCLE_1) | instskip(NEXT) | instid1(SALU_CYCLE_1)
	s_bitset1_b32 s0, 10
	s_mov_b32 m0, s0
	s_sendmsg sendmsg(MSG_INTERRUPT)
	s_mov_b32 m0, ttmp2
.LBB2_7564:                             ; =>This Inner Loop Header: Depth=1
	s_sethalt 5
	s_branch .LBB2_7564
.LBB2_7565:
	s_trap 2
	s_sendmsg_rtn_b32 s0, sendmsg(MSG_RTN_GET_DOORBELL)
	s_mov_b32 ttmp2, m0
	s_waitcnt lgkmcnt(0)
	s_and_b32 s0, s0, 0x3ff
	s_delay_alu instid0(SALU_CYCLE_1) | instskip(NEXT) | instid1(SALU_CYCLE_1)
	s_bitset1_b32 s0, 10
	s_mov_b32 m0, s0
	s_sendmsg sendmsg(MSG_INTERRUPT)
	s_mov_b32 m0, ttmp2
.LBB2_7566:                             ; =>This Inner Loop Header: Depth=1
	s_sethalt 5
	s_branch .LBB2_7566
.LBB2_7567:
	s_trap 2
	s_sendmsg_rtn_b32 s0, sendmsg(MSG_RTN_GET_DOORBELL)
	s_mov_b32 ttmp2, m0
	s_waitcnt lgkmcnt(0)
	s_and_b32 s0, s0, 0x3ff
	s_delay_alu instid0(SALU_CYCLE_1) | instskip(NEXT) | instid1(SALU_CYCLE_1)
	s_bitset1_b32 s0, 10
	s_mov_b32 m0, s0
	s_sendmsg sendmsg(MSG_INTERRUPT)
	s_mov_b32 m0, ttmp2
.LBB2_7568:                             ; =>This Inner Loop Header: Depth=1
	s_sethalt 5
	s_branch .LBB2_7568
.LBB2_7569:
	s_trap 2
	s_sendmsg_rtn_b32 s0, sendmsg(MSG_RTN_GET_DOORBELL)
	s_mov_b32 ttmp2, m0
	s_waitcnt lgkmcnt(0)
	s_and_b32 s0, s0, 0x3ff
	s_delay_alu instid0(SALU_CYCLE_1) | instskip(NEXT) | instid1(SALU_CYCLE_1)
	s_bitset1_b32 s0, 10
	s_mov_b32 m0, s0
	s_sendmsg sendmsg(MSG_INTERRUPT)
	s_mov_b32 m0, ttmp2
.LBB2_7570:                             ; =>This Inner Loop Header: Depth=1
	s_sethalt 5
	s_branch .LBB2_7570
.LBB2_7571:
	s_trap 2
	s_sendmsg_rtn_b32 s0, sendmsg(MSG_RTN_GET_DOORBELL)
	s_mov_b32 ttmp2, m0
	s_waitcnt lgkmcnt(0)
	s_and_b32 s0, s0, 0x3ff
	s_delay_alu instid0(SALU_CYCLE_1) | instskip(NEXT) | instid1(SALU_CYCLE_1)
	s_bitset1_b32 s0, 10
	s_mov_b32 m0, s0
	s_sendmsg sendmsg(MSG_INTERRUPT)
	s_mov_b32 m0, ttmp2
.LBB2_7572:                             ; =>This Inner Loop Header: Depth=1
	s_sethalt 5
	s_branch .LBB2_7572
.LBB2_7573:
	s_trap 2
	s_sendmsg_rtn_b32 s0, sendmsg(MSG_RTN_GET_DOORBELL)
	s_mov_b32 ttmp2, m0
	s_waitcnt lgkmcnt(0)
	s_and_b32 s0, s0, 0x3ff
	s_delay_alu instid0(SALU_CYCLE_1) | instskip(NEXT) | instid1(SALU_CYCLE_1)
	s_bitset1_b32 s0, 10
	s_mov_b32 m0, s0
	s_sendmsg sendmsg(MSG_INTERRUPT)
	s_mov_b32 m0, ttmp2
.LBB2_7574:                             ; =>This Inner Loop Header: Depth=1
	s_sethalt 5
	s_branch .LBB2_7574
.LBB2_7575:
	s_trap 2
	s_sendmsg_rtn_b32 s0, sendmsg(MSG_RTN_GET_DOORBELL)
	s_mov_b32 ttmp2, m0
	s_waitcnt lgkmcnt(0)
	s_and_b32 s0, s0, 0x3ff
	s_delay_alu instid0(SALU_CYCLE_1) | instskip(NEXT) | instid1(SALU_CYCLE_1)
	s_bitset1_b32 s0, 10
	s_mov_b32 m0, s0
	s_sendmsg sendmsg(MSG_INTERRUPT)
	s_mov_b32 m0, ttmp2
.LBB2_7576:                             ; =>This Inner Loop Header: Depth=1
	s_sethalt 5
	s_branch .LBB2_7576
.LBB2_7577:
	s_trap 2
	s_sendmsg_rtn_b32 s0, sendmsg(MSG_RTN_GET_DOORBELL)
	s_mov_b32 ttmp2, m0
	s_waitcnt lgkmcnt(0)
	s_and_b32 s0, s0, 0x3ff
	s_delay_alu instid0(SALU_CYCLE_1) | instskip(NEXT) | instid1(SALU_CYCLE_1)
	s_bitset1_b32 s0, 10
	s_mov_b32 m0, s0
	s_sendmsg sendmsg(MSG_INTERRUPT)
	s_mov_b32 m0, ttmp2
.LBB2_7578:                             ; =>This Inner Loop Header: Depth=1
	s_sethalt 5
	s_branch .LBB2_7578
.LBB2_7579:
	s_trap 2
	s_sendmsg_rtn_b32 s0, sendmsg(MSG_RTN_GET_DOORBELL)
	s_mov_b32 ttmp2, m0
	s_waitcnt lgkmcnt(0)
	s_and_b32 s0, s0, 0x3ff
	s_delay_alu instid0(SALU_CYCLE_1) | instskip(NEXT) | instid1(SALU_CYCLE_1)
	s_bitset1_b32 s0, 10
	s_mov_b32 m0, s0
	s_sendmsg sendmsg(MSG_INTERRUPT)
	s_mov_b32 m0, ttmp2
.LBB2_7580:                             ; =>This Inner Loop Header: Depth=1
	s_sethalt 5
	s_branch .LBB2_7580
.LBB2_7581:
	s_trap 2
	s_sendmsg_rtn_b32 s0, sendmsg(MSG_RTN_GET_DOORBELL)
	s_mov_b32 ttmp2, m0
	s_waitcnt lgkmcnt(0)
	s_and_b32 s0, s0, 0x3ff
	s_delay_alu instid0(SALU_CYCLE_1) | instskip(NEXT) | instid1(SALU_CYCLE_1)
	s_bitset1_b32 s0, 10
	s_mov_b32 m0, s0
	s_sendmsg sendmsg(MSG_INTERRUPT)
	s_mov_b32 m0, ttmp2
.LBB2_7582:                             ; =>This Inner Loop Header: Depth=1
	s_sethalt 5
	s_branch .LBB2_7582
.LBB2_7583:
	s_trap 2
	s_sendmsg_rtn_b32 s0, sendmsg(MSG_RTN_GET_DOORBELL)
	s_mov_b32 ttmp2, m0
	s_waitcnt lgkmcnt(0)
	s_and_b32 s0, s0, 0x3ff
	s_delay_alu instid0(SALU_CYCLE_1) | instskip(NEXT) | instid1(SALU_CYCLE_1)
	s_bitset1_b32 s0, 10
	s_mov_b32 m0, s0
	s_sendmsg sendmsg(MSG_INTERRUPT)
	s_mov_b32 m0, ttmp2
.LBB2_7584:                             ; =>This Inner Loop Header: Depth=1
	s_sethalt 5
	s_branch .LBB2_7584
.LBB2_7585:
	s_trap 2
	s_sendmsg_rtn_b32 s0, sendmsg(MSG_RTN_GET_DOORBELL)
	s_mov_b32 ttmp2, m0
	s_waitcnt lgkmcnt(0)
	s_and_b32 s0, s0, 0x3ff
	s_delay_alu instid0(SALU_CYCLE_1) | instskip(NEXT) | instid1(SALU_CYCLE_1)
	s_bitset1_b32 s0, 10
	s_mov_b32 m0, s0
	s_sendmsg sendmsg(MSG_INTERRUPT)
	s_mov_b32 m0, ttmp2
.LBB2_7586:                             ; =>This Inner Loop Header: Depth=1
	s_sethalt 5
	s_branch .LBB2_7586
.LBB2_7587:
	s_trap 2
	s_sendmsg_rtn_b32 s0, sendmsg(MSG_RTN_GET_DOORBELL)
	s_mov_b32 ttmp2, m0
	s_waitcnt lgkmcnt(0)
	s_and_b32 s0, s0, 0x3ff
	s_delay_alu instid0(SALU_CYCLE_1) | instskip(NEXT) | instid1(SALU_CYCLE_1)
	s_bitset1_b32 s0, 10
	s_mov_b32 m0, s0
	s_sendmsg sendmsg(MSG_INTERRUPT)
	s_mov_b32 m0, ttmp2
.LBB2_7588:                             ; =>This Inner Loop Header: Depth=1
	s_sethalt 5
	s_branch .LBB2_7588
.LBB2_7589:
	s_trap 2
	s_sendmsg_rtn_b32 s0, sendmsg(MSG_RTN_GET_DOORBELL)
	s_mov_b32 ttmp2, m0
	s_waitcnt lgkmcnt(0)
	s_and_b32 s0, s0, 0x3ff
	s_delay_alu instid0(SALU_CYCLE_1) | instskip(NEXT) | instid1(SALU_CYCLE_1)
	s_bitset1_b32 s0, 10
	s_mov_b32 m0, s0
	s_sendmsg sendmsg(MSG_INTERRUPT)
	s_mov_b32 m0, ttmp2
.LBB2_7590:                             ; =>This Inner Loop Header: Depth=1
	s_sethalt 5
	s_branch .LBB2_7590
.LBB2_7591:
	s_trap 2
	s_sendmsg_rtn_b32 s0, sendmsg(MSG_RTN_GET_DOORBELL)
	s_mov_b32 ttmp2, m0
	s_waitcnt lgkmcnt(0)
	s_and_b32 s0, s0, 0x3ff
	s_delay_alu instid0(SALU_CYCLE_1) | instskip(NEXT) | instid1(SALU_CYCLE_1)
	s_bitset1_b32 s0, 10
	s_mov_b32 m0, s0
	s_sendmsg sendmsg(MSG_INTERRUPT)
	s_mov_b32 m0, ttmp2
.LBB2_7592:                             ; =>This Inner Loop Header: Depth=1
	s_sethalt 5
	s_branch .LBB2_7592
.LBB2_7593:
	s_trap 2
	s_sendmsg_rtn_b32 s0, sendmsg(MSG_RTN_GET_DOORBELL)
	s_mov_b32 ttmp2, m0
	s_waitcnt lgkmcnt(0)
	s_and_b32 s0, s0, 0x3ff
	s_delay_alu instid0(SALU_CYCLE_1) | instskip(NEXT) | instid1(SALU_CYCLE_1)
	s_bitset1_b32 s0, 10
	s_mov_b32 m0, s0
	s_sendmsg sendmsg(MSG_INTERRUPT)
	s_mov_b32 m0, ttmp2
.LBB2_7594:                             ; =>This Inner Loop Header: Depth=1
	s_sethalt 5
	s_branch .LBB2_7594
.LBB2_7595:
	s_trap 2
	s_sendmsg_rtn_b32 s0, sendmsg(MSG_RTN_GET_DOORBELL)
	s_mov_b32 ttmp2, m0
	s_waitcnt lgkmcnt(0)
	s_and_b32 s0, s0, 0x3ff
	s_delay_alu instid0(SALU_CYCLE_1) | instskip(NEXT) | instid1(SALU_CYCLE_1)
	s_bitset1_b32 s0, 10
	s_mov_b32 m0, s0
	s_sendmsg sendmsg(MSG_INTERRUPT)
	s_mov_b32 m0, ttmp2
.LBB2_7596:                             ; =>This Inner Loop Header: Depth=1
	s_sethalt 5
	s_branch .LBB2_7596
.LBB2_7597:
	s_trap 2
	s_sendmsg_rtn_b32 s0, sendmsg(MSG_RTN_GET_DOORBELL)
	s_mov_b32 ttmp2, m0
	s_waitcnt lgkmcnt(0)
	s_and_b32 s0, s0, 0x3ff
	s_delay_alu instid0(SALU_CYCLE_1) | instskip(NEXT) | instid1(SALU_CYCLE_1)
	s_bitset1_b32 s0, 10
	s_mov_b32 m0, s0
	s_sendmsg sendmsg(MSG_INTERRUPT)
	s_mov_b32 m0, ttmp2
.LBB2_7598:                             ; =>This Inner Loop Header: Depth=1
	s_sethalt 5
	s_branch .LBB2_7598
.LBB2_7599:
	s_trap 2
	s_sendmsg_rtn_b32 s0, sendmsg(MSG_RTN_GET_DOORBELL)
	s_mov_b32 ttmp2, m0
	s_waitcnt lgkmcnt(0)
	s_and_b32 s0, s0, 0x3ff
	s_delay_alu instid0(SALU_CYCLE_1) | instskip(NEXT) | instid1(SALU_CYCLE_1)
	s_bitset1_b32 s0, 10
	s_mov_b32 m0, s0
	s_sendmsg sendmsg(MSG_INTERRUPT)
	s_mov_b32 m0, ttmp2
.LBB2_7600:                             ; =>This Inner Loop Header: Depth=1
	s_sethalt 5
	s_branch .LBB2_7600
.LBB2_7601:
	s_trap 2
	s_sendmsg_rtn_b32 s0, sendmsg(MSG_RTN_GET_DOORBELL)
	s_mov_b32 ttmp2, m0
	s_waitcnt lgkmcnt(0)
	s_and_b32 s0, s0, 0x3ff
	s_delay_alu instid0(SALU_CYCLE_1) | instskip(NEXT) | instid1(SALU_CYCLE_1)
	s_bitset1_b32 s0, 10
	s_mov_b32 m0, s0
	s_sendmsg sendmsg(MSG_INTERRUPT)
	s_mov_b32 m0, ttmp2
.LBB2_7602:                             ; =>This Inner Loop Header: Depth=1
	s_sethalt 5
	s_branch .LBB2_7602
.LBB2_7603:
	s_trap 2
	s_sendmsg_rtn_b32 s0, sendmsg(MSG_RTN_GET_DOORBELL)
	s_mov_b32 ttmp2, m0
	s_waitcnt lgkmcnt(0)
	s_and_b32 s0, s0, 0x3ff
	s_delay_alu instid0(SALU_CYCLE_1) | instskip(NEXT) | instid1(SALU_CYCLE_1)
	s_bitset1_b32 s0, 10
	s_mov_b32 m0, s0
	s_sendmsg sendmsg(MSG_INTERRUPT)
	s_mov_b32 m0, ttmp2
.LBB2_7604:                             ; =>This Inner Loop Header: Depth=1
	s_sethalt 5
	s_branch .LBB2_7604
.LBB2_7605:
	s_trap 2
	s_sendmsg_rtn_b32 s0, sendmsg(MSG_RTN_GET_DOORBELL)
	s_mov_b32 ttmp2, m0
	s_waitcnt lgkmcnt(0)
	s_and_b32 s0, s0, 0x3ff
	s_delay_alu instid0(SALU_CYCLE_1) | instskip(NEXT) | instid1(SALU_CYCLE_1)
	s_bitset1_b32 s0, 10
	s_mov_b32 m0, s0
	s_sendmsg sendmsg(MSG_INTERRUPT)
	s_mov_b32 m0, ttmp2
.LBB2_7606:                             ; =>This Inner Loop Header: Depth=1
	s_sethalt 5
	s_branch .LBB2_7606
.LBB2_7607:
	s_trap 2
	s_sendmsg_rtn_b32 s0, sendmsg(MSG_RTN_GET_DOORBELL)
	s_mov_b32 ttmp2, m0
	s_waitcnt lgkmcnt(0)
	s_and_b32 s0, s0, 0x3ff
	s_delay_alu instid0(SALU_CYCLE_1) | instskip(NEXT) | instid1(SALU_CYCLE_1)
	s_bitset1_b32 s0, 10
	s_mov_b32 m0, s0
	s_sendmsg sendmsg(MSG_INTERRUPT)
	s_mov_b32 m0, ttmp2
.LBB2_7608:                             ; =>This Inner Loop Header: Depth=1
	s_sethalt 5
	s_branch .LBB2_7608
.LBB2_7609:
	s_trap 2
	s_sendmsg_rtn_b32 s0, sendmsg(MSG_RTN_GET_DOORBELL)
	s_mov_b32 ttmp2, m0
	s_waitcnt lgkmcnt(0)
	s_and_b32 s0, s0, 0x3ff
	s_delay_alu instid0(SALU_CYCLE_1) | instskip(NEXT) | instid1(SALU_CYCLE_1)
	s_bitset1_b32 s0, 10
	s_mov_b32 m0, s0
	s_sendmsg sendmsg(MSG_INTERRUPT)
	s_mov_b32 m0, ttmp2
.LBB2_7610:                             ; =>This Inner Loop Header: Depth=1
	s_sethalt 5
	s_branch .LBB2_7610
.LBB2_7611:
	s_trap 2
	s_sendmsg_rtn_b32 s0, sendmsg(MSG_RTN_GET_DOORBELL)
	s_mov_b32 ttmp2, m0
	s_waitcnt lgkmcnt(0)
	s_and_b32 s0, s0, 0x3ff
	s_delay_alu instid0(SALU_CYCLE_1) | instskip(NEXT) | instid1(SALU_CYCLE_1)
	s_bitset1_b32 s0, 10
	s_mov_b32 m0, s0
	s_sendmsg sendmsg(MSG_INTERRUPT)
	s_mov_b32 m0, ttmp2
.LBB2_7612:                             ; =>This Inner Loop Header: Depth=1
	s_sethalt 5
	s_branch .LBB2_7612
.LBB2_7613:
	s_trap 2
	s_sendmsg_rtn_b32 s0, sendmsg(MSG_RTN_GET_DOORBELL)
	s_mov_b32 ttmp2, m0
	s_waitcnt lgkmcnt(0)
	s_and_b32 s0, s0, 0x3ff
	s_delay_alu instid0(SALU_CYCLE_1) | instskip(NEXT) | instid1(SALU_CYCLE_1)
	s_bitset1_b32 s0, 10
	s_mov_b32 m0, s0
	s_sendmsg sendmsg(MSG_INTERRUPT)
	s_mov_b32 m0, ttmp2
.LBB2_7614:                             ; =>This Inner Loop Header: Depth=1
	s_sethalt 5
	s_branch .LBB2_7614
.LBB2_7615:
	s_trap 2
	s_sendmsg_rtn_b32 s0, sendmsg(MSG_RTN_GET_DOORBELL)
	s_mov_b32 ttmp2, m0
	s_waitcnt lgkmcnt(0)
	s_and_b32 s0, s0, 0x3ff
	s_delay_alu instid0(SALU_CYCLE_1) | instskip(NEXT) | instid1(SALU_CYCLE_1)
	s_bitset1_b32 s0, 10
	s_mov_b32 m0, s0
	s_sendmsg sendmsg(MSG_INTERRUPT)
	s_mov_b32 m0, ttmp2
.LBB2_7616:                             ; =>This Inner Loop Header: Depth=1
	s_sethalt 5
	s_branch .LBB2_7616
.LBB2_7617:
	s_trap 2
	s_sendmsg_rtn_b32 s0, sendmsg(MSG_RTN_GET_DOORBELL)
	s_mov_b32 ttmp2, m0
	s_waitcnt lgkmcnt(0)
	s_and_b32 s0, s0, 0x3ff
	s_delay_alu instid0(SALU_CYCLE_1) | instskip(NEXT) | instid1(SALU_CYCLE_1)
	s_bitset1_b32 s0, 10
	s_mov_b32 m0, s0
	s_sendmsg sendmsg(MSG_INTERRUPT)
	s_mov_b32 m0, ttmp2
.LBB2_7618:                             ; =>This Inner Loop Header: Depth=1
	s_sethalt 5
	s_branch .LBB2_7618
.LBB2_7619:
	s_trap 2
	s_sendmsg_rtn_b32 s0, sendmsg(MSG_RTN_GET_DOORBELL)
	s_mov_b32 ttmp2, m0
	s_waitcnt lgkmcnt(0)
	s_and_b32 s0, s0, 0x3ff
	s_delay_alu instid0(SALU_CYCLE_1) | instskip(NEXT) | instid1(SALU_CYCLE_1)
	s_bitset1_b32 s0, 10
	s_mov_b32 m0, s0
	s_sendmsg sendmsg(MSG_INTERRUPT)
	s_mov_b32 m0, ttmp2
.LBB2_7620:                             ; =>This Inner Loop Header: Depth=1
	s_sethalt 5
	s_branch .LBB2_7620
.LBB2_7621:
	s_trap 2
	s_sendmsg_rtn_b32 s0, sendmsg(MSG_RTN_GET_DOORBELL)
	s_mov_b32 ttmp2, m0
	s_waitcnt lgkmcnt(0)
	s_and_b32 s0, s0, 0x3ff
	s_delay_alu instid0(SALU_CYCLE_1) | instskip(NEXT) | instid1(SALU_CYCLE_1)
	s_bitset1_b32 s0, 10
	s_mov_b32 m0, s0
	s_sendmsg sendmsg(MSG_INTERRUPT)
	s_mov_b32 m0, ttmp2
.LBB2_7622:                             ; =>This Inner Loop Header: Depth=1
	s_sethalt 5
	s_branch .LBB2_7622
.LBB2_7623:
	s_trap 2
	s_sendmsg_rtn_b32 s0, sendmsg(MSG_RTN_GET_DOORBELL)
	s_mov_b32 ttmp2, m0
	s_waitcnt lgkmcnt(0)
	s_and_b32 s0, s0, 0x3ff
	s_delay_alu instid0(SALU_CYCLE_1) | instskip(NEXT) | instid1(SALU_CYCLE_1)
	s_bitset1_b32 s0, 10
	s_mov_b32 m0, s0
	s_sendmsg sendmsg(MSG_INTERRUPT)
	s_mov_b32 m0, ttmp2
.LBB2_7624:                             ; =>This Inner Loop Header: Depth=1
	s_sethalt 5
	s_branch .LBB2_7624
.LBB2_7625:
	s_trap 2
	s_sendmsg_rtn_b32 s0, sendmsg(MSG_RTN_GET_DOORBELL)
	s_mov_b32 ttmp2, m0
	s_waitcnt lgkmcnt(0)
	s_and_b32 s0, s0, 0x3ff
	s_delay_alu instid0(SALU_CYCLE_1) | instskip(NEXT) | instid1(SALU_CYCLE_1)
	s_bitset1_b32 s0, 10
	s_mov_b32 m0, s0
	s_sendmsg sendmsg(MSG_INTERRUPT)
	s_mov_b32 m0, ttmp2
.LBB2_7626:                             ; =>This Inner Loop Header: Depth=1
	s_sethalt 5
	s_branch .LBB2_7626
.LBB2_7627:
	s_or_b32 exec_lo, exec_lo, s4
	s_and_saveexec_b32 s4, s5
	s_delay_alu instid0(SALU_CYCLE_1)
	s_xor_b32 s4, exec_lo, s4
	s_cbranch_execz .LBB2_7629
; %bb.7628:
	v_mov_b32_e32 v0, 1
	ds_store_b32 v0, v0
	s_cbranch_execnz .LBB2_7723
.LBB2_7629:
	s_or_b32 exec_lo, exec_lo, s3
	;;#ASMSTART
	s_wakeup
	;;#ASMEND
.LBB2_7630:
	s_or_b32 exec_lo, exec_lo, s2
.LBB2_7631:
	s_and_not1_saveexec_b32 s1, s1
	s_cbranch_execz .LBB2_7633
; %bb.7632:
	s_waitcnt lgkmcnt(0)
	s_waitcnt_vscnt null, 0x0
	buffer_gl1_inv
	buffer_gl0_inv
	s_barrier
.LBB2_7633:
	s_or_b32 exec_lo, exec_lo, s0
.LBB2_7634:
	s_and_not1_saveexec_b32 s21, s18
	s_cbranch_execz .LBB2_7636
; %bb.7635:
	s_getpc_b64 s[0:1]
	s_add_u32 s0, s0, __PRETTY_FUNCTION__._ZN10PrimitivesI12rccl_bfloat813FuncPreMulSumIS0_E12FanSymmetricILi1EELi0E11ProtoSimpleILi2ELi2ELi0ELi1ELi0ELi0EELi0ELb0ELi0ELi0ELi0EEC2EiiPKiS9_PKvPvmhhhP15ncclDevWorkCollP14ncclDevWorkP2pii@rel32@lo+4
	s_addc_u32 s1, s1, __PRETTY_FUNCTION__._ZN10PrimitivesI12rccl_bfloat813FuncPreMulSumIS0_E12FanSymmetricILi1EELi0E11ProtoSimpleILi2ELi2ELi0ELi1ELi0ELi0EELi0ELb0ELi0ELi0ELi0EEC2EiiPKiS9_PKvPvmhhhP15ncclDevWorkCollP14ncclDevWorkP2pii@rel32@hi+12
	s_delay_alu instid0(SALU_CYCLE_1) | instskip(SKIP_3) | instid1(SALU_CYCLE_1)
	v_dual_mov_b32 v0, s0 :: v_dual_mov_b32 v1, s1
	s_getpc_b64 s[2:3]
	s_add_u32 s2, s2, __assert_fail@rel32@lo+4
	s_addc_u32 s3, s3, __assert_fail@rel32@hi+12
	s_swappc_b64 s[30:31], s[2:3]
	; divergent unreachable
.LBB2_7636:
	s_or_b32 exec_lo, exec_lo, s21
	s_clause 0x4
	scratch_load_b32 v44, off, s33
	scratch_load_b32 v43, off, s33 offset:4
	scratch_load_b32 v42, off, s33 offset:8
	;; [unrolled: 1-line block ×4, first 2 shown]
	v_readlane_b32 s30, v45, 12
	v_readlane_b32 s31, v45, 13
	;; [unrolled: 1-line block ×15, first 2 shown]
	s_or_saveexec_b32 s1, -1
	s_clause 0x1
	scratch_load_b32 v45, off, s33 offset:20
	scratch_load_b32 v46, off, s33 offset:24
	s_mov_b32 exec_lo, s1
	s_addk_i32 s32, 0xffe0
	s_mov_b32 s33, s0
	s_waitcnt vmcnt(0) lgkmcnt(0)
	s_setpc_b64 s[30:31]
.LBB2_7637:
	s_trap 2
	s_sendmsg_rtn_b32 s0, sendmsg(MSG_RTN_GET_DOORBELL)
	s_mov_b32 ttmp2, m0
	s_waitcnt lgkmcnt(0)
	s_and_b32 s0, s0, 0x3ff
	s_delay_alu instid0(SALU_CYCLE_1) | instskip(NEXT) | instid1(SALU_CYCLE_1)
	s_bitset1_b32 s0, 10
	s_mov_b32 m0, s0
	s_sendmsg sendmsg(MSG_INTERRUPT)
	s_mov_b32 m0, ttmp2
.LBB2_7638:                             ; =>This Inner Loop Header: Depth=1
	s_sethalt 5
	s_branch .LBB2_7638
.LBB2_7639:
	s_trap 2
	s_sendmsg_rtn_b32 s0, sendmsg(MSG_RTN_GET_DOORBELL)
	s_mov_b32 ttmp2, m0
	s_waitcnt lgkmcnt(0)
	s_and_b32 s0, s0, 0x3ff
	s_delay_alu instid0(SALU_CYCLE_1) | instskip(NEXT) | instid1(SALU_CYCLE_1)
	s_bitset1_b32 s0, 10
	s_mov_b32 m0, s0
	s_sendmsg sendmsg(MSG_INTERRUPT)
	s_mov_b32 m0, ttmp2
.LBB2_7640:                             ; =>This Inner Loop Header: Depth=1
	s_sethalt 5
	s_branch .LBB2_7640
.LBB2_7641:
	s_trap 2
	s_sendmsg_rtn_b32 s0, sendmsg(MSG_RTN_GET_DOORBELL)
	s_mov_b32 ttmp2, m0
	s_waitcnt lgkmcnt(0)
	s_and_b32 s0, s0, 0x3ff
	s_delay_alu instid0(SALU_CYCLE_1) | instskip(NEXT) | instid1(SALU_CYCLE_1)
	s_bitset1_b32 s0, 10
	s_mov_b32 m0, s0
	s_sendmsg sendmsg(MSG_INTERRUPT)
	s_mov_b32 m0, ttmp2
.LBB2_7642:                             ; =>This Inner Loop Header: Depth=1
	s_sethalt 5
	s_branch .LBB2_7642
.LBB2_7643:
	s_trap 2
	s_sendmsg_rtn_b32 s0, sendmsg(MSG_RTN_GET_DOORBELL)
	s_mov_b32 ttmp2, m0
	s_waitcnt lgkmcnt(0)
	s_and_b32 s0, s0, 0x3ff
	s_delay_alu instid0(SALU_CYCLE_1) | instskip(NEXT) | instid1(SALU_CYCLE_1)
	s_bitset1_b32 s0, 10
	s_mov_b32 m0, s0
	s_sendmsg sendmsg(MSG_INTERRUPT)
	s_mov_b32 m0, ttmp2
.LBB2_7644:                             ; =>This Inner Loop Header: Depth=1
	s_sethalt 5
	s_branch .LBB2_7644
.LBB2_7645:
	s_trap 2
	s_sendmsg_rtn_b32 s0, sendmsg(MSG_RTN_GET_DOORBELL)
	s_mov_b32 ttmp2, m0
	s_waitcnt lgkmcnt(0)
	s_and_b32 s0, s0, 0x3ff
	s_delay_alu instid0(SALU_CYCLE_1) | instskip(NEXT) | instid1(SALU_CYCLE_1)
	s_bitset1_b32 s0, 10
	s_mov_b32 m0, s0
	s_sendmsg sendmsg(MSG_INTERRUPT)
	s_mov_b32 m0, ttmp2
.LBB2_7646:                             ; =>This Inner Loop Header: Depth=1
	s_sethalt 5
	s_branch .LBB2_7646
.LBB2_7647:
	s_trap 2
	s_sendmsg_rtn_b32 s0, sendmsg(MSG_RTN_GET_DOORBELL)
	s_mov_b32 ttmp2, m0
	s_waitcnt lgkmcnt(0)
	s_and_b32 s0, s0, 0x3ff
	s_delay_alu instid0(SALU_CYCLE_1) | instskip(NEXT) | instid1(SALU_CYCLE_1)
	s_bitset1_b32 s0, 10
	s_mov_b32 m0, s0
	s_sendmsg sendmsg(MSG_INTERRUPT)
	s_mov_b32 m0, ttmp2
.LBB2_7648:                             ; =>This Inner Loop Header: Depth=1
	s_sethalt 5
	s_branch .LBB2_7648
.LBB2_7649:
	s_trap 2
	s_sendmsg_rtn_b32 s0, sendmsg(MSG_RTN_GET_DOORBELL)
	s_mov_b32 ttmp2, m0
	s_waitcnt lgkmcnt(0)
	s_and_b32 s0, s0, 0x3ff
	s_delay_alu instid0(SALU_CYCLE_1) | instskip(NEXT) | instid1(SALU_CYCLE_1)
	s_bitset1_b32 s0, 10
	s_mov_b32 m0, s0
	s_sendmsg sendmsg(MSG_INTERRUPT)
	s_mov_b32 m0, ttmp2
.LBB2_7650:                             ; =>This Inner Loop Header: Depth=1
	s_sethalt 5
	s_branch .LBB2_7650
.LBB2_7651:
	s_trap 2
	s_sendmsg_rtn_b32 s0, sendmsg(MSG_RTN_GET_DOORBELL)
	s_mov_b32 ttmp2, m0
	s_waitcnt lgkmcnt(0)
	s_and_b32 s0, s0, 0x3ff
	s_delay_alu instid0(SALU_CYCLE_1) | instskip(NEXT) | instid1(SALU_CYCLE_1)
	s_bitset1_b32 s0, 10
	s_mov_b32 m0, s0
	s_sendmsg sendmsg(MSG_INTERRUPT)
	s_mov_b32 m0, ttmp2
.LBB2_7652:                             ; =>This Inner Loop Header: Depth=1
	s_sethalt 5
	s_branch .LBB2_7652
.LBB2_7653:
	s_trap 2
	s_sendmsg_rtn_b32 s0, sendmsg(MSG_RTN_GET_DOORBELL)
	s_mov_b32 ttmp2, m0
	s_waitcnt lgkmcnt(0)
	s_and_b32 s0, s0, 0x3ff
	s_delay_alu instid0(SALU_CYCLE_1) | instskip(NEXT) | instid1(SALU_CYCLE_1)
	s_bitset1_b32 s0, 10
	s_mov_b32 m0, s0
	s_sendmsg sendmsg(MSG_INTERRUPT)
	s_mov_b32 m0, ttmp2
.LBB2_7654:                             ; =>This Inner Loop Header: Depth=1
	s_sethalt 5
	s_branch .LBB2_7654
.LBB2_7655:
	s_trap 2
	s_sendmsg_rtn_b32 s0, sendmsg(MSG_RTN_GET_DOORBELL)
	s_mov_b32 ttmp2, m0
	s_waitcnt lgkmcnt(0)
	s_and_b32 s0, s0, 0x3ff
	s_delay_alu instid0(SALU_CYCLE_1) | instskip(NEXT) | instid1(SALU_CYCLE_1)
	s_bitset1_b32 s0, 10
	s_mov_b32 m0, s0
	s_sendmsg sendmsg(MSG_INTERRUPT)
	s_mov_b32 m0, ttmp2
.LBB2_7656:                             ; =>This Inner Loop Header: Depth=1
	s_sethalt 5
	s_branch .LBB2_7656
.LBB2_7657:
	s_trap 2
	s_sendmsg_rtn_b32 s0, sendmsg(MSG_RTN_GET_DOORBELL)
	s_mov_b32 ttmp2, m0
	s_waitcnt lgkmcnt(0)
	s_and_b32 s0, s0, 0x3ff
	s_delay_alu instid0(SALU_CYCLE_1) | instskip(NEXT) | instid1(SALU_CYCLE_1)
	s_bitset1_b32 s0, 10
	s_mov_b32 m0, s0
	s_sendmsg sendmsg(MSG_INTERRUPT)
	s_mov_b32 m0, ttmp2
.LBB2_7658:                             ; =>This Inner Loop Header: Depth=1
	s_sethalt 5
	s_branch .LBB2_7658
.LBB2_7659:
	s_trap 2
	s_sendmsg_rtn_b32 s0, sendmsg(MSG_RTN_GET_DOORBELL)
	s_mov_b32 ttmp2, m0
	s_waitcnt lgkmcnt(0)
	s_and_b32 s0, s0, 0x3ff
	s_delay_alu instid0(SALU_CYCLE_1) | instskip(NEXT) | instid1(SALU_CYCLE_1)
	s_bitset1_b32 s0, 10
	s_mov_b32 m0, s0
	s_sendmsg sendmsg(MSG_INTERRUPT)
	s_mov_b32 m0, ttmp2
.LBB2_7660:                             ; =>This Inner Loop Header: Depth=1
	s_sethalt 5
	s_branch .LBB2_7660
.LBB2_7661:
	s_trap 2
	s_sendmsg_rtn_b32 s0, sendmsg(MSG_RTN_GET_DOORBELL)
	s_mov_b32 ttmp2, m0
	s_waitcnt lgkmcnt(0)
	s_and_b32 s0, s0, 0x3ff
	s_delay_alu instid0(SALU_CYCLE_1) | instskip(NEXT) | instid1(SALU_CYCLE_1)
	s_bitset1_b32 s0, 10
	s_mov_b32 m0, s0
	s_sendmsg sendmsg(MSG_INTERRUPT)
	s_mov_b32 m0, ttmp2
.LBB2_7662:                             ; =>This Inner Loop Header: Depth=1
	s_sethalt 5
	s_branch .LBB2_7662
.LBB2_7663:
	s_trap 2
	s_sendmsg_rtn_b32 s0, sendmsg(MSG_RTN_GET_DOORBELL)
	s_mov_b32 ttmp2, m0
	s_waitcnt lgkmcnt(0)
	s_and_b32 s0, s0, 0x3ff
	s_delay_alu instid0(SALU_CYCLE_1) | instskip(NEXT) | instid1(SALU_CYCLE_1)
	s_bitset1_b32 s0, 10
	s_mov_b32 m0, s0
	s_sendmsg sendmsg(MSG_INTERRUPT)
	s_mov_b32 m0, ttmp2
.LBB2_7664:                             ; =>This Inner Loop Header: Depth=1
	s_sethalt 5
	s_branch .LBB2_7664
.LBB2_7665:
	s_trap 2
	s_sendmsg_rtn_b32 s0, sendmsg(MSG_RTN_GET_DOORBELL)
	s_mov_b32 ttmp2, m0
	s_waitcnt lgkmcnt(0)
	s_and_b32 s0, s0, 0x3ff
	s_delay_alu instid0(SALU_CYCLE_1) | instskip(NEXT) | instid1(SALU_CYCLE_1)
	s_bitset1_b32 s0, 10
	s_mov_b32 m0, s0
	s_sendmsg sendmsg(MSG_INTERRUPT)
	s_mov_b32 m0, ttmp2
.LBB2_7666:                             ; =>This Inner Loop Header: Depth=1
	s_sethalt 5
	s_branch .LBB2_7666
.LBB2_7667:
	s_trap 2
	s_sendmsg_rtn_b32 s0, sendmsg(MSG_RTN_GET_DOORBELL)
	s_mov_b32 ttmp2, m0
	s_waitcnt lgkmcnt(0)
	s_and_b32 s0, s0, 0x3ff
	s_delay_alu instid0(SALU_CYCLE_1) | instskip(NEXT) | instid1(SALU_CYCLE_1)
	s_bitset1_b32 s0, 10
	s_mov_b32 m0, s0
	s_sendmsg sendmsg(MSG_INTERRUPT)
	s_mov_b32 m0, ttmp2
.LBB2_7668:                             ; =>This Inner Loop Header: Depth=1
	s_sethalt 5
	s_branch .LBB2_7668
.LBB2_7669:
	s_trap 2
	s_sendmsg_rtn_b32 s0, sendmsg(MSG_RTN_GET_DOORBELL)
	s_mov_b32 ttmp2, m0
	s_waitcnt lgkmcnt(0)
	s_and_b32 s0, s0, 0x3ff
	s_delay_alu instid0(SALU_CYCLE_1) | instskip(NEXT) | instid1(SALU_CYCLE_1)
	s_bitset1_b32 s0, 10
	s_mov_b32 m0, s0
	s_sendmsg sendmsg(MSG_INTERRUPT)
	s_mov_b32 m0, ttmp2
.LBB2_7670:                             ; =>This Inner Loop Header: Depth=1
	s_sethalt 5
	s_branch .LBB2_7670
.LBB2_7671:
	s_trap 2
	s_sendmsg_rtn_b32 s0, sendmsg(MSG_RTN_GET_DOORBELL)
	s_mov_b32 ttmp2, m0
	s_waitcnt lgkmcnt(0)
	s_and_b32 s0, s0, 0x3ff
	s_delay_alu instid0(SALU_CYCLE_1) | instskip(NEXT) | instid1(SALU_CYCLE_1)
	s_bitset1_b32 s0, 10
	s_mov_b32 m0, s0
	s_sendmsg sendmsg(MSG_INTERRUPT)
	s_mov_b32 m0, ttmp2
.LBB2_7672:                             ; =>This Inner Loop Header: Depth=1
	s_sethalt 5
	s_branch .LBB2_7672
.LBB2_7673:
	s_trap 2
	s_sendmsg_rtn_b32 s0, sendmsg(MSG_RTN_GET_DOORBELL)
	s_mov_b32 ttmp2, m0
	s_waitcnt lgkmcnt(0)
	s_and_b32 s0, s0, 0x3ff
	s_delay_alu instid0(SALU_CYCLE_1) | instskip(NEXT) | instid1(SALU_CYCLE_1)
	s_bitset1_b32 s0, 10
	s_mov_b32 m0, s0
	s_sendmsg sendmsg(MSG_INTERRUPT)
	s_mov_b32 m0, ttmp2
.LBB2_7674:                             ; =>This Inner Loop Header: Depth=1
	s_sethalt 5
	s_branch .LBB2_7674
.LBB2_7675:
	s_trap 2
	s_sendmsg_rtn_b32 s0, sendmsg(MSG_RTN_GET_DOORBELL)
	s_mov_b32 ttmp2, m0
	s_waitcnt lgkmcnt(0)
	s_and_b32 s0, s0, 0x3ff
	s_delay_alu instid0(SALU_CYCLE_1) | instskip(NEXT) | instid1(SALU_CYCLE_1)
	s_bitset1_b32 s0, 10
	s_mov_b32 m0, s0
	s_sendmsg sendmsg(MSG_INTERRUPT)
	s_mov_b32 m0, ttmp2
.LBB2_7676:                             ; =>This Inner Loop Header: Depth=1
	s_sethalt 5
	s_branch .LBB2_7676
.LBB2_7677:
	s_trap 2
	s_sendmsg_rtn_b32 s0, sendmsg(MSG_RTN_GET_DOORBELL)
	s_mov_b32 ttmp2, m0
	s_waitcnt lgkmcnt(0)
	s_and_b32 s0, s0, 0x3ff
	s_delay_alu instid0(SALU_CYCLE_1) | instskip(NEXT) | instid1(SALU_CYCLE_1)
	s_bitset1_b32 s0, 10
	s_mov_b32 m0, s0
	s_sendmsg sendmsg(MSG_INTERRUPT)
	s_mov_b32 m0, ttmp2
.LBB2_7678:                             ; =>This Inner Loop Header: Depth=1
	s_sethalt 5
	s_branch .LBB2_7678
.LBB2_7679:
	s_trap 2
	s_sendmsg_rtn_b32 s0, sendmsg(MSG_RTN_GET_DOORBELL)
	s_mov_b32 ttmp2, m0
	s_waitcnt lgkmcnt(0)
	s_and_b32 s0, s0, 0x3ff
	s_delay_alu instid0(SALU_CYCLE_1) | instskip(NEXT) | instid1(SALU_CYCLE_1)
	s_bitset1_b32 s0, 10
	s_mov_b32 m0, s0
	s_sendmsg sendmsg(MSG_INTERRUPT)
	s_mov_b32 m0, ttmp2
.LBB2_7680:                             ; =>This Inner Loop Header: Depth=1
	s_sethalt 5
	s_branch .LBB2_7680
.LBB2_7681:
	s_trap 2
	s_sendmsg_rtn_b32 s0, sendmsg(MSG_RTN_GET_DOORBELL)
	s_mov_b32 ttmp2, m0
	s_waitcnt lgkmcnt(0)
	s_and_b32 s0, s0, 0x3ff
	s_delay_alu instid0(SALU_CYCLE_1) | instskip(NEXT) | instid1(SALU_CYCLE_1)
	s_bitset1_b32 s0, 10
	s_mov_b32 m0, s0
	s_sendmsg sendmsg(MSG_INTERRUPT)
	s_mov_b32 m0, ttmp2
.LBB2_7682:                             ; =>This Inner Loop Header: Depth=1
	s_sethalt 5
	s_branch .LBB2_7682
.LBB2_7683:
	s_trap 2
	s_sendmsg_rtn_b32 s0, sendmsg(MSG_RTN_GET_DOORBELL)
	s_mov_b32 ttmp2, m0
	s_waitcnt lgkmcnt(0)
	s_and_b32 s0, s0, 0x3ff
	s_delay_alu instid0(SALU_CYCLE_1) | instskip(NEXT) | instid1(SALU_CYCLE_1)
	s_bitset1_b32 s0, 10
	s_mov_b32 m0, s0
	s_sendmsg sendmsg(MSG_INTERRUPT)
	s_mov_b32 m0, ttmp2
.LBB2_7684:                             ; =>This Inner Loop Header: Depth=1
	s_sethalt 5
	s_branch .LBB2_7684
.LBB2_7685:
	s_trap 2
	s_sendmsg_rtn_b32 s0, sendmsg(MSG_RTN_GET_DOORBELL)
	s_mov_b32 ttmp2, m0
	s_waitcnt lgkmcnt(0)
	s_and_b32 s0, s0, 0x3ff
	s_delay_alu instid0(SALU_CYCLE_1) | instskip(NEXT) | instid1(SALU_CYCLE_1)
	s_bitset1_b32 s0, 10
	s_mov_b32 m0, s0
	s_sendmsg sendmsg(MSG_INTERRUPT)
	s_mov_b32 m0, ttmp2
.LBB2_7686:                             ; =>This Inner Loop Header: Depth=1
	s_sethalt 5
	s_branch .LBB2_7686
.LBB2_7687:
	s_trap 2
	s_sendmsg_rtn_b32 s0, sendmsg(MSG_RTN_GET_DOORBELL)
	s_mov_b32 ttmp2, m0
	s_waitcnt lgkmcnt(0)
	s_and_b32 s0, s0, 0x3ff
	s_delay_alu instid0(SALU_CYCLE_1) | instskip(NEXT) | instid1(SALU_CYCLE_1)
	s_bitset1_b32 s0, 10
	s_mov_b32 m0, s0
	s_sendmsg sendmsg(MSG_INTERRUPT)
	s_mov_b32 m0, ttmp2
.LBB2_7688:                             ; =>This Inner Loop Header: Depth=1
	s_sethalt 5
	s_branch .LBB2_7688
.LBB2_7689:
	s_trap 2
	s_sendmsg_rtn_b32 s0, sendmsg(MSG_RTN_GET_DOORBELL)
	s_mov_b32 ttmp2, m0
	s_waitcnt lgkmcnt(0)
	s_and_b32 s0, s0, 0x3ff
	s_delay_alu instid0(SALU_CYCLE_1) | instskip(NEXT) | instid1(SALU_CYCLE_1)
	s_bitset1_b32 s0, 10
	s_mov_b32 m0, s0
	s_sendmsg sendmsg(MSG_INTERRUPT)
	s_mov_b32 m0, ttmp2
.LBB2_7690:                             ; =>This Inner Loop Header: Depth=1
	s_sethalt 5
	s_branch .LBB2_7690
.LBB2_7691:
	s_trap 2
	s_sendmsg_rtn_b32 s0, sendmsg(MSG_RTN_GET_DOORBELL)
	s_mov_b32 ttmp2, m0
	s_waitcnt lgkmcnt(0)
	s_and_b32 s0, s0, 0x3ff
	s_delay_alu instid0(SALU_CYCLE_1) | instskip(NEXT) | instid1(SALU_CYCLE_1)
	s_bitset1_b32 s0, 10
	s_mov_b32 m0, s0
	s_sendmsg sendmsg(MSG_INTERRUPT)
	s_mov_b32 m0, ttmp2
.LBB2_7692:                             ; =>This Inner Loop Header: Depth=1
	s_sethalt 5
	s_branch .LBB2_7692
.LBB2_7693:
	s_trap 2
	s_sendmsg_rtn_b32 s0, sendmsg(MSG_RTN_GET_DOORBELL)
	s_mov_b32 ttmp2, m0
	s_waitcnt lgkmcnt(0)
	s_and_b32 s0, s0, 0x3ff
	s_delay_alu instid0(SALU_CYCLE_1) | instskip(NEXT) | instid1(SALU_CYCLE_1)
	s_bitset1_b32 s0, 10
	s_mov_b32 m0, s0
	s_sendmsg sendmsg(MSG_INTERRUPT)
	s_mov_b32 m0, ttmp2
.LBB2_7694:                             ; =>This Inner Loop Header: Depth=1
	s_sethalt 5
	s_branch .LBB2_7694
.LBB2_7695:
	s_trap 2
	s_sendmsg_rtn_b32 s0, sendmsg(MSG_RTN_GET_DOORBELL)
	s_mov_b32 ttmp2, m0
	s_waitcnt lgkmcnt(0)
	s_and_b32 s0, s0, 0x3ff
	s_delay_alu instid0(SALU_CYCLE_1) | instskip(NEXT) | instid1(SALU_CYCLE_1)
	s_bitset1_b32 s0, 10
	s_mov_b32 m0, s0
	s_sendmsg sendmsg(MSG_INTERRUPT)
	s_mov_b32 m0, ttmp2
.LBB2_7696:                             ; =>This Inner Loop Header: Depth=1
	s_sethalt 5
	s_branch .LBB2_7696
.LBB2_7697:
	s_trap 2
	s_sendmsg_rtn_b32 s0, sendmsg(MSG_RTN_GET_DOORBELL)
	s_mov_b32 ttmp2, m0
	s_waitcnt lgkmcnt(0)
	s_and_b32 s0, s0, 0x3ff
	s_delay_alu instid0(SALU_CYCLE_1) | instskip(NEXT) | instid1(SALU_CYCLE_1)
	s_bitset1_b32 s0, 10
	s_mov_b32 m0, s0
	s_sendmsg sendmsg(MSG_INTERRUPT)
	s_mov_b32 m0, ttmp2
.LBB2_7698:                             ; =>This Inner Loop Header: Depth=1
	s_sethalt 5
	s_branch .LBB2_7698
.LBB2_7699:
	s_trap 2
	s_sendmsg_rtn_b32 s0, sendmsg(MSG_RTN_GET_DOORBELL)
	s_mov_b32 ttmp2, m0
	s_waitcnt lgkmcnt(0)
	s_and_b32 s0, s0, 0x3ff
	s_delay_alu instid0(SALU_CYCLE_1) | instskip(NEXT) | instid1(SALU_CYCLE_1)
	s_bitset1_b32 s0, 10
	s_mov_b32 m0, s0
	s_sendmsg sendmsg(MSG_INTERRUPT)
	s_mov_b32 m0, ttmp2
.LBB2_7700:                             ; =>This Inner Loop Header: Depth=1
	s_sethalt 5
	s_branch .LBB2_7700
.LBB2_7701:
	s_trap 2
	s_sendmsg_rtn_b32 s0, sendmsg(MSG_RTN_GET_DOORBELL)
	s_mov_b32 ttmp2, m0
	s_waitcnt lgkmcnt(0)
	s_and_b32 s0, s0, 0x3ff
	s_delay_alu instid0(SALU_CYCLE_1) | instskip(NEXT) | instid1(SALU_CYCLE_1)
	s_bitset1_b32 s0, 10
	s_mov_b32 m0, s0
	s_sendmsg sendmsg(MSG_INTERRUPT)
	s_mov_b32 m0, ttmp2
.LBB2_7702:                             ; =>This Inner Loop Header: Depth=1
	s_sethalt 5
	s_branch .LBB2_7702
.LBB2_7703:
	s_trap 2
	s_sendmsg_rtn_b32 s0, sendmsg(MSG_RTN_GET_DOORBELL)
	s_mov_b32 ttmp2, m0
	s_waitcnt lgkmcnt(0)
	s_and_b32 s0, s0, 0x3ff
	s_delay_alu instid0(SALU_CYCLE_1) | instskip(NEXT) | instid1(SALU_CYCLE_1)
	s_bitset1_b32 s0, 10
	s_mov_b32 m0, s0
	s_sendmsg sendmsg(MSG_INTERRUPT)
	s_mov_b32 m0, ttmp2
.LBB2_7704:                             ; =>This Inner Loop Header: Depth=1
	s_sethalt 5
	s_branch .LBB2_7704
.LBB2_7705:
	s_trap 2
	s_sendmsg_rtn_b32 s0, sendmsg(MSG_RTN_GET_DOORBELL)
	s_mov_b32 ttmp2, m0
	s_waitcnt lgkmcnt(0)
	s_and_b32 s0, s0, 0x3ff
	s_delay_alu instid0(SALU_CYCLE_1) | instskip(NEXT) | instid1(SALU_CYCLE_1)
	s_bitset1_b32 s0, 10
	s_mov_b32 m0, s0
	s_sendmsg sendmsg(MSG_INTERRUPT)
	s_mov_b32 m0, ttmp2
.LBB2_7706:                             ; =>This Inner Loop Header: Depth=1
	s_sethalt 5
	s_branch .LBB2_7706
.LBB2_7707:
	s_trap 2
	s_sendmsg_rtn_b32 s0, sendmsg(MSG_RTN_GET_DOORBELL)
	s_mov_b32 ttmp2, m0
	s_waitcnt lgkmcnt(0)
	s_and_b32 s0, s0, 0x3ff
	s_delay_alu instid0(SALU_CYCLE_1) | instskip(NEXT) | instid1(SALU_CYCLE_1)
	s_bitset1_b32 s0, 10
	s_mov_b32 m0, s0
	s_sendmsg sendmsg(MSG_INTERRUPT)
	s_mov_b32 m0, ttmp2
.LBB2_7708:                             ; =>This Inner Loop Header: Depth=1
	s_sethalt 5
	s_branch .LBB2_7708
.LBB2_7709:
	s_trap 2
	s_sendmsg_rtn_b32 s0, sendmsg(MSG_RTN_GET_DOORBELL)
	s_mov_b32 ttmp2, m0
	s_waitcnt lgkmcnt(0)
	s_and_b32 s0, s0, 0x3ff
	s_delay_alu instid0(SALU_CYCLE_1) | instskip(NEXT) | instid1(SALU_CYCLE_1)
	s_bitset1_b32 s0, 10
	s_mov_b32 m0, s0
	s_sendmsg sendmsg(MSG_INTERRUPT)
	s_mov_b32 m0, ttmp2
.LBB2_7710:                             ; =>This Inner Loop Header: Depth=1
	s_sethalt 5
	s_branch .LBB2_7710
.LBB2_7711:
	s_trap 2
	s_sendmsg_rtn_b32 s0, sendmsg(MSG_RTN_GET_DOORBELL)
	s_mov_b32 ttmp2, m0
	s_waitcnt lgkmcnt(0)
	s_and_b32 s0, s0, 0x3ff
	s_delay_alu instid0(SALU_CYCLE_1) | instskip(NEXT) | instid1(SALU_CYCLE_1)
	s_bitset1_b32 s0, 10
	s_mov_b32 m0, s0
	s_sendmsg sendmsg(MSG_INTERRUPT)
	s_mov_b32 m0, ttmp2
.LBB2_7712:                             ; =>This Inner Loop Header: Depth=1
	s_sethalt 5
	s_branch .LBB2_7712
.LBB2_7713:
	s_trap 2
	s_sendmsg_rtn_b32 s0, sendmsg(MSG_RTN_GET_DOORBELL)
	s_mov_b32 ttmp2, m0
	s_waitcnt lgkmcnt(0)
	s_and_b32 s0, s0, 0x3ff
	s_delay_alu instid0(SALU_CYCLE_1) | instskip(NEXT) | instid1(SALU_CYCLE_1)
	s_bitset1_b32 s0, 10
	s_mov_b32 m0, s0
	s_sendmsg sendmsg(MSG_INTERRUPT)
	s_mov_b32 m0, ttmp2
.LBB2_7714:                             ; =>This Inner Loop Header: Depth=1
	s_sethalt 5
	s_branch .LBB2_7714
.LBB2_7715:
	s_trap 2
	s_sendmsg_rtn_b32 s0, sendmsg(MSG_RTN_GET_DOORBELL)
	s_mov_b32 ttmp2, m0
	s_waitcnt lgkmcnt(0)
	s_and_b32 s0, s0, 0x3ff
	s_delay_alu instid0(SALU_CYCLE_1) | instskip(NEXT) | instid1(SALU_CYCLE_1)
	s_bitset1_b32 s0, 10
	s_mov_b32 m0, s0
	s_sendmsg sendmsg(MSG_INTERRUPT)
	s_mov_b32 m0, ttmp2
.LBB2_7716:                             ; =>This Inner Loop Header: Depth=1
	s_sethalt 5
	s_branch .LBB2_7716
.LBB2_7717:
	s_trap 2
	s_sendmsg_rtn_b32 s0, sendmsg(MSG_RTN_GET_DOORBELL)
	s_mov_b32 ttmp2, m0
	s_waitcnt lgkmcnt(0)
	s_and_b32 s0, s0, 0x3ff
	s_delay_alu instid0(SALU_CYCLE_1) | instskip(NEXT) | instid1(SALU_CYCLE_1)
	s_bitset1_b32 s0, 10
	s_mov_b32 m0, s0
	s_sendmsg sendmsg(MSG_INTERRUPT)
	s_mov_b32 m0, ttmp2
.LBB2_7718:                             ; =>This Inner Loop Header: Depth=1
	s_sethalt 5
	s_branch .LBB2_7718
.LBB2_7719:
	s_trap 2
	s_sendmsg_rtn_b32 s0, sendmsg(MSG_RTN_GET_DOORBELL)
	s_mov_b32 ttmp2, m0
	s_waitcnt lgkmcnt(0)
	s_and_b32 s0, s0, 0x3ff
	s_delay_alu instid0(SALU_CYCLE_1) | instskip(NEXT) | instid1(SALU_CYCLE_1)
	s_bitset1_b32 s0, 10
	s_mov_b32 m0, s0
	s_sendmsg sendmsg(MSG_INTERRUPT)
	s_mov_b32 m0, ttmp2
.LBB2_7720:                             ; =>This Inner Loop Header: Depth=1
	s_sethalt 5
	s_branch .LBB2_7720
.LBB2_7721:
	s_trap 2
	s_sendmsg_rtn_b32 s0, sendmsg(MSG_RTN_GET_DOORBELL)
	s_mov_b32 ttmp2, m0
	s_waitcnt lgkmcnt(0)
	s_and_b32 s0, s0, 0x3ff
	s_delay_alu instid0(SALU_CYCLE_1) | instskip(NEXT) | instid1(SALU_CYCLE_1)
	s_bitset1_b32 s0, 10
	s_mov_b32 m0, s0
	s_sendmsg sendmsg(MSG_INTERRUPT)
	s_mov_b32 m0, ttmp2
.LBB2_7722:                             ; =>This Inner Loop Header: Depth=1
	s_sethalt 5
	s_branch .LBB2_7722
.LBB2_7723:
	s_trap 2
	s_sendmsg_rtn_b32 s0, sendmsg(MSG_RTN_GET_DOORBELL)
	s_mov_b32 ttmp2, m0
	s_waitcnt lgkmcnt(0)
	s_and_b32 s0, s0, 0x3ff
	s_delay_alu instid0(SALU_CYCLE_1) | instskip(NEXT) | instid1(SALU_CYCLE_1)
	s_bitset1_b32 s0, 10
	s_mov_b32 m0, s0
	s_sendmsg sendmsg(MSG_INTERRUPT)
	s_mov_b32 m0, ttmp2
.LBB2_7724:                             ; =>This Inner Loop Header: Depth=1
	s_sethalt 5
	s_branch .LBB2_7724
.LBB2_7725:
	s_trap 2
	s_sendmsg_rtn_b32 s0, sendmsg(MSG_RTN_GET_DOORBELL)
	s_mov_b32 ttmp2, m0
	s_waitcnt lgkmcnt(0)
	s_and_b32 s0, s0, 0x3ff
	s_delay_alu instid0(SALU_CYCLE_1) | instskip(NEXT) | instid1(SALU_CYCLE_1)
	s_bitset1_b32 s0, 10
	s_mov_b32 m0, s0
	s_sendmsg sendmsg(MSG_INTERRUPT)
	s_mov_b32 m0, ttmp2
.LBB2_7726:                             ; =>This Inner Loop Header: Depth=1
	s_sethalt 5
	s_branch .LBB2_7726
.LBB2_7727:
	s_trap 2
	s_sendmsg_rtn_b32 s0, sendmsg(MSG_RTN_GET_DOORBELL)
	s_mov_b32 ttmp2, m0
	s_waitcnt lgkmcnt(0)
	s_and_b32 s0, s0, 0x3ff
	s_delay_alu instid0(SALU_CYCLE_1) | instskip(NEXT) | instid1(SALU_CYCLE_1)
	s_bitset1_b32 s0, 10
	s_mov_b32 m0, s0
	s_sendmsg sendmsg(MSG_INTERRUPT)
	s_mov_b32 m0, ttmp2
.LBB2_7728:                             ; =>This Inner Loop Header: Depth=1
	s_sethalt 5
	s_branch .LBB2_7728
.LBB2_7729:
	s_trap 2
	s_sendmsg_rtn_b32 s0, sendmsg(MSG_RTN_GET_DOORBELL)
	s_mov_b32 ttmp2, m0
	s_waitcnt lgkmcnt(0)
	s_and_b32 s0, s0, 0x3ff
	s_delay_alu instid0(SALU_CYCLE_1) | instskip(NEXT) | instid1(SALU_CYCLE_1)
	s_bitset1_b32 s0, 10
	s_mov_b32 m0, s0
	s_sendmsg sendmsg(MSG_INTERRUPT)
	s_mov_b32 m0, ttmp2
.LBB2_7730:                             ; =>This Inner Loop Header: Depth=1
	s_sethalt 5
	s_branch .LBB2_7730
.LBB2_7731:
	s_trap 2
	s_sendmsg_rtn_b32 s0, sendmsg(MSG_RTN_GET_DOORBELL)
	s_mov_b32 ttmp2, m0
	s_waitcnt lgkmcnt(0)
	s_and_b32 s0, s0, 0x3ff
	s_delay_alu instid0(SALU_CYCLE_1) | instskip(NEXT) | instid1(SALU_CYCLE_1)
	s_bitset1_b32 s0, 10
	s_mov_b32 m0, s0
	s_sendmsg sendmsg(MSG_INTERRUPT)
	s_mov_b32 m0, ttmp2
.LBB2_7732:                             ; =>This Inner Loop Header: Depth=1
	s_sethalt 5
	s_branch .LBB2_7732
.LBB2_7733:
	s_trap 2
	s_sendmsg_rtn_b32 s0, sendmsg(MSG_RTN_GET_DOORBELL)
	s_mov_b32 ttmp2, m0
	s_waitcnt lgkmcnt(0)
	s_and_b32 s0, s0, 0x3ff
	s_delay_alu instid0(SALU_CYCLE_1) | instskip(NEXT) | instid1(SALU_CYCLE_1)
	s_bitset1_b32 s0, 10
	s_mov_b32 m0, s0
	s_sendmsg sendmsg(MSG_INTERRUPT)
	s_mov_b32 m0, ttmp2
.LBB2_7734:                             ; =>This Inner Loop Header: Depth=1
	s_sethalt 5
	s_branch .LBB2_7734
.LBB2_7735:
	s_trap 2
	s_sendmsg_rtn_b32 s0, sendmsg(MSG_RTN_GET_DOORBELL)
	s_mov_b32 ttmp2, m0
	s_waitcnt lgkmcnt(0)
	s_and_b32 s0, s0, 0x3ff
	s_delay_alu instid0(SALU_CYCLE_1) | instskip(NEXT) | instid1(SALU_CYCLE_1)
	s_bitset1_b32 s0, 10
	s_mov_b32 m0, s0
	s_sendmsg sendmsg(MSG_INTERRUPT)
	s_mov_b32 m0, ttmp2
.LBB2_7736:                             ; =>This Inner Loop Header: Depth=1
	s_sethalt 5
	s_branch .LBB2_7736
.LBB2_7737:
	s_trap 2
	s_sendmsg_rtn_b32 s0, sendmsg(MSG_RTN_GET_DOORBELL)
	s_mov_b32 ttmp2, m0
	s_waitcnt lgkmcnt(0)
	s_and_b32 s0, s0, 0x3ff
	s_delay_alu instid0(SALU_CYCLE_1) | instskip(NEXT) | instid1(SALU_CYCLE_1)
	s_bitset1_b32 s0, 10
	s_mov_b32 m0, s0
	s_sendmsg sendmsg(MSG_INTERRUPT)
	s_mov_b32 m0, ttmp2
.LBB2_7738:                             ; =>This Inner Loop Header: Depth=1
	s_sethalt 5
	s_branch .LBB2_7738
.LBB2_7739:
	s_trap 2
	s_sendmsg_rtn_b32 s0, sendmsg(MSG_RTN_GET_DOORBELL)
	s_mov_b32 ttmp2, m0
	s_waitcnt lgkmcnt(0)
	s_and_b32 s0, s0, 0x3ff
	s_delay_alu instid0(SALU_CYCLE_1) | instskip(NEXT) | instid1(SALU_CYCLE_1)
	s_bitset1_b32 s0, 10
	s_mov_b32 m0, s0
	s_sendmsg sendmsg(MSG_INTERRUPT)
	s_mov_b32 m0, ttmp2
.LBB2_7740:                             ; =>This Inner Loop Header: Depth=1
	s_sethalt 5
	s_branch .LBB2_7740
.LBB2_7741:
	s_trap 2
	s_sendmsg_rtn_b32 s0, sendmsg(MSG_RTN_GET_DOORBELL)
	s_mov_b32 ttmp2, m0
	s_waitcnt lgkmcnt(0)
	s_and_b32 s0, s0, 0x3ff
	s_delay_alu instid0(SALU_CYCLE_1) | instskip(NEXT) | instid1(SALU_CYCLE_1)
	s_bitset1_b32 s0, 10
	s_mov_b32 m0, s0
	s_sendmsg sendmsg(MSG_INTERRUPT)
	s_mov_b32 m0, ttmp2
.LBB2_7742:                             ; =>This Inner Loop Header: Depth=1
	s_sethalt 5
	s_branch .LBB2_7742
.LBB2_7743:
	s_trap 2
	s_sendmsg_rtn_b32 s0, sendmsg(MSG_RTN_GET_DOORBELL)
	s_mov_b32 ttmp2, m0
	s_waitcnt lgkmcnt(0)
	s_and_b32 s0, s0, 0x3ff
	s_delay_alu instid0(SALU_CYCLE_1) | instskip(NEXT) | instid1(SALU_CYCLE_1)
	s_bitset1_b32 s0, 10
	s_mov_b32 m0, s0
	s_sendmsg sendmsg(MSG_INTERRUPT)
	s_mov_b32 m0, ttmp2
.LBB2_7744:                             ; =>This Inner Loop Header: Depth=1
	s_sethalt 5
	s_branch .LBB2_7744
.LBB2_7745:
	s_trap 2
	s_sendmsg_rtn_b32 s0, sendmsg(MSG_RTN_GET_DOORBELL)
	s_mov_b32 ttmp2, m0
	s_waitcnt lgkmcnt(0)
	s_and_b32 s0, s0, 0x3ff
	s_delay_alu instid0(SALU_CYCLE_1) | instskip(NEXT) | instid1(SALU_CYCLE_1)
	s_bitset1_b32 s0, 10
	s_mov_b32 m0, s0
	s_sendmsg sendmsg(MSG_INTERRUPT)
	s_mov_b32 m0, ttmp2
.LBB2_7746:                             ; =>This Inner Loop Header: Depth=1
	s_sethalt 5
	s_branch .LBB2_7746
.LBB2_7747:
	s_trap 2
	s_sendmsg_rtn_b32 s0, sendmsg(MSG_RTN_GET_DOORBELL)
	s_mov_b32 ttmp2, m0
	s_waitcnt lgkmcnt(0)
	s_and_b32 s0, s0, 0x3ff
	s_delay_alu instid0(SALU_CYCLE_1) | instskip(NEXT) | instid1(SALU_CYCLE_1)
	s_bitset1_b32 s0, 10
	s_mov_b32 m0, s0
	s_sendmsg sendmsg(MSG_INTERRUPT)
	s_mov_b32 m0, ttmp2
.LBB2_7748:                             ; =>This Inner Loop Header: Depth=1
	s_sethalt 5
	s_branch .LBB2_7748
.LBB2_7749:
	s_trap 2
	s_sendmsg_rtn_b32 s0, sendmsg(MSG_RTN_GET_DOORBELL)
	s_mov_b32 ttmp2, m0
	s_waitcnt lgkmcnt(0)
	s_and_b32 s0, s0, 0x3ff
	s_delay_alu instid0(SALU_CYCLE_1) | instskip(NEXT) | instid1(SALU_CYCLE_1)
	s_bitset1_b32 s0, 10
	s_mov_b32 m0, s0
	s_sendmsg sendmsg(MSG_INTERRUPT)
	s_mov_b32 m0, ttmp2
.LBB2_7750:                             ; =>This Inner Loop Header: Depth=1
	s_sethalt 5
	s_branch .LBB2_7750
.LBB2_7751:
	s_trap 2
	s_sendmsg_rtn_b32 s0, sendmsg(MSG_RTN_GET_DOORBELL)
	s_mov_b32 ttmp2, m0
	s_waitcnt lgkmcnt(0)
	s_and_b32 s0, s0, 0x3ff
	s_delay_alu instid0(SALU_CYCLE_1) | instskip(NEXT) | instid1(SALU_CYCLE_1)
	s_bitset1_b32 s0, 10
	s_mov_b32 m0, s0
	s_sendmsg sendmsg(MSG_INTERRUPT)
	s_mov_b32 m0, ttmp2
.LBB2_7752:                             ; =>This Inner Loop Header: Depth=1
	s_sethalt 5
	s_branch .LBB2_7752
.LBB2_7753:
	s_trap 2
	s_sendmsg_rtn_b32 s0, sendmsg(MSG_RTN_GET_DOORBELL)
	s_mov_b32 ttmp2, m0
	s_waitcnt lgkmcnt(0)
	s_and_b32 s0, s0, 0x3ff
	s_delay_alu instid0(SALU_CYCLE_1) | instskip(NEXT) | instid1(SALU_CYCLE_1)
	s_bitset1_b32 s0, 10
	s_mov_b32 m0, s0
	s_sendmsg sendmsg(MSG_INTERRUPT)
	s_mov_b32 m0, ttmp2
.LBB2_7754:                             ; =>This Inner Loop Header: Depth=1
	s_sethalt 5
	s_branch .LBB2_7754
.LBB2_7755:
	s_trap 2
	s_sendmsg_rtn_b32 s0, sendmsg(MSG_RTN_GET_DOORBELL)
	s_mov_b32 ttmp2, m0
	s_waitcnt lgkmcnt(0)
	s_and_b32 s0, s0, 0x3ff
	s_delay_alu instid0(SALU_CYCLE_1) | instskip(NEXT) | instid1(SALU_CYCLE_1)
	s_bitset1_b32 s0, 10
	s_mov_b32 m0, s0
	s_sendmsg sendmsg(MSG_INTERRUPT)
	s_mov_b32 m0, ttmp2
.LBB2_7756:                             ; =>This Inner Loop Header: Depth=1
	s_sethalt 5
	s_branch .LBB2_7756
.LBB2_7757:
	s_trap 2
	s_sendmsg_rtn_b32 s0, sendmsg(MSG_RTN_GET_DOORBELL)
	s_mov_b32 ttmp2, m0
	s_waitcnt lgkmcnt(0)
	s_and_b32 s0, s0, 0x3ff
	s_delay_alu instid0(SALU_CYCLE_1) | instskip(NEXT) | instid1(SALU_CYCLE_1)
	s_bitset1_b32 s0, 10
	s_mov_b32 m0, s0
	s_sendmsg sendmsg(MSG_INTERRUPT)
	s_mov_b32 m0, ttmp2
.LBB2_7758:                             ; =>This Inner Loop Header: Depth=1
	s_sethalt 5
	s_branch .LBB2_7758
.LBB2_7759:
	s_trap 2
	s_sendmsg_rtn_b32 s0, sendmsg(MSG_RTN_GET_DOORBELL)
	s_mov_b32 ttmp2, m0
	s_waitcnt lgkmcnt(0)
	s_and_b32 s0, s0, 0x3ff
	s_delay_alu instid0(SALU_CYCLE_1) | instskip(NEXT) | instid1(SALU_CYCLE_1)
	s_bitset1_b32 s0, 10
	s_mov_b32 m0, s0
	s_sendmsg sendmsg(MSG_INTERRUPT)
	s_mov_b32 m0, ttmp2
.LBB2_7760:                             ; =>This Inner Loop Header: Depth=1
	s_sethalt 5
	s_branch .LBB2_7760
.LBB2_7761:
	s_trap 2
	s_sendmsg_rtn_b32 s0, sendmsg(MSG_RTN_GET_DOORBELL)
	s_mov_b32 ttmp2, m0
	s_waitcnt lgkmcnt(0)
	s_and_b32 s0, s0, 0x3ff
	s_delay_alu instid0(SALU_CYCLE_1) | instskip(NEXT) | instid1(SALU_CYCLE_1)
	s_bitset1_b32 s0, 10
	s_mov_b32 m0, s0
	s_sendmsg sendmsg(MSG_INTERRUPT)
	s_mov_b32 m0, ttmp2
.LBB2_7762:                             ; =>This Inner Loop Header: Depth=1
	s_sethalt 5
	s_branch .LBB2_7762
.LBB2_7763:
	s_trap 2
	s_sendmsg_rtn_b32 s0, sendmsg(MSG_RTN_GET_DOORBELL)
	s_mov_b32 ttmp2, m0
	s_waitcnt lgkmcnt(0)
	s_and_b32 s0, s0, 0x3ff
	s_delay_alu instid0(SALU_CYCLE_1) | instskip(NEXT) | instid1(SALU_CYCLE_1)
	s_bitset1_b32 s0, 10
	s_mov_b32 m0, s0
	s_sendmsg sendmsg(MSG_INTERRUPT)
	s_mov_b32 m0, ttmp2
.LBB2_7764:                             ; =>This Inner Loop Header: Depth=1
	s_sethalt 5
	s_branch .LBB2_7764
.LBB2_7765:
	s_trap 2
	s_sendmsg_rtn_b32 s0, sendmsg(MSG_RTN_GET_DOORBELL)
	s_mov_b32 ttmp2, m0
	s_waitcnt lgkmcnt(0)
	s_and_b32 s0, s0, 0x3ff
	s_delay_alu instid0(SALU_CYCLE_1) | instskip(NEXT) | instid1(SALU_CYCLE_1)
	s_bitset1_b32 s0, 10
	s_mov_b32 m0, s0
	s_sendmsg sendmsg(MSG_INTERRUPT)
	s_mov_b32 m0, ttmp2
.LBB2_7766:                             ; =>This Inner Loop Header: Depth=1
	s_sethalt 5
	s_branch .LBB2_7766
.LBB2_7767:
	s_trap 2
	s_sendmsg_rtn_b32 s0, sendmsg(MSG_RTN_GET_DOORBELL)
	s_mov_b32 ttmp2, m0
	s_waitcnt lgkmcnt(0)
	s_and_b32 s0, s0, 0x3ff
	s_delay_alu instid0(SALU_CYCLE_1) | instskip(NEXT) | instid1(SALU_CYCLE_1)
	s_bitset1_b32 s0, 10
	s_mov_b32 m0, s0
	s_sendmsg sendmsg(MSG_INTERRUPT)
	s_mov_b32 m0, ttmp2
.LBB2_7768:                             ; =>This Inner Loop Header: Depth=1
	s_sethalt 5
	s_branch .LBB2_7768
.LBB2_7769:
	s_trap 2
	s_sendmsg_rtn_b32 s0, sendmsg(MSG_RTN_GET_DOORBELL)
	s_mov_b32 ttmp2, m0
	s_waitcnt lgkmcnt(0)
	s_and_b32 s0, s0, 0x3ff
	s_delay_alu instid0(SALU_CYCLE_1) | instskip(NEXT) | instid1(SALU_CYCLE_1)
	s_bitset1_b32 s0, 10
	s_mov_b32 m0, s0
	s_sendmsg sendmsg(MSG_INTERRUPT)
	s_mov_b32 m0, ttmp2
.LBB2_7770:                             ; =>This Inner Loop Header: Depth=1
	s_sethalt 5
	s_branch .LBB2_7770
.LBB2_7771:
	s_trap 2
	s_sendmsg_rtn_b32 s0, sendmsg(MSG_RTN_GET_DOORBELL)
	s_mov_b32 ttmp2, m0
	s_waitcnt lgkmcnt(0)
	s_and_b32 s0, s0, 0x3ff
	s_delay_alu instid0(SALU_CYCLE_1) | instskip(NEXT) | instid1(SALU_CYCLE_1)
	s_bitset1_b32 s0, 10
	s_mov_b32 m0, s0
	s_sendmsg sendmsg(MSG_INTERRUPT)
	s_mov_b32 m0, ttmp2
.LBB2_7772:                             ; =>This Inner Loop Header: Depth=1
	s_sethalt 5
	s_branch .LBB2_7772
.LBB2_7773:
	s_trap 2
	s_sendmsg_rtn_b32 s0, sendmsg(MSG_RTN_GET_DOORBELL)
	s_mov_b32 ttmp2, m0
	s_waitcnt lgkmcnt(0)
	s_and_b32 s0, s0, 0x3ff
	s_delay_alu instid0(SALU_CYCLE_1) | instskip(NEXT) | instid1(SALU_CYCLE_1)
	s_bitset1_b32 s0, 10
	s_mov_b32 m0, s0
	s_sendmsg sendmsg(MSG_INTERRUPT)
	s_mov_b32 m0, ttmp2
.LBB2_7774:                             ; =>This Inner Loop Header: Depth=1
	s_sethalt 5
	s_branch .LBB2_7774
.LBB2_7775:
	s_trap 2
	s_sendmsg_rtn_b32 s0, sendmsg(MSG_RTN_GET_DOORBELL)
	s_mov_b32 ttmp2, m0
	s_waitcnt lgkmcnt(0)
	s_and_b32 s0, s0, 0x3ff
	s_delay_alu instid0(SALU_CYCLE_1) | instskip(NEXT) | instid1(SALU_CYCLE_1)
	s_bitset1_b32 s0, 10
	s_mov_b32 m0, s0
	s_sendmsg sendmsg(MSG_INTERRUPT)
	s_mov_b32 m0, ttmp2
.LBB2_7776:                             ; =>This Inner Loop Header: Depth=1
	s_sethalt 5
	s_branch .LBB2_7776
.LBB2_7777:
	s_trap 2
	s_sendmsg_rtn_b32 s0, sendmsg(MSG_RTN_GET_DOORBELL)
	s_mov_b32 ttmp2, m0
	s_waitcnt lgkmcnt(0)
	s_and_b32 s0, s0, 0x3ff
	s_delay_alu instid0(SALU_CYCLE_1) | instskip(NEXT) | instid1(SALU_CYCLE_1)
	s_bitset1_b32 s0, 10
	s_mov_b32 m0, s0
	s_sendmsg sendmsg(MSG_INTERRUPT)
	s_mov_b32 m0, ttmp2
.LBB2_7778:                             ; =>This Inner Loop Header: Depth=1
	s_sethalt 5
	s_branch .LBB2_7778
.LBB2_7779:
	s_trap 2
	s_sendmsg_rtn_b32 s0, sendmsg(MSG_RTN_GET_DOORBELL)
	s_mov_b32 ttmp2, m0
	s_waitcnt lgkmcnt(0)
	s_and_b32 s0, s0, 0x3ff
	s_delay_alu instid0(SALU_CYCLE_1) | instskip(NEXT) | instid1(SALU_CYCLE_1)
	s_bitset1_b32 s0, 10
	s_mov_b32 m0, s0
	s_sendmsg sendmsg(MSG_INTERRUPT)
	s_mov_b32 m0, ttmp2
.LBB2_7780:                             ; =>This Inner Loop Header: Depth=1
	s_sethalt 5
	s_branch .LBB2_7780
.LBB2_7781:
	s_trap 2
	s_sendmsg_rtn_b32 s0, sendmsg(MSG_RTN_GET_DOORBELL)
	s_mov_b32 ttmp2, m0
	s_waitcnt lgkmcnt(0)
	s_and_b32 s0, s0, 0x3ff
	s_delay_alu instid0(SALU_CYCLE_1) | instskip(NEXT) | instid1(SALU_CYCLE_1)
	s_bitset1_b32 s0, 10
	s_mov_b32 m0, s0
	s_sendmsg sendmsg(MSG_INTERRUPT)
	s_mov_b32 m0, ttmp2
.LBB2_7782:                             ; =>This Inner Loop Header: Depth=1
	s_sethalt 5
	s_branch .LBB2_7782
.LBB2_7783:
	s_trap 2
	s_sendmsg_rtn_b32 s0, sendmsg(MSG_RTN_GET_DOORBELL)
	s_mov_b32 ttmp2, m0
	s_waitcnt lgkmcnt(0)
	s_and_b32 s0, s0, 0x3ff
	s_delay_alu instid0(SALU_CYCLE_1) | instskip(NEXT) | instid1(SALU_CYCLE_1)
	s_bitset1_b32 s0, 10
	s_mov_b32 m0, s0
	s_sendmsg sendmsg(MSG_INTERRUPT)
	s_mov_b32 m0, ttmp2
.LBB2_7784:                             ; =>This Inner Loop Header: Depth=1
	s_sethalt 5
	s_branch .LBB2_7784
.LBB2_7785:
	s_trap 2
	s_sendmsg_rtn_b32 s0, sendmsg(MSG_RTN_GET_DOORBELL)
	s_mov_b32 ttmp2, m0
	s_waitcnt lgkmcnt(0)
	s_and_b32 s0, s0, 0x3ff
	s_delay_alu instid0(SALU_CYCLE_1) | instskip(NEXT) | instid1(SALU_CYCLE_1)
	s_bitset1_b32 s0, 10
	s_mov_b32 m0, s0
	s_sendmsg sendmsg(MSG_INTERRUPT)
	s_mov_b32 m0, ttmp2
.LBB2_7786:                             ; =>This Inner Loop Header: Depth=1
	s_sethalt 5
	s_branch .LBB2_7786
.LBB2_7787:
	s_trap 2
	s_sendmsg_rtn_b32 s0, sendmsg(MSG_RTN_GET_DOORBELL)
	s_mov_b32 ttmp2, m0
	s_waitcnt lgkmcnt(0)
	s_and_b32 s0, s0, 0x3ff
	s_delay_alu instid0(SALU_CYCLE_1) | instskip(NEXT) | instid1(SALU_CYCLE_1)
	s_bitset1_b32 s0, 10
	s_mov_b32 m0, s0
	s_sendmsg sendmsg(MSG_INTERRUPT)
	s_mov_b32 m0, ttmp2
.LBB2_7788:                             ; =>This Inner Loop Header: Depth=1
	s_sethalt 5
	s_branch .LBB2_7788
.LBB2_7789:
	s_trap 2
	s_sendmsg_rtn_b32 s0, sendmsg(MSG_RTN_GET_DOORBELL)
	s_mov_b32 ttmp2, m0
	s_waitcnt lgkmcnt(0)
	s_and_b32 s0, s0, 0x3ff
	s_delay_alu instid0(SALU_CYCLE_1) | instskip(NEXT) | instid1(SALU_CYCLE_1)
	s_bitset1_b32 s0, 10
	s_mov_b32 m0, s0
	s_sendmsg sendmsg(MSG_INTERRUPT)
	s_mov_b32 m0, ttmp2
.LBB2_7790:                             ; =>This Inner Loop Header: Depth=1
	s_sethalt 5
	s_branch .LBB2_7790
.LBB2_7791:
	s_trap 2
	s_sendmsg_rtn_b32 s0, sendmsg(MSG_RTN_GET_DOORBELL)
	s_mov_b32 ttmp2, m0
	s_waitcnt lgkmcnt(0)
	s_and_b32 s0, s0, 0x3ff
	s_delay_alu instid0(SALU_CYCLE_1) | instskip(NEXT) | instid1(SALU_CYCLE_1)
	s_bitset1_b32 s0, 10
	s_mov_b32 m0, s0
	s_sendmsg sendmsg(MSG_INTERRUPT)
	s_mov_b32 m0, ttmp2
.LBB2_7792:                             ; =>This Inner Loop Header: Depth=1
	s_sethalt 5
	s_branch .LBB2_7792
.LBB2_7793:
	s_trap 2
	s_sendmsg_rtn_b32 s0, sendmsg(MSG_RTN_GET_DOORBELL)
	s_mov_b32 ttmp2, m0
	s_waitcnt lgkmcnt(0)
	s_and_b32 s0, s0, 0x3ff
	s_delay_alu instid0(SALU_CYCLE_1) | instskip(NEXT) | instid1(SALU_CYCLE_1)
	s_bitset1_b32 s0, 10
	s_mov_b32 m0, s0
	s_sendmsg sendmsg(MSG_INTERRUPT)
	s_mov_b32 m0, ttmp2
.LBB2_7794:                             ; =>This Inner Loop Header: Depth=1
	s_sethalt 5
	s_branch .LBB2_7794
.LBB2_7795:
	s_trap 2
	s_sendmsg_rtn_b32 s0, sendmsg(MSG_RTN_GET_DOORBELL)
	s_mov_b32 ttmp2, m0
	s_waitcnt lgkmcnt(0)
	s_and_b32 s0, s0, 0x3ff
	s_delay_alu instid0(SALU_CYCLE_1) | instskip(NEXT) | instid1(SALU_CYCLE_1)
	s_bitset1_b32 s0, 10
	s_mov_b32 m0, s0
	s_sendmsg sendmsg(MSG_INTERRUPT)
	s_mov_b32 m0, ttmp2
.LBB2_7796:                             ; =>This Inner Loop Header: Depth=1
	s_sethalt 5
	s_branch .LBB2_7796
.LBB2_7797:
	s_trap 2
	s_sendmsg_rtn_b32 s0, sendmsg(MSG_RTN_GET_DOORBELL)
	s_mov_b32 ttmp2, m0
	s_waitcnt lgkmcnt(0)
	s_and_b32 s0, s0, 0x3ff
	s_delay_alu instid0(SALU_CYCLE_1) | instskip(NEXT) | instid1(SALU_CYCLE_1)
	s_bitset1_b32 s0, 10
	s_mov_b32 m0, s0
	s_sendmsg sendmsg(MSG_INTERRUPT)
	s_mov_b32 m0, ttmp2
.LBB2_7798:                             ; =>This Inner Loop Header: Depth=1
	s_sethalt 5
	s_branch .LBB2_7798
.LBB2_7799:
	s_trap 2
	s_sendmsg_rtn_b32 s0, sendmsg(MSG_RTN_GET_DOORBELL)
	s_mov_b32 ttmp2, m0
	s_waitcnt lgkmcnt(0)
	s_and_b32 s0, s0, 0x3ff
	s_delay_alu instid0(SALU_CYCLE_1) | instskip(NEXT) | instid1(SALU_CYCLE_1)
	s_bitset1_b32 s0, 10
	s_mov_b32 m0, s0
	s_sendmsg sendmsg(MSG_INTERRUPT)
	s_mov_b32 m0, ttmp2
.LBB2_7800:                             ; =>This Inner Loop Header: Depth=1
	s_sethalt 5
	s_branch .LBB2_7800
.LBB2_7801:
	s_trap 2
	s_sendmsg_rtn_b32 s0, sendmsg(MSG_RTN_GET_DOORBELL)
	s_mov_b32 ttmp2, m0
	s_waitcnt lgkmcnt(0)
	s_and_b32 s0, s0, 0x3ff
	s_delay_alu instid0(SALU_CYCLE_1) | instskip(NEXT) | instid1(SALU_CYCLE_1)
	s_bitset1_b32 s0, 10
	s_mov_b32 m0, s0
	s_sendmsg sendmsg(MSG_INTERRUPT)
	s_mov_b32 m0, ttmp2
.LBB2_7802:                             ; =>This Inner Loop Header: Depth=1
	s_sethalt 5
	s_branch .LBB2_7802
.LBB2_7803:
	s_trap 2
	s_sendmsg_rtn_b32 s0, sendmsg(MSG_RTN_GET_DOORBELL)
	s_mov_b32 ttmp2, m0
	s_waitcnt lgkmcnt(0)
	s_and_b32 s0, s0, 0x3ff
	s_delay_alu instid0(SALU_CYCLE_1) | instskip(NEXT) | instid1(SALU_CYCLE_1)
	s_bitset1_b32 s0, 10
	s_mov_b32 m0, s0
	s_sendmsg sendmsg(MSG_INTERRUPT)
	s_mov_b32 m0, ttmp2
.LBB2_7804:                             ; =>This Inner Loop Header: Depth=1
	s_sethalt 5
	s_branch .LBB2_7804
.LBB2_7805:
	s_trap 2
	s_sendmsg_rtn_b32 s0, sendmsg(MSG_RTN_GET_DOORBELL)
	s_mov_b32 ttmp2, m0
	s_waitcnt lgkmcnt(0)
	s_and_b32 s0, s0, 0x3ff
	s_delay_alu instid0(SALU_CYCLE_1) | instskip(NEXT) | instid1(SALU_CYCLE_1)
	s_bitset1_b32 s0, 10
	s_mov_b32 m0, s0
	s_sendmsg sendmsg(MSG_INTERRUPT)
	s_mov_b32 m0, ttmp2
.LBB2_7806:                             ; =>This Inner Loop Header: Depth=1
	s_sethalt 5
	s_branch .LBB2_7806
.LBB2_7807:
	s_trap 2
	s_sendmsg_rtn_b32 s0, sendmsg(MSG_RTN_GET_DOORBELL)
	s_mov_b32 ttmp2, m0
	s_waitcnt lgkmcnt(0)
	s_and_b32 s0, s0, 0x3ff
	s_delay_alu instid0(SALU_CYCLE_1) | instskip(NEXT) | instid1(SALU_CYCLE_1)
	s_bitset1_b32 s0, 10
	s_mov_b32 m0, s0
	s_sendmsg sendmsg(MSG_INTERRUPT)
	s_mov_b32 m0, ttmp2
.LBB2_7808:                             ; =>This Inner Loop Header: Depth=1
	s_sethalt 5
	s_branch .LBB2_7808
.LBB2_7809:
	s_trap 2
	s_sendmsg_rtn_b32 s0, sendmsg(MSG_RTN_GET_DOORBELL)
	s_mov_b32 ttmp2, m0
	s_waitcnt lgkmcnt(0)
	s_and_b32 s0, s0, 0x3ff
	s_delay_alu instid0(SALU_CYCLE_1) | instskip(NEXT) | instid1(SALU_CYCLE_1)
	s_bitset1_b32 s0, 10
	s_mov_b32 m0, s0
	s_sendmsg sendmsg(MSG_INTERRUPT)
	s_mov_b32 m0, ttmp2
.LBB2_7810:                             ; =>This Inner Loop Header: Depth=1
	s_sethalt 5
	s_branch .LBB2_7810
.LBB2_7811:
	s_trap 2
	s_sendmsg_rtn_b32 s0, sendmsg(MSG_RTN_GET_DOORBELL)
	s_mov_b32 ttmp2, m0
	s_waitcnt lgkmcnt(0)
	s_and_b32 s0, s0, 0x3ff
	s_delay_alu instid0(SALU_CYCLE_1) | instskip(NEXT) | instid1(SALU_CYCLE_1)
	s_bitset1_b32 s0, 10
	s_mov_b32 m0, s0
	s_sendmsg sendmsg(MSG_INTERRUPT)
	s_mov_b32 m0, ttmp2
.LBB2_7812:                             ; =>This Inner Loop Header: Depth=1
	s_sethalt 5
	s_branch .LBB2_7812
.LBB2_7813:
	s_trap 2
	s_sendmsg_rtn_b32 s0, sendmsg(MSG_RTN_GET_DOORBELL)
	s_mov_b32 ttmp2, m0
	s_waitcnt lgkmcnt(0)
	s_and_b32 s0, s0, 0x3ff
	s_delay_alu instid0(SALU_CYCLE_1) | instskip(NEXT) | instid1(SALU_CYCLE_1)
	s_bitset1_b32 s0, 10
	s_mov_b32 m0, s0
	s_sendmsg sendmsg(MSG_INTERRUPT)
	s_mov_b32 m0, ttmp2
.LBB2_7814:                             ; =>This Inner Loop Header: Depth=1
	s_sethalt 5
	s_branch .LBB2_7814
.LBB2_7815:
	s_trap 2
	s_sendmsg_rtn_b32 s0, sendmsg(MSG_RTN_GET_DOORBELL)
	s_mov_b32 ttmp2, m0
	s_waitcnt lgkmcnt(0)
	s_and_b32 s0, s0, 0x3ff
	s_delay_alu instid0(SALU_CYCLE_1) | instskip(NEXT) | instid1(SALU_CYCLE_1)
	s_bitset1_b32 s0, 10
	s_mov_b32 m0, s0
	s_sendmsg sendmsg(MSG_INTERRUPT)
	s_mov_b32 m0, ttmp2
.LBB2_7816:                             ; =>This Inner Loop Header: Depth=1
	s_sethalt 5
	s_branch .LBB2_7816
.LBB2_7817:
	s_trap 2
	s_sendmsg_rtn_b32 s0, sendmsg(MSG_RTN_GET_DOORBELL)
	s_mov_b32 ttmp2, m0
	s_waitcnt lgkmcnt(0)
	s_and_b32 s0, s0, 0x3ff
	s_delay_alu instid0(SALU_CYCLE_1) | instskip(NEXT) | instid1(SALU_CYCLE_1)
	s_bitset1_b32 s0, 10
	s_mov_b32 m0, s0
	s_sendmsg sendmsg(MSG_INTERRUPT)
	s_mov_b32 m0, ttmp2
.LBB2_7818:                             ; =>This Inner Loop Header: Depth=1
	s_sethalt 5
	s_branch .LBB2_7818
.LBB2_7819:
	s_trap 2
	s_sendmsg_rtn_b32 s0, sendmsg(MSG_RTN_GET_DOORBELL)
	s_mov_b32 ttmp2, m0
	s_waitcnt lgkmcnt(0)
	s_and_b32 s0, s0, 0x3ff
	s_delay_alu instid0(SALU_CYCLE_1) | instskip(NEXT) | instid1(SALU_CYCLE_1)
	s_bitset1_b32 s0, 10
	s_mov_b32 m0, s0
	s_sendmsg sendmsg(MSG_INTERRUPT)
	s_mov_b32 m0, ttmp2
.LBB2_7820:                             ; =>This Inner Loop Header: Depth=1
	s_sethalt 5
	s_branch .LBB2_7820
.LBB2_7821:
	s_trap 2
	s_sendmsg_rtn_b32 s0, sendmsg(MSG_RTN_GET_DOORBELL)
	s_mov_b32 ttmp2, m0
	s_waitcnt lgkmcnt(0)
	s_and_b32 s0, s0, 0x3ff
	s_delay_alu instid0(SALU_CYCLE_1) | instskip(NEXT) | instid1(SALU_CYCLE_1)
	s_bitset1_b32 s0, 10
	s_mov_b32 m0, s0
	s_sendmsg sendmsg(MSG_INTERRUPT)
	s_mov_b32 m0, ttmp2
.LBB2_7822:                             ; =>This Inner Loop Header: Depth=1
	s_sethalt 5
	s_branch .LBB2_7822
.LBB2_7823:
	s_trap 2
	s_sendmsg_rtn_b32 s0, sendmsg(MSG_RTN_GET_DOORBELL)
	s_mov_b32 ttmp2, m0
	s_waitcnt lgkmcnt(0)
	s_and_b32 s0, s0, 0x3ff
	s_delay_alu instid0(SALU_CYCLE_1) | instskip(NEXT) | instid1(SALU_CYCLE_1)
	s_bitset1_b32 s0, 10
	s_mov_b32 m0, s0
	s_sendmsg sendmsg(MSG_INTERRUPT)
	s_mov_b32 m0, ttmp2
.LBB2_7824:                             ; =>This Inner Loop Header: Depth=1
	s_sethalt 5
	s_branch .LBB2_7824
.LBB2_7825:
	s_trap 2
	s_sendmsg_rtn_b32 s0, sendmsg(MSG_RTN_GET_DOORBELL)
	s_mov_b32 ttmp2, m0
	s_waitcnt lgkmcnt(0)
	s_and_b32 s0, s0, 0x3ff
	s_delay_alu instid0(SALU_CYCLE_1) | instskip(NEXT) | instid1(SALU_CYCLE_1)
	s_bitset1_b32 s0, 10
	s_mov_b32 m0, s0
	s_sendmsg sendmsg(MSG_INTERRUPT)
	s_mov_b32 m0, ttmp2
.LBB2_7826:                             ; =>This Inner Loop Header: Depth=1
	s_sethalt 5
	s_branch .LBB2_7826
.LBB2_7827:
	s_trap 2
	s_sendmsg_rtn_b32 s0, sendmsg(MSG_RTN_GET_DOORBELL)
	s_mov_b32 ttmp2, m0
	s_waitcnt lgkmcnt(0)
	s_and_b32 s0, s0, 0x3ff
	s_delay_alu instid0(SALU_CYCLE_1) | instskip(NEXT) | instid1(SALU_CYCLE_1)
	s_bitset1_b32 s0, 10
	s_mov_b32 m0, s0
	s_sendmsg sendmsg(MSG_INTERRUPT)
	s_mov_b32 m0, ttmp2
.LBB2_7828:                             ; =>This Inner Loop Header: Depth=1
	s_sethalt 5
	s_branch .LBB2_7828
.LBB2_7829:
	s_trap 2
	s_sendmsg_rtn_b32 s0, sendmsg(MSG_RTN_GET_DOORBELL)
	s_mov_b32 ttmp2, m0
	s_waitcnt lgkmcnt(0)
	s_and_b32 s0, s0, 0x3ff
	s_delay_alu instid0(SALU_CYCLE_1) | instskip(NEXT) | instid1(SALU_CYCLE_1)
	s_bitset1_b32 s0, 10
	s_mov_b32 m0, s0
	s_sendmsg sendmsg(MSG_INTERRUPT)
	s_mov_b32 m0, ttmp2
.LBB2_7830:                             ; =>This Inner Loop Header: Depth=1
	s_sethalt 5
	s_branch .LBB2_7830
.LBB2_7831:
	s_trap 2
	s_sendmsg_rtn_b32 s0, sendmsg(MSG_RTN_GET_DOORBELL)
	s_mov_b32 ttmp2, m0
	s_waitcnt lgkmcnt(0)
	s_and_b32 s0, s0, 0x3ff
	s_delay_alu instid0(SALU_CYCLE_1) | instskip(NEXT) | instid1(SALU_CYCLE_1)
	s_bitset1_b32 s0, 10
	s_mov_b32 m0, s0
	s_sendmsg sendmsg(MSG_INTERRUPT)
	s_mov_b32 m0, ttmp2
.LBB2_7832:                             ; =>This Inner Loop Header: Depth=1
	s_sethalt 5
	s_branch .LBB2_7832
.LBB2_7833:
	s_trap 2
	s_sendmsg_rtn_b32 s0, sendmsg(MSG_RTN_GET_DOORBELL)
	s_mov_b32 ttmp2, m0
	s_waitcnt lgkmcnt(0)
	s_and_b32 s0, s0, 0x3ff
	s_delay_alu instid0(SALU_CYCLE_1) | instskip(NEXT) | instid1(SALU_CYCLE_1)
	s_bitset1_b32 s0, 10
	s_mov_b32 m0, s0
	s_sendmsg sendmsg(MSG_INTERRUPT)
	s_mov_b32 m0, ttmp2
.LBB2_7834:                             ; =>This Inner Loop Header: Depth=1
	s_sethalt 5
	s_branch .LBB2_7834
.LBB2_7835:
	s_trap 2
	s_sendmsg_rtn_b32 s0, sendmsg(MSG_RTN_GET_DOORBELL)
	s_mov_b32 ttmp2, m0
	s_waitcnt lgkmcnt(0)
	s_and_b32 s0, s0, 0x3ff
	s_delay_alu instid0(SALU_CYCLE_1) | instskip(NEXT) | instid1(SALU_CYCLE_1)
	s_bitset1_b32 s0, 10
	s_mov_b32 m0, s0
	s_sendmsg sendmsg(MSG_INTERRUPT)
	s_mov_b32 m0, ttmp2
.LBB2_7836:                             ; =>This Inner Loop Header: Depth=1
	s_sethalt 5
	s_branch .LBB2_7836
.LBB2_7837:
	s_trap 2
	s_sendmsg_rtn_b32 s0, sendmsg(MSG_RTN_GET_DOORBELL)
	s_mov_b32 ttmp2, m0
	s_waitcnt lgkmcnt(0)
	s_and_b32 s0, s0, 0x3ff
	s_delay_alu instid0(SALU_CYCLE_1) | instskip(NEXT) | instid1(SALU_CYCLE_1)
	s_bitset1_b32 s0, 10
	s_mov_b32 m0, s0
	s_sendmsg sendmsg(MSG_INTERRUPT)
	s_mov_b32 m0, ttmp2
.LBB2_7838:                             ; =>This Inner Loop Header: Depth=1
	s_sethalt 5
	s_branch .LBB2_7838
.LBB2_7839:
	s_trap 2
	s_sendmsg_rtn_b32 s0, sendmsg(MSG_RTN_GET_DOORBELL)
	s_mov_b32 ttmp2, m0
	s_waitcnt lgkmcnt(0)
	s_and_b32 s0, s0, 0x3ff
	s_delay_alu instid0(SALU_CYCLE_1) | instskip(NEXT) | instid1(SALU_CYCLE_1)
	s_bitset1_b32 s0, 10
	s_mov_b32 m0, s0
	s_sendmsg sendmsg(MSG_INTERRUPT)
	s_mov_b32 m0, ttmp2
.LBB2_7840:                             ; =>This Inner Loop Header: Depth=1
	s_sethalt 5
	s_branch .LBB2_7840
.LBB2_7841:
	s_trap 2
	s_sendmsg_rtn_b32 s0, sendmsg(MSG_RTN_GET_DOORBELL)
	s_mov_b32 ttmp2, m0
	s_waitcnt lgkmcnt(0)
	s_and_b32 s0, s0, 0x3ff
	s_delay_alu instid0(SALU_CYCLE_1) | instskip(NEXT) | instid1(SALU_CYCLE_1)
	s_bitset1_b32 s0, 10
	s_mov_b32 m0, s0
	s_sendmsg sendmsg(MSG_INTERRUPT)
	s_mov_b32 m0, ttmp2
.LBB2_7842:                             ; =>This Inner Loop Header: Depth=1
	s_sethalt 5
	s_branch .LBB2_7842
.LBB2_7843:
	s_trap 2
	s_sendmsg_rtn_b32 s0, sendmsg(MSG_RTN_GET_DOORBELL)
	s_mov_b32 ttmp2, m0
	s_waitcnt lgkmcnt(0)
	s_and_b32 s0, s0, 0x3ff
	s_delay_alu instid0(SALU_CYCLE_1) | instskip(NEXT) | instid1(SALU_CYCLE_1)
	s_bitset1_b32 s0, 10
	s_mov_b32 m0, s0
	s_sendmsg sendmsg(MSG_INTERRUPT)
	s_mov_b32 m0, ttmp2
.LBB2_7844:                             ; =>This Inner Loop Header: Depth=1
	s_sethalt 5
	s_branch .LBB2_7844
.LBB2_7845:
	s_trap 2
	s_sendmsg_rtn_b32 s0, sendmsg(MSG_RTN_GET_DOORBELL)
	s_mov_b32 ttmp2, m0
	s_waitcnt lgkmcnt(0)
	s_and_b32 s0, s0, 0x3ff
	s_delay_alu instid0(SALU_CYCLE_1) | instskip(NEXT) | instid1(SALU_CYCLE_1)
	s_bitset1_b32 s0, 10
	s_mov_b32 m0, s0
	s_sendmsg sendmsg(MSG_INTERRUPT)
	s_mov_b32 m0, ttmp2
.LBB2_7846:                             ; =>This Inner Loop Header: Depth=1
	s_sethalt 5
	s_branch .LBB2_7846
.LBB2_7847:
	s_trap 2
	s_sendmsg_rtn_b32 s0, sendmsg(MSG_RTN_GET_DOORBELL)
	s_mov_b32 ttmp2, m0
	s_waitcnt lgkmcnt(0)
	s_and_b32 s0, s0, 0x3ff
	s_delay_alu instid0(SALU_CYCLE_1) | instskip(NEXT) | instid1(SALU_CYCLE_1)
	s_bitset1_b32 s0, 10
	s_mov_b32 m0, s0
	s_sendmsg sendmsg(MSG_INTERRUPT)
	s_mov_b32 m0, ttmp2
.LBB2_7848:                             ; =>This Inner Loop Header: Depth=1
	s_sethalt 5
	s_branch .LBB2_7848
.LBB2_7849:
	s_trap 2
	s_sendmsg_rtn_b32 s0, sendmsg(MSG_RTN_GET_DOORBELL)
	s_mov_b32 ttmp2, m0
	s_waitcnt lgkmcnt(0)
	s_and_b32 s0, s0, 0x3ff
	s_delay_alu instid0(SALU_CYCLE_1) | instskip(NEXT) | instid1(SALU_CYCLE_1)
	s_bitset1_b32 s0, 10
	s_mov_b32 m0, s0
	s_sendmsg sendmsg(MSG_INTERRUPT)
	s_mov_b32 m0, ttmp2
.LBB2_7850:                             ; =>This Inner Loop Header: Depth=1
	s_sethalt 5
	s_branch .LBB2_7850
.LBB2_7851:
	s_trap 2
	s_sendmsg_rtn_b32 s0, sendmsg(MSG_RTN_GET_DOORBELL)
	s_mov_b32 ttmp2, m0
	s_waitcnt lgkmcnt(0)
	s_and_b32 s0, s0, 0x3ff
	s_delay_alu instid0(SALU_CYCLE_1) | instskip(NEXT) | instid1(SALU_CYCLE_1)
	s_bitset1_b32 s0, 10
	s_mov_b32 m0, s0
	s_sendmsg sendmsg(MSG_INTERRUPT)
	s_mov_b32 m0, ttmp2
.LBB2_7852:                             ; =>This Inner Loop Header: Depth=1
	s_sethalt 5
	s_branch .LBB2_7852
.LBB2_7853:
	s_trap 2
	s_sendmsg_rtn_b32 s0, sendmsg(MSG_RTN_GET_DOORBELL)
	s_mov_b32 ttmp2, m0
	s_waitcnt lgkmcnt(0)
	s_and_b32 s0, s0, 0x3ff
	s_delay_alu instid0(SALU_CYCLE_1) | instskip(NEXT) | instid1(SALU_CYCLE_1)
	s_bitset1_b32 s0, 10
	s_mov_b32 m0, s0
	s_sendmsg sendmsg(MSG_INTERRUPT)
	s_mov_b32 m0, ttmp2
.LBB2_7854:                             ; =>This Inner Loop Header: Depth=1
	s_sethalt 5
	s_branch .LBB2_7854
.LBB2_7855:
	s_trap 2
	s_sendmsg_rtn_b32 s0, sendmsg(MSG_RTN_GET_DOORBELL)
	s_mov_b32 ttmp2, m0
	s_waitcnt lgkmcnt(0)
	s_and_b32 s0, s0, 0x3ff
	s_delay_alu instid0(SALU_CYCLE_1) | instskip(NEXT) | instid1(SALU_CYCLE_1)
	s_bitset1_b32 s0, 10
	s_mov_b32 m0, s0
	s_sendmsg sendmsg(MSG_INTERRUPT)
	s_mov_b32 m0, ttmp2
.LBB2_7856:                             ; =>This Inner Loop Header: Depth=1
	s_sethalt 5
	s_branch .LBB2_7856
.LBB2_7857:
	s_trap 2
	s_sendmsg_rtn_b32 s0, sendmsg(MSG_RTN_GET_DOORBELL)
	s_mov_b32 ttmp2, m0
	s_waitcnt lgkmcnt(0)
	s_and_b32 s0, s0, 0x3ff
	s_delay_alu instid0(SALU_CYCLE_1) | instskip(NEXT) | instid1(SALU_CYCLE_1)
	s_bitset1_b32 s0, 10
	s_mov_b32 m0, s0
	s_sendmsg sendmsg(MSG_INTERRUPT)
	s_mov_b32 m0, ttmp2
.LBB2_7858:                             ; =>This Inner Loop Header: Depth=1
	s_sethalt 5
	s_branch .LBB2_7858
.LBB2_7859:
	s_trap 2
	s_sendmsg_rtn_b32 s0, sendmsg(MSG_RTN_GET_DOORBELL)
	s_mov_b32 ttmp2, m0
	s_waitcnt lgkmcnt(0)
	s_and_b32 s0, s0, 0x3ff
	s_delay_alu instid0(SALU_CYCLE_1) | instskip(NEXT) | instid1(SALU_CYCLE_1)
	s_bitset1_b32 s0, 10
	s_mov_b32 m0, s0
	s_sendmsg sendmsg(MSG_INTERRUPT)
	s_mov_b32 m0, ttmp2
.LBB2_7860:                             ; =>This Inner Loop Header: Depth=1
	s_sethalt 5
	s_branch .LBB2_7860
.LBB2_7861:
	s_trap 2
	s_sendmsg_rtn_b32 s0, sendmsg(MSG_RTN_GET_DOORBELL)
	s_mov_b32 ttmp2, m0
	s_waitcnt lgkmcnt(0)
	s_and_b32 s0, s0, 0x3ff
	s_delay_alu instid0(SALU_CYCLE_1) | instskip(NEXT) | instid1(SALU_CYCLE_1)
	s_bitset1_b32 s0, 10
	s_mov_b32 m0, s0
	s_sendmsg sendmsg(MSG_INTERRUPT)
	s_mov_b32 m0, ttmp2
.LBB2_7862:                             ; =>This Inner Loop Header: Depth=1
	s_sethalt 5
	s_branch .LBB2_7862
.LBB2_7863:
	s_trap 2
	s_sendmsg_rtn_b32 s0, sendmsg(MSG_RTN_GET_DOORBELL)
	s_mov_b32 ttmp2, m0
	s_waitcnt lgkmcnt(0)
	s_and_b32 s0, s0, 0x3ff
	s_delay_alu instid0(SALU_CYCLE_1) | instskip(NEXT) | instid1(SALU_CYCLE_1)
	s_bitset1_b32 s0, 10
	s_mov_b32 m0, s0
	s_sendmsg sendmsg(MSG_INTERRUPT)
	s_mov_b32 m0, ttmp2
.LBB2_7864:                             ; =>This Inner Loop Header: Depth=1
	s_sethalt 5
	s_branch .LBB2_7864
.LBB2_7865:
	s_trap 2
	s_sendmsg_rtn_b32 s0, sendmsg(MSG_RTN_GET_DOORBELL)
	s_mov_b32 ttmp2, m0
	s_waitcnt lgkmcnt(0)
	s_and_b32 s0, s0, 0x3ff
	s_delay_alu instid0(SALU_CYCLE_1) | instskip(NEXT) | instid1(SALU_CYCLE_1)
	s_bitset1_b32 s0, 10
	s_mov_b32 m0, s0
	s_sendmsg sendmsg(MSG_INTERRUPT)
	s_mov_b32 m0, ttmp2
.LBB2_7866:                             ; =>This Inner Loop Header: Depth=1
	s_sethalt 5
	s_branch .LBB2_7866
.LBB2_7867:
	s_trap 2
	s_sendmsg_rtn_b32 s0, sendmsg(MSG_RTN_GET_DOORBELL)
	s_mov_b32 ttmp2, m0
	s_waitcnt lgkmcnt(0)
	s_and_b32 s0, s0, 0x3ff
	s_delay_alu instid0(SALU_CYCLE_1) | instskip(NEXT) | instid1(SALU_CYCLE_1)
	s_bitset1_b32 s0, 10
	s_mov_b32 m0, s0
	s_sendmsg sendmsg(MSG_INTERRUPT)
	s_mov_b32 m0, ttmp2
.LBB2_7868:                             ; =>This Inner Loop Header: Depth=1
	s_sethalt 5
	s_branch .LBB2_7868
.LBB2_7869:
	s_trap 2
	s_sendmsg_rtn_b32 s0, sendmsg(MSG_RTN_GET_DOORBELL)
	s_mov_b32 ttmp2, m0
	s_waitcnt lgkmcnt(0)
	s_and_b32 s0, s0, 0x3ff
	s_delay_alu instid0(SALU_CYCLE_1) | instskip(NEXT) | instid1(SALU_CYCLE_1)
	s_bitset1_b32 s0, 10
	s_mov_b32 m0, s0
	s_sendmsg sendmsg(MSG_INTERRUPT)
	s_mov_b32 m0, ttmp2
.LBB2_7870:                             ; =>This Inner Loop Header: Depth=1
	s_sethalt 5
	s_branch .LBB2_7870
.LBB2_7871:
	s_trap 2
	s_sendmsg_rtn_b32 s0, sendmsg(MSG_RTN_GET_DOORBELL)
	s_mov_b32 ttmp2, m0
	s_waitcnt lgkmcnt(0)
	s_and_b32 s0, s0, 0x3ff
	s_delay_alu instid0(SALU_CYCLE_1) | instskip(NEXT) | instid1(SALU_CYCLE_1)
	s_bitset1_b32 s0, 10
	s_mov_b32 m0, s0
	s_sendmsg sendmsg(MSG_INTERRUPT)
	s_mov_b32 m0, ttmp2
.LBB2_7872:                             ; =>This Inner Loop Header: Depth=1
	s_sethalt 5
	s_branch .LBB2_7872
.LBB2_7873:
	s_trap 2
	s_sendmsg_rtn_b32 s0, sendmsg(MSG_RTN_GET_DOORBELL)
	s_mov_b32 ttmp2, m0
	s_waitcnt lgkmcnt(0)
	s_and_b32 s0, s0, 0x3ff
	s_delay_alu instid0(SALU_CYCLE_1) | instskip(NEXT) | instid1(SALU_CYCLE_1)
	s_bitset1_b32 s0, 10
	s_mov_b32 m0, s0
	s_sendmsg sendmsg(MSG_INTERRUPT)
	s_mov_b32 m0, ttmp2
.LBB2_7874:                             ; =>This Inner Loop Header: Depth=1
	s_sethalt 5
	s_branch .LBB2_7874
.LBB2_7875:
	s_trap 2
	s_sendmsg_rtn_b32 s0, sendmsg(MSG_RTN_GET_DOORBELL)
	s_mov_b32 ttmp2, m0
	s_waitcnt lgkmcnt(0)
	s_and_b32 s0, s0, 0x3ff
	s_delay_alu instid0(SALU_CYCLE_1) | instskip(NEXT) | instid1(SALU_CYCLE_1)
	s_bitset1_b32 s0, 10
	s_mov_b32 m0, s0
	s_sendmsg sendmsg(MSG_INTERRUPT)
	s_mov_b32 m0, ttmp2
.LBB2_7876:                             ; =>This Inner Loop Header: Depth=1
	s_sethalt 5
	s_branch .LBB2_7876
.LBB2_7877:
	s_trap 2
	s_sendmsg_rtn_b32 s0, sendmsg(MSG_RTN_GET_DOORBELL)
	s_mov_b32 ttmp2, m0
	s_waitcnt lgkmcnt(0)
	s_and_b32 s0, s0, 0x3ff
	s_delay_alu instid0(SALU_CYCLE_1) | instskip(NEXT) | instid1(SALU_CYCLE_1)
	s_bitset1_b32 s0, 10
	s_mov_b32 m0, s0
	s_sendmsg sendmsg(MSG_INTERRUPT)
	s_mov_b32 m0, ttmp2
.LBB2_7878:                             ; =>This Inner Loop Header: Depth=1
	s_sethalt 5
	s_branch .LBB2_7878
.LBB2_7879:
	s_trap 2
	s_sendmsg_rtn_b32 s0, sendmsg(MSG_RTN_GET_DOORBELL)
	s_mov_b32 ttmp2, m0
	s_waitcnt lgkmcnt(0)
	s_and_b32 s0, s0, 0x3ff
	s_delay_alu instid0(SALU_CYCLE_1) | instskip(NEXT) | instid1(SALU_CYCLE_1)
	s_bitset1_b32 s0, 10
	s_mov_b32 m0, s0
	s_sendmsg sendmsg(MSG_INTERRUPT)
	s_mov_b32 m0, ttmp2
.LBB2_7880:                             ; =>This Inner Loop Header: Depth=1
	s_sethalt 5
	s_branch .LBB2_7880
.LBB2_7881:
	s_trap 2
	s_sendmsg_rtn_b32 s0, sendmsg(MSG_RTN_GET_DOORBELL)
	s_mov_b32 ttmp2, m0
	s_waitcnt lgkmcnt(0)
	s_and_b32 s0, s0, 0x3ff
	s_delay_alu instid0(SALU_CYCLE_1) | instskip(NEXT) | instid1(SALU_CYCLE_1)
	s_bitset1_b32 s0, 10
	s_mov_b32 m0, s0
	s_sendmsg sendmsg(MSG_INTERRUPT)
	s_mov_b32 m0, ttmp2
.LBB2_7882:                             ; =>This Inner Loop Header: Depth=1
	s_sethalt 5
	s_branch .LBB2_7882
.LBB2_7883:
	s_trap 2
	s_sendmsg_rtn_b32 s0, sendmsg(MSG_RTN_GET_DOORBELL)
	s_mov_b32 ttmp2, m0
	s_waitcnt lgkmcnt(0)
	s_and_b32 s0, s0, 0x3ff
	s_delay_alu instid0(SALU_CYCLE_1) | instskip(NEXT) | instid1(SALU_CYCLE_1)
	s_bitset1_b32 s0, 10
	s_mov_b32 m0, s0
	s_sendmsg sendmsg(MSG_INTERRUPT)
	s_mov_b32 m0, ttmp2
.LBB2_7884:                             ; =>This Inner Loop Header: Depth=1
	s_sethalt 5
	s_branch .LBB2_7884
.LBB2_7885:
	s_trap 2
	s_sendmsg_rtn_b32 s0, sendmsg(MSG_RTN_GET_DOORBELL)
	s_mov_b32 ttmp2, m0
	s_waitcnt lgkmcnt(0)
	s_and_b32 s0, s0, 0x3ff
	s_delay_alu instid0(SALU_CYCLE_1) | instskip(NEXT) | instid1(SALU_CYCLE_1)
	s_bitset1_b32 s0, 10
	s_mov_b32 m0, s0
	s_sendmsg sendmsg(MSG_INTERRUPT)
	s_mov_b32 m0, ttmp2
.LBB2_7886:                             ; =>This Inner Loop Header: Depth=1
	s_sethalt 5
	s_branch .LBB2_7886
.LBB2_7887:
	s_trap 2
	s_sendmsg_rtn_b32 s0, sendmsg(MSG_RTN_GET_DOORBELL)
	s_mov_b32 ttmp2, m0
	s_waitcnt lgkmcnt(0)
	s_and_b32 s0, s0, 0x3ff
	s_delay_alu instid0(SALU_CYCLE_1) | instskip(NEXT) | instid1(SALU_CYCLE_1)
	s_bitset1_b32 s0, 10
	s_mov_b32 m0, s0
	s_sendmsg sendmsg(MSG_INTERRUPT)
	s_mov_b32 m0, ttmp2
.LBB2_7888:                             ; =>This Inner Loop Header: Depth=1
	s_sethalt 5
	s_branch .LBB2_7888
.LBB2_7889:
	s_trap 2
	s_sendmsg_rtn_b32 s0, sendmsg(MSG_RTN_GET_DOORBELL)
	s_mov_b32 ttmp2, m0
	s_waitcnt lgkmcnt(0)
	s_and_b32 s0, s0, 0x3ff
	s_delay_alu instid0(SALU_CYCLE_1) | instskip(NEXT) | instid1(SALU_CYCLE_1)
	s_bitset1_b32 s0, 10
	s_mov_b32 m0, s0
	s_sendmsg sendmsg(MSG_INTERRUPT)
	s_mov_b32 m0, ttmp2
.LBB2_7890:                             ; =>This Inner Loop Header: Depth=1
	s_sethalt 5
	s_branch .LBB2_7890
.LBB2_7891:
	s_trap 2
	s_sendmsg_rtn_b32 s0, sendmsg(MSG_RTN_GET_DOORBELL)
	s_mov_b32 ttmp2, m0
	s_waitcnt lgkmcnt(0)
	s_and_b32 s0, s0, 0x3ff
	s_delay_alu instid0(SALU_CYCLE_1) | instskip(NEXT) | instid1(SALU_CYCLE_1)
	s_bitset1_b32 s0, 10
	s_mov_b32 m0, s0
	s_sendmsg sendmsg(MSG_INTERRUPT)
	s_mov_b32 m0, ttmp2
.LBB2_7892:                             ; =>This Inner Loop Header: Depth=1
	s_sethalt 5
	s_branch .LBB2_7892
.LBB2_7893:
	s_trap 2
	s_sendmsg_rtn_b32 s0, sendmsg(MSG_RTN_GET_DOORBELL)
	s_mov_b32 ttmp2, m0
	s_waitcnt lgkmcnt(0)
	s_and_b32 s0, s0, 0x3ff
	s_delay_alu instid0(SALU_CYCLE_1) | instskip(NEXT) | instid1(SALU_CYCLE_1)
	s_bitset1_b32 s0, 10
	s_mov_b32 m0, s0
	s_sendmsg sendmsg(MSG_INTERRUPT)
	s_mov_b32 m0, ttmp2
.LBB2_7894:                             ; =>This Inner Loop Header: Depth=1
	s_sethalt 5
	s_branch .LBB2_7894
.LBB2_7895:
	s_trap 2
	s_sendmsg_rtn_b32 s0, sendmsg(MSG_RTN_GET_DOORBELL)
	s_mov_b32 ttmp2, m0
	s_waitcnt lgkmcnt(0)
	s_and_b32 s0, s0, 0x3ff
	s_delay_alu instid0(SALU_CYCLE_1) | instskip(NEXT) | instid1(SALU_CYCLE_1)
	s_bitset1_b32 s0, 10
	s_mov_b32 m0, s0
	s_sendmsg sendmsg(MSG_INTERRUPT)
	s_mov_b32 m0, ttmp2
.LBB2_7896:                             ; =>This Inner Loop Header: Depth=1
	s_sethalt 5
	s_branch .LBB2_7896
.LBB2_7897:
	s_trap 2
	s_sendmsg_rtn_b32 s0, sendmsg(MSG_RTN_GET_DOORBELL)
	s_mov_b32 ttmp2, m0
	s_waitcnt lgkmcnt(0)
	s_and_b32 s0, s0, 0x3ff
	s_delay_alu instid0(SALU_CYCLE_1) | instskip(NEXT) | instid1(SALU_CYCLE_1)
	s_bitset1_b32 s0, 10
	s_mov_b32 m0, s0
	s_sendmsg sendmsg(MSG_INTERRUPT)
	s_mov_b32 m0, ttmp2
.LBB2_7898:                             ; =>This Inner Loop Header: Depth=1
	s_sethalt 5
	s_branch .LBB2_7898
.LBB2_7899:
	s_trap 2
	s_sendmsg_rtn_b32 s0, sendmsg(MSG_RTN_GET_DOORBELL)
	s_mov_b32 ttmp2, m0
	s_waitcnt lgkmcnt(0)
	s_and_b32 s0, s0, 0x3ff
	s_delay_alu instid0(SALU_CYCLE_1) | instskip(NEXT) | instid1(SALU_CYCLE_1)
	s_bitset1_b32 s0, 10
	s_mov_b32 m0, s0
	s_sendmsg sendmsg(MSG_INTERRUPT)
	s_mov_b32 m0, ttmp2
.LBB2_7900:                             ; =>This Inner Loop Header: Depth=1
	s_sethalt 5
	s_branch .LBB2_7900
.LBB2_7901:
	s_trap 2
	s_sendmsg_rtn_b32 s0, sendmsg(MSG_RTN_GET_DOORBELL)
	s_mov_b32 ttmp2, m0
	s_waitcnt lgkmcnt(0)
	s_and_b32 s0, s0, 0x3ff
	s_delay_alu instid0(SALU_CYCLE_1) | instskip(NEXT) | instid1(SALU_CYCLE_1)
	s_bitset1_b32 s0, 10
	s_mov_b32 m0, s0
	s_sendmsg sendmsg(MSG_INTERRUPT)
	s_mov_b32 m0, ttmp2
.LBB2_7902:                             ; =>This Inner Loop Header: Depth=1
	s_sethalt 5
	s_branch .LBB2_7902
.LBB2_7903:
	s_trap 2
	s_sendmsg_rtn_b32 s0, sendmsg(MSG_RTN_GET_DOORBELL)
	s_mov_b32 ttmp2, m0
	s_waitcnt lgkmcnt(0)
	s_and_b32 s0, s0, 0x3ff
	s_delay_alu instid0(SALU_CYCLE_1) | instskip(NEXT) | instid1(SALU_CYCLE_1)
	s_bitset1_b32 s0, 10
	s_mov_b32 m0, s0
	s_sendmsg sendmsg(MSG_INTERRUPT)
	s_mov_b32 m0, ttmp2
.LBB2_7904:                             ; =>This Inner Loop Header: Depth=1
	s_sethalt 5
	s_branch .LBB2_7904
.LBB2_7905:
	s_trap 2
	s_sendmsg_rtn_b32 s0, sendmsg(MSG_RTN_GET_DOORBELL)
	s_mov_b32 ttmp2, m0
	s_waitcnt lgkmcnt(0)
	s_and_b32 s0, s0, 0x3ff
	s_delay_alu instid0(SALU_CYCLE_1) | instskip(NEXT) | instid1(SALU_CYCLE_1)
	s_bitset1_b32 s0, 10
	s_mov_b32 m0, s0
	s_sendmsg sendmsg(MSG_INTERRUPT)
	s_mov_b32 m0, ttmp2
.LBB2_7906:                             ; =>This Inner Loop Header: Depth=1
	s_sethalt 5
	s_branch .LBB2_7906
.LBB2_7907:
	s_trap 2
	s_sendmsg_rtn_b32 s0, sendmsg(MSG_RTN_GET_DOORBELL)
	s_mov_b32 ttmp2, m0
	s_waitcnt lgkmcnt(0)
	s_and_b32 s0, s0, 0x3ff
	s_delay_alu instid0(SALU_CYCLE_1) | instskip(NEXT) | instid1(SALU_CYCLE_1)
	s_bitset1_b32 s0, 10
	s_mov_b32 m0, s0
	s_sendmsg sendmsg(MSG_INTERRUPT)
	s_mov_b32 m0, ttmp2
.LBB2_7908:                             ; =>This Inner Loop Header: Depth=1
	s_sethalt 5
	s_branch .LBB2_7908
.LBB2_7909:
	s_trap 2
	s_sendmsg_rtn_b32 s0, sendmsg(MSG_RTN_GET_DOORBELL)
	s_mov_b32 ttmp2, m0
	s_waitcnt lgkmcnt(0)
	s_and_b32 s0, s0, 0x3ff
	s_delay_alu instid0(SALU_CYCLE_1) | instskip(NEXT) | instid1(SALU_CYCLE_1)
	s_bitset1_b32 s0, 10
	s_mov_b32 m0, s0
	s_sendmsg sendmsg(MSG_INTERRUPT)
	s_mov_b32 m0, ttmp2
.LBB2_7910:                             ; =>This Inner Loop Header: Depth=1
	s_sethalt 5
	s_branch .LBB2_7910
.LBB2_7911:
	s_trap 2
	s_sendmsg_rtn_b32 s0, sendmsg(MSG_RTN_GET_DOORBELL)
	s_mov_b32 ttmp2, m0
	s_waitcnt lgkmcnt(0)
	s_and_b32 s0, s0, 0x3ff
	s_delay_alu instid0(SALU_CYCLE_1) | instskip(NEXT) | instid1(SALU_CYCLE_1)
	s_bitset1_b32 s0, 10
	s_mov_b32 m0, s0
	s_sendmsg sendmsg(MSG_INTERRUPT)
	s_mov_b32 m0, ttmp2
.LBB2_7912:                             ; =>This Inner Loop Header: Depth=1
	s_sethalt 5
	s_branch .LBB2_7912
.LBB2_7913:
	s_trap 2
	s_sendmsg_rtn_b32 s0, sendmsg(MSG_RTN_GET_DOORBELL)
	s_mov_b32 ttmp2, m0
	s_waitcnt lgkmcnt(0)
	s_and_b32 s0, s0, 0x3ff
	s_delay_alu instid0(SALU_CYCLE_1) | instskip(NEXT) | instid1(SALU_CYCLE_1)
	s_bitset1_b32 s0, 10
	s_mov_b32 m0, s0
	s_sendmsg sendmsg(MSG_INTERRUPT)
	s_mov_b32 m0, ttmp2
.LBB2_7914:                             ; =>This Inner Loop Header: Depth=1
	s_sethalt 5
	s_branch .LBB2_7914
.LBB2_7915:
	s_trap 2
	s_sendmsg_rtn_b32 s0, sendmsg(MSG_RTN_GET_DOORBELL)
	s_mov_b32 ttmp2, m0
	s_waitcnt lgkmcnt(0)
	s_and_b32 s0, s0, 0x3ff
	s_delay_alu instid0(SALU_CYCLE_1) | instskip(NEXT) | instid1(SALU_CYCLE_1)
	s_bitset1_b32 s0, 10
	s_mov_b32 m0, s0
	s_sendmsg sendmsg(MSG_INTERRUPT)
	s_mov_b32 m0, ttmp2
.LBB2_7916:                             ; =>This Inner Loop Header: Depth=1
	s_sethalt 5
	s_branch .LBB2_7916
.LBB2_7917:
	s_trap 2
	s_sendmsg_rtn_b32 s0, sendmsg(MSG_RTN_GET_DOORBELL)
	s_mov_b32 ttmp2, m0
	s_waitcnt lgkmcnt(0)
	s_and_b32 s0, s0, 0x3ff
	s_delay_alu instid0(SALU_CYCLE_1) | instskip(NEXT) | instid1(SALU_CYCLE_1)
	s_bitset1_b32 s0, 10
	s_mov_b32 m0, s0
	s_sendmsg sendmsg(MSG_INTERRUPT)
	s_mov_b32 m0, ttmp2
.LBB2_7918:                             ; =>This Inner Loop Header: Depth=1
	s_sethalt 5
	s_branch .LBB2_7918
.LBB2_7919:
	s_trap 2
	s_sendmsg_rtn_b32 s0, sendmsg(MSG_RTN_GET_DOORBELL)
	s_mov_b32 ttmp2, m0
	s_waitcnt lgkmcnt(0)
	s_and_b32 s0, s0, 0x3ff
	s_delay_alu instid0(SALU_CYCLE_1) | instskip(NEXT) | instid1(SALU_CYCLE_1)
	s_bitset1_b32 s0, 10
	s_mov_b32 m0, s0
	s_sendmsg sendmsg(MSG_INTERRUPT)
	s_mov_b32 m0, ttmp2
.LBB2_7920:                             ; =>This Inner Loop Header: Depth=1
	s_sethalt 5
	s_branch .LBB2_7920
.LBB2_7921:
	s_trap 2
	s_sendmsg_rtn_b32 s0, sendmsg(MSG_RTN_GET_DOORBELL)
	s_mov_b32 ttmp2, m0
	s_waitcnt lgkmcnt(0)
	s_and_b32 s0, s0, 0x3ff
	s_delay_alu instid0(SALU_CYCLE_1) | instskip(NEXT) | instid1(SALU_CYCLE_1)
	s_bitset1_b32 s0, 10
	s_mov_b32 m0, s0
	s_sendmsg sendmsg(MSG_INTERRUPT)
	s_mov_b32 m0, ttmp2
.LBB2_7922:                             ; =>This Inner Loop Header: Depth=1
	s_sethalt 5
	s_branch .LBB2_7922
.LBB2_7923:
	s_trap 2
	s_sendmsg_rtn_b32 s0, sendmsg(MSG_RTN_GET_DOORBELL)
	s_mov_b32 ttmp2, m0
	s_waitcnt lgkmcnt(0)
	s_and_b32 s0, s0, 0x3ff
	s_delay_alu instid0(SALU_CYCLE_1) | instskip(NEXT) | instid1(SALU_CYCLE_1)
	s_bitset1_b32 s0, 10
	s_mov_b32 m0, s0
	s_sendmsg sendmsg(MSG_INTERRUPT)
	s_mov_b32 m0, ttmp2
.LBB2_7924:                             ; =>This Inner Loop Header: Depth=1
	s_sethalt 5
	s_branch .LBB2_7924
.LBB2_7925:
	s_trap 2
	s_sendmsg_rtn_b32 s0, sendmsg(MSG_RTN_GET_DOORBELL)
	s_mov_b32 ttmp2, m0
	s_waitcnt lgkmcnt(0)
	s_and_b32 s0, s0, 0x3ff
	s_delay_alu instid0(SALU_CYCLE_1) | instskip(NEXT) | instid1(SALU_CYCLE_1)
	s_bitset1_b32 s0, 10
	s_mov_b32 m0, s0
	s_sendmsg sendmsg(MSG_INTERRUPT)
	s_mov_b32 m0, ttmp2
.LBB2_7926:                             ; =>This Inner Loop Header: Depth=1
	s_sethalt 5
	s_branch .LBB2_7926
.LBB2_7927:
	s_trap 2
	s_sendmsg_rtn_b32 s0, sendmsg(MSG_RTN_GET_DOORBELL)
	s_mov_b32 ttmp2, m0
	s_waitcnt lgkmcnt(0)
	s_and_b32 s0, s0, 0x3ff
	s_delay_alu instid0(SALU_CYCLE_1) | instskip(NEXT) | instid1(SALU_CYCLE_1)
	s_bitset1_b32 s0, 10
	s_mov_b32 m0, s0
	s_sendmsg sendmsg(MSG_INTERRUPT)
	s_mov_b32 m0, ttmp2
.LBB2_7928:                             ; =>This Inner Loop Header: Depth=1
	s_sethalt 5
	s_branch .LBB2_7928
.LBB2_7929:
	s_trap 2
	s_sendmsg_rtn_b32 s0, sendmsg(MSG_RTN_GET_DOORBELL)
	s_mov_b32 ttmp2, m0
	s_waitcnt lgkmcnt(0)
	s_and_b32 s0, s0, 0x3ff
	s_delay_alu instid0(SALU_CYCLE_1) | instskip(NEXT) | instid1(SALU_CYCLE_1)
	s_bitset1_b32 s0, 10
	s_mov_b32 m0, s0
	s_sendmsg sendmsg(MSG_INTERRUPT)
	s_mov_b32 m0, ttmp2
.LBB2_7930:                             ; =>This Inner Loop Header: Depth=1
	s_sethalt 5
	s_branch .LBB2_7930
.LBB2_7931:
	s_trap 2
	s_sendmsg_rtn_b32 s0, sendmsg(MSG_RTN_GET_DOORBELL)
	s_mov_b32 ttmp2, m0
	s_waitcnt lgkmcnt(0)
	s_and_b32 s0, s0, 0x3ff
	s_delay_alu instid0(SALU_CYCLE_1) | instskip(NEXT) | instid1(SALU_CYCLE_1)
	s_bitset1_b32 s0, 10
	s_mov_b32 m0, s0
	s_sendmsg sendmsg(MSG_INTERRUPT)
	s_mov_b32 m0, ttmp2
.LBB2_7932:                             ; =>This Inner Loop Header: Depth=1
	s_sethalt 5
	s_branch .LBB2_7932
.LBB2_7933:
	s_trap 2
	s_sendmsg_rtn_b32 s0, sendmsg(MSG_RTN_GET_DOORBELL)
	s_mov_b32 ttmp2, m0
	s_waitcnt lgkmcnt(0)
	s_and_b32 s0, s0, 0x3ff
	s_delay_alu instid0(SALU_CYCLE_1) | instskip(NEXT) | instid1(SALU_CYCLE_1)
	s_bitset1_b32 s0, 10
	s_mov_b32 m0, s0
	s_sendmsg sendmsg(MSG_INTERRUPT)
	s_mov_b32 m0, ttmp2
.LBB2_7934:                             ; =>This Inner Loop Header: Depth=1
	s_sethalt 5
	s_branch .LBB2_7934
.Lfunc_end2:
	.size	_ZN12_GLOBAL__N_17runRingI12rccl_bfloat813FuncPreMulSumIS1_E11ProtoSimpleILi2ELi2ELi0ELi1ELi0ELi0EELi0ELi0ELi1ELi0EEEviiP15ncclDevWorkColl, .Lfunc_end2-_ZN12_GLOBAL__N_17runRingI12rccl_bfloat813FuncPreMulSumIS1_E11ProtoSimpleILi2ELi2ELi0ELi1ELi0ELi0EELi0ELi0ELi1ELi0EEEviiP15ncclDevWorkColl
                                        ; -- End function
	.section	.AMDGPU.csdata,"",@progbits
; Function info:
; codeLenInByte = 313976
; NumSgprs: 52
; NumVgprs: 184
; ScratchSize: 96
; MemoryBound: 1
	.text
	.p2align	2                               ; -- Begin function _Z56ncclDevFunc_AllReduce_RING_SIMPLE_PreMulSum_f8e5m2_0_0_1v
	.type	_Z56ncclDevFunc_AllReduce_RING_SIMPLE_PreMulSum_f8e5m2_0_0_1v,@function
_Z56ncclDevFunc_AllReduce_RING_SIMPLE_PreMulSum_f8e5m2_0_0_1v: ; @_Z56ncclDevFunc_AllReduce_RING_SIMPLE_PreMulSum_f8e5m2_0_0_1v
; %bb.0:
	s_waitcnt vmcnt(0) expcnt(0) lgkmcnt(0)
	s_mov_b32 s0, s33
	s_mov_b32 s33, s32
	s_or_saveexec_b32 s1, -1
	scratch_store_b32 off, v42, s33 offset:16 ; 4-byte Folded Spill
	s_mov_b32 exec_lo, s1
	v_writelane_b32 v42, s0, 22
	s_add_i32 s32, s32, 32
	s_clause 0x3
	scratch_store_b32 off, v40, s33 offset:12
	; meta instruction
	scratch_store_b32 off, v41, s33 offset:8
	; meta instruction
	;; [unrolled: 2-line block ×3, first 2 shown]
	scratch_store_b32 off, v46, s33
	v_writelane_b32 v42, s34, 0
	v_writelane_b32 v42, s35, 1
	v_writelane_b32 v42, s36, 2
	v_writelane_b32 v42, s37, 3
	v_writelane_b32 v42, s38, 4
	v_writelane_b32 v42, s39, 5
	v_writelane_b32 v42, s40, 6
	v_writelane_b32 v42, s41, 7
	v_writelane_b32 v42, s42, 8
	v_writelane_b32 v42, s43, 9
	v_writelane_b32 v42, s44, 10
	v_writelane_b32 v42, s45, 11
	v_writelane_b32 v42, s46, 12
	v_writelane_b32 v42, s47, 13
	v_writelane_b32 v42, s48, 14
	v_writelane_b32 v42, s49, 15
	v_writelane_b32 v42, s50, 16
	v_writelane_b32 v42, s51, 17
	v_writelane_b32 v42, s52, 18
	v_writelane_b32 v42, s53, 19
	v_writelane_b32 v42, s30, 20
	v_writelane_b32 v42, s31, 21
	s_cbranch_execnz .LBB3_7
; %bb.1:
	ds_load_b32 v0, v0
	v_and_b32_e32 v40, 0x3ff, v31
	s_mov_b32 s0, exec_lo
	s_waitcnt lgkmcnt(0)
	s_delay_alu instid0(VALU_DEP_1)
	v_cmpx_lt_i32_e64 v40, v0
	s_cbranch_execz .LBB3_9
; %bb.2:
	s_load_b32 s1, s[8:9], 0x0
	v_mov_b32_e32 v1, 0
	s_waitcnt lgkmcnt(0)
	s_cmp_lt_u32 s12, s1
	s_cselect_b32 s1, 12, 18
	s_delay_alu instid0(SALU_CYCLE_1)
	s_add_u32 s2, s8, s1
	s_addc_u32 s3, s9, 0
	s_mov_b32 s1, 0
	global_load_u16 v1, v1, s[2:3]
	s_cbranch_execnz .LBB3_24
; %bb.3:
	ds_load_b32 v2, v0
	v_mov_b32_e32 v3, v40
	s_mov_b32 s2, 0
                                        ; implicit-def: $vgpr4
	s_waitcnt vmcnt(0) lgkmcnt(0)
	v_mul_lo_u32 v2, v2, v1
	s_branch .LBB3_5
	.p2align	6
.LBB3_4:                                ;   in Loop: Header=BB3_5 Depth=1
	s_or_b32 exec_lo, exec_lo, s3
	v_add_nc_u32_e32 v3, v3, v1
	v_add_nc_u32_e32 v4, v4, v2
	s_delay_alu instid0(VALU_DEP_2) | instskip(SKIP_1) | instid1(SALU_CYCLE_1)
	v_cmp_ge_i32_e32 vcc_lo, v3, v0
	s_or_b32 s1, vcc_lo, s1
	s_and_not1_b32 exec_lo, exec_lo, s1
	s_cbranch_execz .LBB3_9
.LBB3_5:                                ; =>This Inner Loop Header: Depth=1
	ds_load_b32 v5, v4
	s_mov_b32 s3, exec_lo
	s_waitcnt lgkmcnt(0)
	v_and_b32_e32 v5, 0x1000000, v5
	s_delay_alu instid0(VALU_DEP_1)
	v_cmpx_ne_u32_e32 0, v5
	s_cbranch_execz .LBB3_4
; %bb.6:                                ;   in Loop: Header=BB3_5 Depth=1
	ds_load_b64 v[5:6], v4 offset:104
	s_waitcnt lgkmcnt(0)
	flat_load_u8 v5, v[5:6]
	s_waitcnt vmcnt(0) lgkmcnt(0)
	v_dual_mov_b32 v6, s2 :: v_dual_and_b32 v5, 0xffff, v5
	ds_store_b64 v4, v[5:6] offset:104
	s_branch .LBB3_4
.LBB3_7:
	s_trap 2
	s_sendmsg_rtn_b32 s0, sendmsg(MSG_RTN_GET_DOORBELL)
	s_mov_b32 ttmp2, m0
	s_waitcnt lgkmcnt(0)
	s_and_b32 s0, s0, 0x3ff
	s_delay_alu instid0(SALU_CYCLE_1) | instskip(NEXT) | instid1(SALU_CYCLE_1)
	s_bitset1_b32 s0, 10
	s_mov_b32 m0, s0
	s_sendmsg sendmsg(MSG_INTERRUPT)
	s_mov_b32 m0, ttmp2
.LBB3_8:                                ; =>This Inner Loop Header: Depth=1
	s_sethalt 5
	s_branch .LBB3_8
.LBB3_9:
	s_or_b32 exec_lo, exec_lo, s0
	s_waitcnt lgkmcnt(0)
	s_waitcnt_vscnt null, 0x0
	s_barrier
	buffer_gl0_inv
	s_cbranch_execnz .LBB3_22
; %bb.10:
	ds_load_b32 v0, v0
	s_waitcnt lgkmcnt(0)
	v_cmp_gt_i32_e32 vcc_lo, 1, v0
	s_cbranch_vccnz .LBB3_21
; %bb.11:
	s_mov_b32 s52, 0
	s_mov_b64 s[50:51], src_shared_base
.LBB3_12:                               ; =>This Inner Loop Header: Depth=1
	s_cbranch_execnz .LBB3_26
; %bb.13:                               ;   in Loop: Header=BB3_12 Depth=1
	ds_load_b32 v0, v0
	s_cmp_eq_u32 s52, 0
	s_cbranch_scc1 .LBB3_17
; %bb.14:                               ;   in Loop: Header=BB3_12 Depth=1
	s_cbranch_execnz .LBB3_30
; %bb.15:                               ;   in Loop: Header=BB3_12 Depth=1
	s_waitcnt lgkmcnt(0)
	ds_load_b32 v1, v0
	s_waitcnt lgkmcnt(0)
	v_xor_b32_e32 v1, v1, v0
	s_delay_alu instid0(VALU_DEP_1) | instskip(NEXT) | instid1(VALU_DEP_1)
	v_and_b32_e32 v1, 0xff0000, v1
	v_cmp_eq_u32_e32 vcc_lo, 0, v1
	s_cbranch_vccnz .LBB3_17
; %bb.16:                               ;   in Loop: Header=BB3_12 Depth=1
	s_waitcnt_vscnt null, 0x0
	s_barrier
	buffer_gl0_inv
	ds_load_b32 v0, v0
.LBB3_17:                               ;   in Loop: Header=BB3_12 Depth=1
	s_waitcnt lgkmcnt(0)
	v_lshrrev_b32_e32 v0, 11, v0
	s_mov_b32 s53, exec_lo
	s_delay_alu instid0(VALU_DEP_1) | instskip(NEXT) | instid1(VALU_DEP_1)
	v_and_b32_e32 v1, 0x1fe0, v0
	v_cmpx_lt_u32_e64 v40, v1
	s_cbranch_execz .LBB3_19
; %bb.18:                               ;   in Loop: Header=BB3_12 Depth=1
	v_dual_mov_b32 v41, v31 :: v_dual_mov_b32 v0, v40
	v_mov_b32_e32 v3, s51
	s_getpc_b64 s[0:1]
	s_add_u32 s0, s0, _ZN12_GLOBAL__N_17runRingI12rccl_bfloat813FuncPreMulSumIS1_E11ProtoSimpleILi2ELi2ELi0ELi1ELi0ELi0EELi0ELi0ELi1ELi0EEEviiP15ncclDevWorkColl@rel32@lo+4
	s_addc_u32 s1, s1, _ZN12_GLOBAL__N_17runRingI12rccl_bfloat813FuncPreMulSumIS1_E11ProtoSimpleILi2ELi2ELi0ELi1ELi0ELi0EELi0ELi0ELi1ELi0EEEviiP15ncclDevWorkColl@rel32@hi+12
	s_mov_b64 s[46:47], s[8:9]
	s_mov_b32 s50, s12
	s_swappc_b64 s[30:31], s[0:1]
	v_mov_b32_e32 v31, v41
	s_mov_b32 s12, s50
	s_mov_b64 s[8:9], s[46:47]
.LBB3_19:                               ;   in Loop: Header=BB3_12 Depth=1
	s_or_b32 exec_lo, exec_lo, s53
	s_cbranch_execnz .LBB3_28
; %bb.20:                               ;   in Loop: Header=BB3_12 Depth=1
	ds_load_b32 v0, v0
	s_add_i32 s52, s52, 1
	s_waitcnt lgkmcnt(0)
	v_cmp_lt_i32_e32 vcc_lo, s52, v0
	s_cbranch_vccnz .LBB3_12
.LBB3_21:
	s_clause 0x3
	scratch_load_b32 v46, off, s33
	scratch_load_b32 v45, off, s33 offset:4
	scratch_load_b32 v41, off, s33 offset:8
	;; [unrolled: 1-line block ×3, first 2 shown]
	v_readlane_b32 s30, v42, 20
	v_readlane_b32 s31, v42, 21
	;; [unrolled: 1-line block ×23, first 2 shown]
	s_or_saveexec_b32 s1, -1
	scratch_load_b32 v42, off, s33 offset:16 ; 4-byte Folded Reload
	s_mov_b32 exec_lo, s1
	s_addk_i32 s32, 0xffe0
	s_mov_b32 s33, s0
	s_waitcnt vmcnt(0)
	s_setpc_b64 s[30:31]
.LBB3_22:
	s_trap 2
	s_sendmsg_rtn_b32 s0, sendmsg(MSG_RTN_GET_DOORBELL)
	s_mov_b32 ttmp2, m0
	s_waitcnt lgkmcnt(0)
	s_and_b32 s0, s0, 0x3ff
	s_delay_alu instid0(SALU_CYCLE_1) | instskip(NEXT) | instid1(SALU_CYCLE_1)
	s_bitset1_b32 s0, 10
	s_mov_b32 m0, s0
	s_sendmsg sendmsg(MSG_INTERRUPT)
	s_mov_b32 m0, ttmp2
.LBB3_23:                               ; =>This Inner Loop Header: Depth=1
	s_sethalt 5
	s_branch .LBB3_23
.LBB3_24:
	s_trap 2
	s_sendmsg_rtn_b32 s0, sendmsg(MSG_RTN_GET_DOORBELL)
	s_mov_b32 ttmp2, m0
	s_waitcnt lgkmcnt(0)
	s_and_b32 s0, s0, 0x3ff
	s_delay_alu instid0(SALU_CYCLE_1) | instskip(NEXT) | instid1(SALU_CYCLE_1)
	s_bitset1_b32 s0, 10
	s_mov_b32 m0, s0
	s_sendmsg sendmsg(MSG_INTERRUPT)
	s_mov_b32 m0, ttmp2
.LBB3_25:                               ; =>This Inner Loop Header: Depth=1
	s_sethalt 5
	s_branch .LBB3_25
.LBB3_26:
	s_trap 2
	s_sendmsg_rtn_b32 s0, sendmsg(MSG_RTN_GET_DOORBELL)
	s_mov_b32 ttmp2, m0
	s_waitcnt lgkmcnt(0)
	s_and_b32 s0, s0, 0x3ff
	s_delay_alu instid0(SALU_CYCLE_1) | instskip(NEXT) | instid1(SALU_CYCLE_1)
	s_bitset1_b32 s0, 10
	s_mov_b32 m0, s0
	s_sendmsg sendmsg(MSG_INTERRUPT)
	s_mov_b32 m0, ttmp2
.LBB3_27:                               ; =>This Inner Loop Header: Depth=1
	s_sethalt 5
	s_branch .LBB3_27
.LBB3_28:
	s_trap 2
	s_sendmsg_rtn_b32 s0, sendmsg(MSG_RTN_GET_DOORBELL)
	s_mov_b32 ttmp2, m0
	s_waitcnt lgkmcnt(0)
	s_and_b32 s0, s0, 0x3ff
	s_delay_alu instid0(SALU_CYCLE_1) | instskip(NEXT) | instid1(SALU_CYCLE_1)
	s_bitset1_b32 s0, 10
	s_mov_b32 m0, s0
	s_sendmsg sendmsg(MSG_INTERRUPT)
	s_mov_b32 m0, ttmp2
.LBB3_29:                               ; =>This Inner Loop Header: Depth=1
	s_sethalt 5
	s_branch .LBB3_29
.LBB3_30:
	s_trap 2
	s_sendmsg_rtn_b32 s0, sendmsg(MSG_RTN_GET_DOORBELL)
	s_mov_b32 ttmp2, m0
	s_waitcnt lgkmcnt(0)
	s_and_b32 s0, s0, 0x3ff
	s_delay_alu instid0(SALU_CYCLE_1) | instskip(NEXT) | instid1(SALU_CYCLE_1)
	s_bitset1_b32 s0, 10
	s_mov_b32 m0, s0
	s_sendmsg sendmsg(MSG_INTERRUPT)
	s_mov_b32 m0, ttmp2
.LBB3_31:                               ; =>This Inner Loop Header: Depth=1
	s_sethalt 5
	s_branch .LBB3_31
.Lfunc_end3:
	.size	_Z56ncclDevFunc_AllReduce_RING_SIMPLE_PreMulSum_f8e5m2_0_0_1v, .Lfunc_end3-_Z56ncclDevFunc_AllReduce_RING_SIMPLE_PreMulSum_f8e5m2_0_0_1v
                                        ; -- End function
	.section	.AMDGPU.csdata,"",@progbits
; Function info:
; codeLenInByte = 1328
; NumSgprs: 56
; NumVgprs: 184
; ScratchSize: 128
; MemoryBound: 0
	.text
	.p2align	2                               ; -- Begin function _ZN12_GLOBAL__N_17runRingI12rccl_bfloat813FuncPreMulSumIS1_E11ProtoSimpleILi2ELi2ELi0ELi2ELi0ELi0EELi0ELi0ELi2ELi0EEEviiP15ncclDevWorkColl
	.type	_ZN12_GLOBAL__N_17runRingI12rccl_bfloat813FuncPreMulSumIS1_E11ProtoSimpleILi2ELi2ELi0ELi2ELi0ELi0EELi0ELi0ELi2ELi0EEEviiP15ncclDevWorkColl,@function
_ZN12_GLOBAL__N_17runRingI12rccl_bfloat813FuncPreMulSumIS1_E11ProtoSimpleILi2ELi2ELi0ELi2ELi0ELi0EELi0ELi0ELi2ELi0EEEviiP15ncclDevWorkColl: ; @_ZN12_GLOBAL__N_17runRingI12rccl_bfloat813FuncPreMulSumIS1_E11ProtoSimpleILi2ELi2ELi0ELi2ELi0ELi0EELi0ELi0ELi2ELi0EEEviiP15ncclDevWorkColl
; %bb.0:
	s_waitcnt vmcnt(0) expcnt(0) lgkmcnt(0)
	s_mov_b32 s0, s33
	s_mov_b32 s33, s32
	s_or_saveexec_b32 s1, -1
	s_clause 0x1
	scratch_store_b32 off, v121, s33 offset:164
	; meta instruction
	scratch_store_b32 off, v122, s33 offset:168
	s_mov_b32 exec_lo, s1
	v_writelane_b32 v121, s0, 14
	s_addk_i32 s32, 0xb0
	s_clause 0x1f
	scratch_store_b32 off, v40, s33 offset:160
	; meta instruction
	scratch_store_b32 off, v41, s33 offset:156
	; meta instruction
	;; [unrolled: 2-line block ×31, first 2 shown]
	scratch_store_b32 off, v95, s33 offset:36
	s_clause 0x8
	scratch_store_b32 off, v104, s33 offset:32
	; meta instruction
	scratch_store_b32 off, v105, s33 offset:28
	; meta instruction
	;; [unrolled: 2-line block ×8, first 2 shown]
	scratch_store_b32 off, v120, s33
	v_writelane_b32 v121, s34, 0
	v_writelane_b32 v121, s35, 1
	;; [unrolled: 1-line block ×14, first 2 shown]
	s_cbranch_execz .LBB4_1
; %bb.11451:
	s_getpc_b64 s[48:49]
.Lpost_getpc134:
	s_add_u32 s48, s48, (.LBB4_10897-.Lpost_getpc134)&4294967295
	s_addc_u32 s49, s49, (.LBB4_10897-.Lpost_getpc134)>>32
	s_setpc_b64 s[48:49]
.LBB4_1:
	flat_load_b32 v7, v[2:3]
	ds_load_b32 v6, v0
	s_mov_b32 s0, exec_lo
                                        ; implicit-def: $vgpr14_vgpr15
                                        ; implicit-def: $vgpr16_vgpr17
                                        ; implicit-def: $vgpr4_vgpr5
	s_waitcnt lgkmcnt(0)
	v_readfirstlane_b32 s19, v6
	s_waitcnt vmcnt(0)
	v_and_b32_e32 v8, 0xff, v7
	s_delay_alu instid0(VALU_DEP_1)
	v_cmpx_ne_u32_e64 v8, v6
	s_xor_b32 s0, exec_lo, s0
	s_cbranch_execz .LBB4_2
; %bb.11453:
	s_getpc_b64 s[48:49]
.Lpost_getpc135:
	s_add_u32 s48, s48, (.LBB4_10899-.Lpost_getpc135)&4294967295
	s_addc_u32 s49, s49, (.LBB4_10899-.Lpost_getpc135)>>32
	s_setpc_b64 s[48:49]
.LBB4_2:
	s_and_not1_saveexec_b32 s0, s0
	s_cbranch_execz .LBB4_3
; %bb.11455:
	s_getpc_b64 s[48:49]
.Lpost_getpc136:
	s_add_u32 s48, s48, (.LBB4_10904-.Lpost_getpc136)&4294967295
	s_addc_u32 s49, s49, (.LBB4_10904-.Lpost_getpc136)>>32
	s_setpc_b64 s[48:49]
.LBB4_3:
	s_or_b32 exec_lo, exec_lo, s0
	s_cbranch_execz .LBB4_4
; %bb.11457:
	s_getpc_b64 s[48:49]
.Lpost_getpc137:
	s_add_u32 s48, s48, (.LBB4_10905-.Lpost_getpc137)&4294967295
	s_addc_u32 s49, s49, (.LBB4_10905-.Lpost_getpc137)>>32
	s_setpc_b64 s[48:49]
.LBB4_4:
	ds_load_b64 v[6:7], v0
	s_mov_b32 s1, exec_lo
	s_waitcnt lgkmcnt(0)
	v_cmp_ne_u32_e32 vcc_lo, -1, v6
	v_cndmask_b32_e64 v15, 0, 1, vcc_lo
	v_cmp_ne_u32_e32 vcc_lo, -1, v7
	s_delay_alu instid0(VALU_DEP_2) | instskip(NEXT) | instid1(VALU_DEP_1)
	v_add_co_ci_u32_e64 v8, s0, 0, v15, vcc_lo
	v_lshlrev_b32_e32 v6, 1, v8
	s_delay_alu instid0(VALU_DEP_1)
	v_cmpx_le_i32_e64 v6, v1
	s_xor_b32 s18, exec_lo, s1
	s_cbranch_execnz .LBB4_5
; %bb.11459:
	s_getpc_b64 s[48:49]
.Lpost_getpc138:
	s_add_u32 s48, s48, (.LBB4_11150-.Lpost_getpc138)&4294967295
	s_addc_u32 s49, s49, (.LBB4_11150-.Lpost_getpc138)>>32
	s_setpc_b64 s[48:49]
.LBB4_5:
	s_clause 0x3
	flat_load_b64 v[32:33], v[2:3] offset:104
	flat_load_b128 v[10:13], v[2:3] offset:16
	flat_load_u16 v7, v[2:3] offset:8
	flat_load_b32 v6, v[2:3] offset:4
	s_cbranch_execz .LBB4_6
; %bb.11461:
	s_getpc_b64 s[48:49]
.Lpost_getpc139:
	s_add_u32 s48, s48, (.LBB4_10907-.Lpost_getpc139)&4294967295
	s_addc_u32 s49, s49, (.LBB4_10907-.Lpost_getpc139)>>32
	s_setpc_b64 s[48:49]
.LBB4_6:
	s_load_b32 s0, s[8:9], 0x0
	v_dual_mov_b32 v9, 0 :: v_dual_mov_b32 v30, 4
	s_waitcnt lgkmcnt(0)
	s_cmp_lt_u32 s12, s0
	s_cselect_b32 s0, 12, 18
	s_delay_alu instid0(SALU_CYCLE_1)
	s_add_u32 s0, s8, s0
	s_addc_u32 s1, s9, 0
	global_load_u16 v36, v9, s[0:1]
	ds_load_b32 v9, v0
	s_mov_b32 s1, exec_lo
	s_waitcnt lgkmcnt(0)
	v_readfirstlane_b32 s5, v9
	v_cmpx_ge_i32_e64 v0, v15
	s_cbranch_execz .LBB4_16
; %bb.7:
	v_cmp_le_u32_e64 s0, v8, v0
                                        ; implicit-def: $vgpr30
	s_delay_alu instid0(VALU_DEP_1) | instskip(NEXT) | instid1(SALU_CYCLE_1)
	s_and_saveexec_b32 s2, s0
	s_xor_b32 s0, exec_lo, s2
	s_cbranch_execz .LBB4_13
; %bb.8:
	v_cndmask_b32_e64 v9, 0, 1, vcc_lo
	s_mov_b32 s2, exec_lo
                                        ; implicit-def: $sgpr3
	s_delay_alu instid0(VALU_DEP_1) | instskip(NEXT) | instid1(VALU_DEP_1)
	v_sub_nc_u32_e32 v9, v1, v9
	v_cmpx_ge_u32_e64 v0, v9
	s_xor_b32 s2, exec_lo, s2
; %bb.9:
	s_mov_b32 s3, 16
                                        ; implicit-def: $vgpr8
; %bb.10:
	s_or_saveexec_b32 s2, s2
	v_mov_b32_e32 v30, s3
	s_xor_b32 exec_lo, exec_lo, s2
; %bb.11:
	v_sub_nc_u32_e32 v8, v1, v8
	s_delay_alu instid0(VALU_DEP_1) | instskip(SKIP_1) | instid1(VALU_DEP_1)
	v_cmp_ge_i32_e32 vcc_lo, v0, v8
	v_cndmask_b32_e64 v8, 0, 1, vcc_lo
	v_lshlrev_b32_e32 v30, 5, v8
; %bb.12:
	s_or_b32 exec_lo, exec_lo, s2
.LBB4_13:
	s_and_not1_saveexec_b32 s0, s0
; %bb.14:
	v_mov_b32_e32 v30, 8
; %bb.15:
	s_or_b32 exec_lo, exec_lo, s0
.LBB4_16:
	s_delay_alu instid0(SALU_CYCLE_1) | instskip(NEXT) | instid1(VALU_DEP_1)
	s_or_b32 exec_lo, exec_lo, s1
	v_and_b32_e32 v8, 36, v30
	s_delay_alu instid0(VALU_DEP_1)
	v_cmp_ne_u32_e32 vcc_lo, 0, v8
	v_mov_b32_e32 v8, -1
	s_and_saveexec_b32 s0, vcc_lo
	s_cbranch_execz .LBB4_19
; %bb.17:
	s_cbranch_execz .LBB4_18
; %bb.11463:
	s_getpc_b64 s[48:49]
.Lpost_getpc140:
	s_add_u32 s48, s48, (.LBB4_10909-.Lpost_getpc140)&4294967295
	s_addc_u32 s49, s49, (.LBB4_10909-.Lpost_getpc140)>>32
	s_setpc_b64 s[48:49]
.LBB4_18:
	ds_load_b32 v8, v0
.LBB4_19:
	s_or_b32 exec_lo, exec_lo, s0
	v_and_b32_e32 v9, 24, v30
	s_mov_b32 s1, exec_lo
	s_delay_alu instid0(VALU_DEP_1)
	v_cmpx_ne_u32_e32 0, v9
	s_cbranch_execz .LBB4_22
; %bb.20:
	s_cbranch_execz .LBB4_21
; %bb.11465:
	s_getpc_b64 s[48:49]
.Lpost_getpc141:
	s_add_u32 s48, s48, (.LBB4_10911-.Lpost_getpc141)&4294967295
	s_addc_u32 s49, s49, (.LBB4_10911-.Lpost_getpc141)>>32
	s_setpc_b64 s[48:49]
.LBB4_21:
	s_waitcnt lgkmcnt(0)
	ds_load_b32 v8, v0
.LBB4_22:
	s_or_b32 exec_lo, exec_lo, s1
	s_waitcnt vmcnt(1)
	v_lshrrev_b64 v[6:7], 31, v[6:7]
	v_mov_b32_e32 v20, 0
	v_mov_b32_e32 v21, 0
                                        ; implicit-def: $vgpr18_vgpr19
                                        ; implicit-def: $vgpr70
                                        ; implicit-def: $vgpr24_vgpr25
                                        ; implicit-def: $vgpr26_vgpr27
                                        ; implicit-def: $vgpr34_vgpr35
                                        ; implicit-def: $vgpr22_vgpr23
	s_delay_alu instid0(VALU_DEP_2) | instskip(NEXT) | instid1(VALU_DEP_2)
	v_dual_mov_b32 v6, v20 :: v_dual_and_b32 v37, 3, v6
	v_mov_b32_e32 v7, v21
	s_and_saveexec_b32 s0, vcc_lo
	s_cbranch_execz .LBB4_35
; %bb.23:
	s_cbranch_execz .LBB4_24
; %bb.11467:
	s_getpc_b64 s[48:49]
.Lpost_getpc142:
	s_add_u32 s48, s48, (.LBB4_10913-.Lpost_getpc142)&4294967295
	s_addc_u32 s49, s49, (.LBB4_10913-.Lpost_getpc142)>>32
	s_setpc_b64 s[48:49]
.LBB4_24:
	ds_load_b64 v[6:7], v0
	s_waitcnt lgkmcnt(1)
	v_ashrrev_i32_e32 v9, 31, v8
	s_mov_b32 s1, exec_lo
	s_delay_alu instid0(VALU_DEP_1) | instskip(SKIP_2) | instid1(VALU_DEP_2)
	v_lshlrev_b64 v[18:19], 3, v[8:9]
	v_and_b32_e32 v9, 0xffff, v37
	s_waitcnt lgkmcnt(0)
	v_add_co_u32 v6, vcc_lo, v6, v18
	s_delay_alu instid0(VALU_DEP_3)
	v_add_co_ci_u32_e32 v7, vcc_lo, v7, v19, vcc_lo
	flat_load_b64 v[6:7], v[6:7]
	s_waitcnt vmcnt(0) lgkmcnt(0)
	v_mad_u64_u32 v[18:19], null, 0xa8, v9, v[6:7]
	flat_load_b32 v6, v[18:19] offset:640
	v_add_co_u32 v20, vcc_lo, 0x1f8, v18
	v_add_co_ci_u32_e32 v21, vcc_lo, 0, v19, vcc_lo
                                        ; implicit-def: $vgpr18_vgpr19
	s_waitcnt vmcnt(0) lgkmcnt(0)
	v_cmpx_eq_u32_e32 1, v6
	s_cbranch_execz .LBB4_27
; %bb.25:
	flat_load_b64 v[18:19], v[20:21] offset:144
	s_waitcnt vmcnt(0) lgkmcnt(0)
	flat_load_b64 v[6:7], v[18:19]
	s_cbranch_execz .LBB4_26
; %bb.11469:
	s_getpc_b64 s[48:49]
.Lpost_getpc143:
	s_add_u32 s48, s48, (.LBB4_10921-.Lpost_getpc143)&4294967295
	s_addc_u32 s49, s49, (.LBB4_10921-.Lpost_getpc143)>>32
	s_setpc_b64 s[48:49]
.LBB4_26:
	s_waitcnt vmcnt(0) lgkmcnt(0)
	ds_store_b64 v0, v[6:7]
	flat_load_b64 v[6:7], v[18:19] offset:8
	v_or_b32_e32 v30, 0x2000, v30
	s_waitcnt vmcnt(0) lgkmcnt(0)
	ds_store_b64 v0, v[6:7]
	flat_load_b64 v[6:7], v[18:19] offset:16
	s_waitcnt vmcnt(0) lgkmcnt(0)
	ds_store_b64 v0, v[6:7]
.LBB4_27:
	s_or_b32 exec_lo, exec_lo, s1
	flat_load_b64 v[6:7], v[20:21] offset:104
	v_and_b32_e32 v9, 32, v30
	s_mov_b32 s1, exec_lo
                                        ; implicit-def: $vgpr22_vgpr23
	s_waitcnt vmcnt(0) lgkmcnt(0)
	v_add_co_u32 v6, vcc_lo, v6, 3
	v_add_co_ci_u32_e32 v25, vcc_lo, 0, v7, vcc_lo
	s_delay_alu instid0(VALU_DEP_2)
	v_and_b32_e32 v24, -4, v6
	v_cmpx_ne_u32_e32 0, v9
	s_cbranch_execz .LBB4_29
; %bb.28:
	flat_load_b64 v[22:23], v[20:21] offset:56
	s_waitcnt vmcnt(0) lgkmcnt(0)
	s_waitcnt_vscnt null, 0x0
	flat_store_b64 v[22:23], v[24:25]
.LBB4_29:
	s_or_b32 exec_lo, exec_lo, s1
	v_dual_mov_b32 v6, 0 :: v_dual_and_b32 v9, 4, v30
	v_mov_b32_e32 v7, 0
	s_mov_b32 s1, exec_lo
                                        ; implicit-def: $vgpr70
                                        ; implicit-def: $vgpr26_vgpr27
                                        ; implicit-def: $vgpr34_vgpr35
	s_delay_alu instid0(VALU_DEP_2)
	v_cmpx_ne_u32_e32 0, v9
	s_cbranch_execz .LBB4_34
; %bb.30:
	v_and_b32_e32 v6, 0x800, v30
	s_mov_b32 s2, exec_lo
	s_delay_alu instid0(VALU_DEP_1)
	v_cmpx_eq_u32_e32 0, v6
	s_cbranch_execz .LBB4_33
; %bb.31:
	s_cbranch_execz .LBB4_32
; %bb.11471:
	s_getpc_b64 s[48:49]
.Lpost_getpc144:
	s_add_u32 s48, s48, (.LBB4_10923-.Lpost_getpc144)&4294967295
	s_addc_u32 s49, s49, (.LBB4_10923-.Lpost_getpc144)>>32
	s_setpc_b64 s[48:49]
.LBB4_32:
	ds_store_b64 v0, v[20:21]
.LBB4_33:
	s_or_b32 exec_lo, exec_lo, s2
	flat_load_b64 v[22:23], v[20:21] offset:48
	v_or_b32_e32 v9, 0x100, v30
	s_waitcnt vmcnt(0) lgkmcnt(0)
	flat_load_b64 v[34:35], v[22:23] glc
	s_clause 0x2
	flat_load_b64 v[6:7], v[20:21] offset:96
	flat_load_b32 v70, v[20:21] offset:72
	flat_load_b64 v[26:27], v[20:21] offset:16
	s_waitcnt vmcnt(2) lgkmcnt(2)
	v_cmp_eq_u64_e32 vcc_lo, 0, v[6:7]
	v_cndmask_b32_e32 v30, v9, v30, vcc_lo
.LBB4_34:
	s_or_b32 exec_lo, exec_lo, s1
.LBB4_35:
	s_delay_alu instid0(SALU_CYCLE_1) | instskip(NEXT) | instid1(VALU_DEP_1)
	s_or_b32 exec_lo, exec_lo, s0
	v_and_b32_e32 v9, 24, v30
	s_mov_b32 s0, exec_lo
                                        ; implicit-def: $vgpr28_vgpr29
	s_delay_alu instid0(VALU_DEP_1)
	v_cmpx_ne_u32_e32 0, v9
	s_cbranch_execz .LBB4_45
; %bb.36:
	s_cbranch_execz .LBB4_37
; %bb.11473:
	s_getpc_b64 s[48:49]
.Lpost_getpc145:
	s_add_u32 s48, s48, (.LBB4_10915-.Lpost_getpc145)&4294967295
	s_addc_u32 s49, s49, (.LBB4_10915-.Lpost_getpc145)>>32
	s_setpc_b64 s[48:49]
.LBB4_37:
	ds_load_b64 v[6:7], v0
	s_waitcnt lgkmcnt(1)
	v_ashrrev_i32_e32 v9, 31, v8
	v_or_b32_e32 v24, 0x100, v30
	s_mov_b32 s1, exec_lo
                                        ; implicit-def: $vgpr28_vgpr29
	s_delay_alu instid0(VALU_DEP_2) | instskip(SKIP_1) | instid1(VALU_DEP_1)
	v_lshlrev_b64 v[8:9], 3, v[8:9]
	s_waitcnt lgkmcnt(0)
	v_add_co_u32 v6, vcc_lo, v6, v8
	s_delay_alu instid0(VALU_DEP_2)
	v_add_co_ci_u32_e32 v7, vcc_lo, v7, v9, vcc_lo
	v_and_b32_e32 v8, 0xffff, v37
	flat_load_b64 v[6:7], v[6:7]
	s_waitcnt vmcnt(0) lgkmcnt(0)
	v_mad_u64_u32 v[20:21], null, 0xa8, v8, v[6:7]
	flat_load_b128 v[6:9], v[20:21] offset:96
	s_waitcnt vmcnt(0) lgkmcnt(0)
	v_cmp_eq_u64_e32 vcc_lo, 0, v[6:7]
	v_cndmask_b32_e32 v30, v24, v30, vcc_lo
	s_delay_alu instid0(VALU_DEP_1) | instskip(NEXT) | instid1(VALU_DEP_1)
	v_and_b32_e32 v24, 16, v30
	v_cmpx_ne_u32_e32 0, v24
; %bb.38:
	s_clause 0x2
	flat_load_b64 v[28:29], v[20:21] offset:120
	flat_load_b64 v[22:23], v[20:21] offset:48
	;; [unrolled: 1-line block ×3, first 2 shown]
; %bb.39:
	s_or_b32 exec_lo, exec_lo, s1
	v_and_b32_e32 v24, 8, v30
	s_mov_b32 s1, exec_lo
	s_delay_alu instid0(VALU_DEP_1)
	v_cmpx_ne_u32_e32 0, v24
	s_cbranch_execz .LBB4_44
; %bb.40:
	s_waitcnt vmcnt(1) lgkmcnt(1)
	v_and_b32_e32 v22, 0x800, v30
	s_mov_b32 s2, exec_lo
	s_delay_alu instid0(VALU_DEP_1)
	v_cmpx_eq_u32_e32 0, v22
	s_cbranch_execz .LBB4_43
; %bb.41:
	s_cbranch_execz .LBB4_42
; %bb.11475:
	s_getpc_b64 s[48:49]
.Lpost_getpc146:
	s_add_u32 s48, s48, (.LBB4_10925-.Lpost_getpc146)&4294967295
	s_addc_u32 s49, s49, (.LBB4_10925-.Lpost_getpc146)>>32
	s_setpc_b64 s[48:49]
.LBB4_42:
	ds_store_b64 v0, v[20:21]
.LBB4_43:
	s_or_b32 exec_lo, exec_lo, s2
	flat_load_b64 v[22:23], v[20:21] offset:56
	s_waitcnt vmcnt(0) lgkmcnt(0)
	flat_load_b64 v[34:35], v[22:23] glc
	s_clause 0x1
	flat_load_b32 v70, v[20:21] offset:72
	flat_load_b64 v[26:27], v[20:21] offset:16
.LBB4_44:
	s_or_b32 exec_lo, exec_lo, s1
	v_add_co_u32 v8, vcc_lo, v8, 3
	v_add_co_ci_u32_e32 v25, vcc_lo, 0, v9, vcc_lo
	s_delay_alu instid0(VALU_DEP_2)
	v_and_b32_e32 v24, -4, v8
.LBB4_45:
	s_or_b32 exec_lo, exec_lo, s0
	v_cmp_eq_u32_e64 s0, 0, v0
	s_delay_alu instid0(VALU_DEP_1)
	s_and_saveexec_b32 s1, s0
	s_cbranch_execz .LBB4_48
; %bb.46:
	s_waitcnt lgkmcnt(0)
	flat_load_b64 v[8:9], v[2:3] offset:32
	ds_store_2addr_b64 v0, v[12:13], v[10:11] offset1:1
	s_cbranch_execz .LBB4_47
; %bb.11477:
	s_getpc_b64 s[48:49]
.Lpost_getpc147:
	s_add_u32 s48, s48, (.LBB4_10917-.Lpost_getpc147)&4294967295
	s_addc_u32 s49, s49, (.LBB4_10917-.Lpost_getpc147)>>32
	s_setpc_b64 s[48:49]
.LBB4_47:
	s_waitcnt vmcnt(0) lgkmcnt(1)
	ds_store_b64 v0, v[8:9]
	ds_store_b64 v0, v[32:33]
.LBB4_48:
	s_or_b32 exec_lo, exec_lo, s1
	s_waitcnt vmcnt(0)
	v_dual_mov_b32 v32, 0 :: v_dual_and_b32 v71, 0xffff, v36
	v_mov_b32_e32 v33, 0
	s_mov_b32 s20, exec_lo
	v_cmpx_lt_i64_e32 0, v[4:5]
	s_cbranch_execnz .LBB4_49
; %bb.11479:
	s_getpc_b64 s[48:49]
.Lpost_getpc148:
	s_add_u32 s48, s48, (.LBB4_10891-.Lpost_getpc148)&4294967295
	s_addc_u32 s49, s49, (.LBB4_10891-.Lpost_getpc148)>>32
	s_setpc_b64 s[48:49]
.LBB4_49:
	s_waitcnt lgkmcnt(0)
	flat_load_b32 v8, v[2:3] offset:4
	v_dual_mov_b32 v3, 0 :: v_dual_and_b32 v2, 31, v31
	s_ashr_i32 s21, s19, 31
	s_add_u32 s22, s19, -1
	s_addc_u32 s23, s21, -1
	s_not_b32 s2, s19
	v_cmp_ge_i32_e32 vcc_lo, v0, v1
	v_cmp_eq_u32_e64 s1, 0, v2
	s_cmp_gt_i32 s19, 0
	s_mov_b32 s24, 0
	s_cselect_b32 s26, s2, -1
	s_cbranch_execz .LBB4_50
; %bb.11481:
	s_getpc_b64 s[48:49]
.Lpost_getpc149:
	s_add_u32 s48, s48, (.LBB4_10919-.Lpost_getpc149)&4294967295
	s_addc_u32 s49, s49, (.LBB4_10919-.Lpost_getpc149)>>32
	s_setpc_b64 s[48:49]
.LBB4_50:
	v_ashrrev_i32_e32 v9, 31, v0
	v_lshrrev_b32_e32 v81, 5, v1
	v_and_b32_e32 v2, 0x3ffffe00, v14
	s_waitcnt vmcnt(0) lgkmcnt(0)
	v_and_b32_e32 v8, 1, v8
	s_ashr_i32 s6, s5, 31
	v_lshrrev_b32_e32 v9, 27, v9
	v_dual_mov_b32 v118, 1 :: v_dual_lshlrev_b32 v85, 9, v81
	s_add_i32 s25, s19, s19
	s_lshr_b32 s6, s6, 25
	s_delay_alu instid0(VALU_DEP_2) | instskip(SKIP_1) | instid1(VALU_DEP_2)
	v_dual_mov_b32 v38, 0 :: v_dual_add_nc_u32 v9, v0, v9
	v_mov_b32_e32 v39, 0
	v_mov_b32_e32 v32, v38
	v_dual_mov_b32 v49, v3 :: v_dual_and_b32 v82, 0xffffffe0, v1
	s_delay_alu instid0(VALU_DEP_3) | instskip(SKIP_3) | instid1(VALU_DEP_4)
	v_dual_mov_b32 v33, v39 :: v_dual_and_b32 v10, 0xffffffe0, v9
	v_ashrrev_i32_e32 v83, 5, v9
	v_lshl_add_u32 v9, v81, 11, 0xfffff800
	v_dual_mov_b32 v48, v2 :: v_dual_add_nc_u32 v87, 0xfffffe00, v85
	v_sub_nc_u32_e32 v84, v0, v10
	s_delay_alu instid0(VALU_DEP_4) | instskip(SKIP_3) | instid1(VALU_DEP_4)
	v_lshlrev_b32_e32 v10, 11, v83
	v_subrev_nc_u32_e32 v100, 32, v82
	v_add_co_u32 v97, s7, 0x800, v9
	v_ashrrev_i32_e32 v99, 31, v87
	v_lshl_add_u32 v86, v84, 4, v10
	v_ashrrev_i32_e32 v10, 31, v9
	v_ashrrev_i32_e32 v103, 31, v100
	s_add_i32 s26, s26, s25
	s_add_i32 s5, s5, s6
	s_ashr_i32 s27, s26, 31
	v_add_co_ci_u32_e64 v98, s7, 0, v10, s7
	v_add_co_u32 v101, s7, 0x200, v87
	s_delay_alu instid0(VALU_DEP_1) | instskip(SKIP_1) | instid1(VALU_DEP_1)
	v_add_co_ci_u32_e64 v102, s7, 0, v99, s7
	v_add_co_u32 v112, s7, v100, 32
	v_add_co_ci_u32_e64 v113, s7, 0, v103, s7
	v_cmp_eq_u32_e64 s7, 1, v8
	v_lshlrev_b32_e32 v8, 10, v83
	s_ashr_i32 s28, s5, 7
	s_cmp_gt_i32 s19, 2
	v_mad_i64_i32 v[36:37], null, v2, s19, 0
	s_delay_alu instid0(VALU_DEP_2)
	v_sub_nc_u32_e32 v114, v86, v8
	v_lshl_add_u32 v8, v81, 10, 0xfffffc00
	s_cselect_b32 s29, -1, 0
	s_add_i32 s13, s19, 1
	s_xor_b32 vcc_hi, s7, -1
	s_cmp_le_i32 s19, s13
	v_ashrrev_i32_e32 v9, 31, v8
	s_cselect_b32 s14, s19, 0
	v_cmp_eq_u64_e64 s10, 0, v[28:29]
	s_sub_i32 s35, s13, s14
	v_add_co_u32 v116, s13, 0x400, v8
	v_cmp_ne_u64_e64 s11, 0, v[28:29]
	v_ashrrev_i32_e32 v80, 31, v70
	v_cmp_eq_u32_e64 s2, 32, v1
	v_cmp_ne_u32_e64 s3, 32, v1
	v_cmp_ne_u32_e64 s4, v71, v1
	v_cmp_gt_i32_e64 s5, 1, v84
	v_cmp_lt_i32_e64 s6, v84, v15
	v_ashrrev_i32_e32 v96, 31, v86
	v_cmp_le_i32_e64 s12, v84, v15
	v_ashrrev_i32_e32 v115, 31, v114
	v_add_co_ci_u32_e64 v117, s13, 0, v9, s13
	s_ashr_i32 s34, s35, 31
	s_add_i32 s14, s19, -2
	s_xor_b32 s30, vcc_lo, -1
	s_sub_i32 s31, 0, s19
.LBB4_51:                               ; =>This Loop Header: Depth=1
                                        ;     Child Loop BB4_59 Depth 2
                                        ;       Child Loop BB4_68 Depth 3
                                        ;       Child Loop BB4_95 Depth 3
	;; [unrolled: 1-line block ×9, first 2 shown]
                                        ;     Child Loop BB4_1812 Depth 2
                                        ;       Child Loop BB4_1818 Depth 3
                                        ;       Child Loop BB4_1845 Depth 3
	;; [unrolled: 1-line block ×3, first 2 shown]
                                        ;     Child Loop BB4_1893 Depth 2
                                        ;       Child Loop BB4_1895 Depth 3
                                        ;         Child Loop BB4_1904 Depth 4
                                        ;         Child Loop BB4_1936 Depth 4
	;; [unrolled: 1-line block ×9, first 2 shown]
                                        ;       Child Loop BB4_4701 Depth 3
                                        ;         Child Loop BB4_4707 Depth 4
                                        ;         Child Loop BB4_4737 Depth 4
	;; [unrolled: 1-line block ×3, first 2 shown]
                                        ;     Child Loop BB4_4786 Depth 2
                                        ;       Child Loop BB4_4795 Depth 3
                                        ;       Child Loop BB4_4825 Depth 3
	;; [unrolled: 1-line block ×5, first 2 shown]
                                        ;         Child Loop BB4_6627 Depth 4
                                        ;       Child Loop BB4_6830 Depth 3
                                        ;       Child Loop BB4_7486 Depth 3
                                        ;         Child Loop BB4_7525 Depth 4
                                        ;       Child Loop BB4_7553 Depth 3
                                        ;       Child Loop BB4_8848 Depth 3
	;; [unrolled: 1-line block ×6, first 2 shown]
                                        ;     Child Loop BB4_10269 Depth 2
                                        ;       Child Loop BB4_10275 Depth 3
                                        ;       Child Loop BB4_10307 Depth 3
	;; [unrolled: 1-line block ×3, first 2 shown]
                                        ;     Child Loop BB4_10355 Depth 2
                                        ;       Child Loop BB4_10357 Depth 3
                                        ;         Child Loop BB4_10366 Depth 4
                                        ;         Child Loop BB4_10398 Depth 4
                                        ;         Child Loop BB4_10421 Depth 4
                                        ;         Child Loop BB4_10446 Depth 4
                                        ;         Child Loop BB4_10452 Depth 4
                                        ;           Child Loop BB4_10453 Depth 5
                                        ;         Child Loop BB4_10464 Depth 4
                                        ;         Child Loop BB4_10470 Depth 4
                                        ;           Child Loop BB4_10471 Depth 5
                                        ;         Child Loop BB4_10485 Depth 4
                                        ;         Child Loop BB4_10491 Depth 4
	;; [unrolled: 1-line block ×6, first 2 shown]
                                        ;       Child Loop BB4_10566 Depth 3
                                        ;         Child Loop BB4_10572 Depth 4
                                        ;         Child Loop BB4_10602 Depth 4
	;; [unrolled: 1-line block ×3, first 2 shown]
                                        ;     Child Loop BB4_10651 Depth 2
                                        ;       Child Loop BB4_10660 Depth 3
                                        ;       Child Loop BB4_10687 Depth 3
	;; [unrolled: 1-line block ×9, first 2 shown]
                                        ;     Child Loop BB4_10812 Depth 2
                                        ;       Child Loop BB4_10818 Depth 3
                                        ;       Child Loop BB4_10845 Depth 3
	;; [unrolled: 1-line block ×3, first 2 shown]
	v_sub_co_u32 v50, vcc_lo, v4, v38
	v_sub_co_ci_u32_e32 v51, vcc_lo, v5, v39, vcc_lo
	s_mov_b32 s36, exec_lo
	s_delay_alu instid0(VALU_DEP_1)
	v_cmpx_lt_i64_e64 v[50:51], v[36:37]
	s_cbranch_execz .LBB4_57
; %bb.52:                               ;   in Loop: Header=BB4_51 Depth=1
	v_add_co_u32 v2, vcc_lo, s22, v50
	v_add_co_ci_u32_e32 v10, vcc_lo, s23, v51, vcc_lo
	v_mov_b32_e32 v8, v3
	s_delay_alu instid0(VALU_DEP_2) | instskip(NEXT) | instid1(VALU_DEP_1)
	v_or_b32_e32 v9, s21, v10
	v_cmp_ne_u64_e32 vcc_lo, 0, v[8:9]
                                        ; implicit-def: $vgpr8_vgpr9
	s_and_saveexec_b32 s13, vcc_lo
	s_delay_alu instid0(SALU_CYCLE_1)
	s_xor_b32 s37, exec_lo, s13
	s_cbranch_execz .LBB4_54
; %bb.53:                               ;   in Loop: Header=BB4_51 Depth=1
	s_add_u32 s16, s19, s21
	s_mov_b32 s38, s14
	s_mov_b32 s14, s21
	s_mov_b32 s15, s21
	s_addc_u32 s17, s21, s21
	s_delay_alu instid0(SALU_CYCLE_1) | instskip(NEXT) | instid1(SALU_CYCLE_1)
	s_xor_b64 s[16:17], s[16:17], s[14:15]
	v_cvt_f32_u32_e32 v8, s16
	v_cvt_f32_u32_e32 v9, s17
	s_sub_u32 s13, 0, s16
	s_subb_u32 s39, 0, s17
	s_delay_alu instid0(VALU_DEP_1) | instskip(NEXT) | instid1(VALU_DEP_1)
	v_fmac_f32_e32 v8, 0x4f800000, v9
	v_rcp_f32_e32 v8, v8
	s_waitcnt_depctr 0xfff
	v_mul_f32_e32 v8, 0x5f7ffffc, v8
	s_delay_alu instid0(VALU_DEP_1) | instskip(NEXT) | instid1(VALU_DEP_1)
	v_mul_f32_e32 v9, 0x2f800000, v8
	v_trunc_f32_e32 v9, v9
	s_delay_alu instid0(VALU_DEP_1) | instskip(SKIP_1) | instid1(VALU_DEP_2)
	v_fmac_f32_e32 v8, 0xcf800000, v9
	v_cvt_u32_f32_e32 v9, v9
	v_cvt_u32_f32_e32 v8, v8
	s_delay_alu instid0(VALU_DEP_2) | instskip(NEXT) | instid1(VALU_DEP_2)
	v_mul_lo_u32 v11, s13, v9
	v_mul_hi_u32 v12, s13, v8
	v_mul_lo_u32 v13, s39, v8
	s_delay_alu instid0(VALU_DEP_2) | instskip(SKIP_1) | instid1(VALU_DEP_2)
	v_add_nc_u32_e32 v11, v12, v11
	v_mul_lo_u32 v12, s13, v8
	v_add_nc_u32_e32 v11, v11, v13
	s_delay_alu instid0(VALU_DEP_2) | instskip(NEXT) | instid1(VALU_DEP_2)
	v_mul_hi_u32 v13, v8, v12
	v_mul_lo_u32 v14, v8, v11
	v_mul_hi_u32 v15, v8, v11
	v_mul_hi_u32 v48, v9, v12
	v_mul_lo_u32 v12, v9, v12
	v_mul_hi_u32 v49, v9, v11
	v_mul_lo_u32 v11, v9, v11
	v_add_co_u32 v13, vcc_lo, v13, v14
	v_add_co_ci_u32_e32 v14, vcc_lo, 0, v15, vcc_lo
	s_delay_alu instid0(VALU_DEP_2) | instskip(NEXT) | instid1(VALU_DEP_2)
	v_add_co_u32 v12, vcc_lo, v13, v12
	v_add_co_ci_u32_e32 v12, vcc_lo, v14, v48, vcc_lo
	v_add_co_ci_u32_e32 v13, vcc_lo, 0, v49, vcc_lo
	v_ashrrev_i32_e32 v48, 31, v10
	s_delay_alu instid0(VALU_DEP_3) | instskip(NEXT) | instid1(VALU_DEP_3)
	v_add_co_u32 v11, vcc_lo, v12, v11
	v_add_co_ci_u32_e32 v12, vcc_lo, 0, v13, vcc_lo
	s_delay_alu instid0(VALU_DEP_2) | instskip(NEXT) | instid1(VALU_DEP_2)
	v_add_co_u32 v8, vcc_lo, v8, v11
	v_add_co_ci_u32_e32 v9, vcc_lo, v9, v12, vcc_lo
	s_delay_alu instid0(VALU_DEP_2) | instskip(SKIP_1) | instid1(VALU_DEP_3)
	v_mul_hi_u32 v11, s13, v8
	v_mul_lo_u32 v13, s39, v8
	v_mul_lo_u32 v12, s13, v9
	s_delay_alu instid0(VALU_DEP_1) | instskip(SKIP_1) | instid1(VALU_DEP_2)
	v_add_nc_u32_e32 v11, v11, v12
	v_mul_lo_u32 v12, s13, v8
	v_add_nc_u32_e32 v11, v11, v13
	s_delay_alu instid0(VALU_DEP_2) | instskip(NEXT) | instid1(VALU_DEP_2)
	v_mul_hi_u32 v13, v8, v12
	v_mul_lo_u32 v14, v8, v11
	v_mul_hi_u32 v15, v8, v11
	v_mul_hi_u32 v49, v9, v12
	v_mul_lo_u32 v12, v9, v12
	v_mul_hi_u32 v52, v9, v11
	v_mul_lo_u32 v11, v9, v11
	v_add_co_u32 v13, vcc_lo, v13, v14
	v_add_co_ci_u32_e32 v14, vcc_lo, 0, v15, vcc_lo
	s_delay_alu instid0(VALU_DEP_2) | instskip(NEXT) | instid1(VALU_DEP_2)
	v_add_co_u32 v12, vcc_lo, v13, v12
	v_add_co_ci_u32_e32 v12, vcc_lo, v14, v49, vcc_lo
	v_add_co_ci_u32_e32 v13, vcc_lo, 0, v52, vcc_lo
	v_add_co_u32 v2, vcc_lo, v2, v48
	v_add_co_ci_u32_e32 v10, vcc_lo, v10, v48, vcc_lo
	s_delay_alu instid0(VALU_DEP_4) | instskip(NEXT) | instid1(VALU_DEP_4)
	v_add_co_u32 v11, vcc_lo, v12, v11
	v_add_co_ci_u32_e32 v12, vcc_lo, 0, v13, vcc_lo
	s_delay_alu instid0(VALU_DEP_4) | instskip(NEXT) | instid1(VALU_DEP_3)
	v_xor_b32_e32 v2, v2, v48
	v_add_co_u32 v13, vcc_lo, v8, v11
	s_delay_alu instid0(VALU_DEP_3) | instskip(SKIP_1) | instid1(VALU_DEP_3)
	v_add_co_ci_u32_e32 v14, vcc_lo, v9, v12, vcc_lo
	v_xor_b32_e32 v15, v10, v48
	v_mul_hi_u32 v49, v2, v13
	s_delay_alu instid0(VALU_DEP_3) | instskip(NEXT) | instid1(VALU_DEP_3)
	v_mad_u64_u32 v[8:9], null, v2, v14, 0
	v_mad_u64_u32 v[10:11], null, v15, v13, 0
	v_mad_u64_u32 v[12:13], null, v15, v14, 0
	s_delay_alu instid0(VALU_DEP_3) | instskip(NEXT) | instid1(VALU_DEP_4)
	v_add_co_u32 v8, vcc_lo, v49, v8
	v_add_co_ci_u32_e32 v9, vcc_lo, 0, v9, vcc_lo
	s_delay_alu instid0(VALU_DEP_2) | instskip(NEXT) | instid1(VALU_DEP_2)
	v_add_co_u32 v8, vcc_lo, v8, v10
	v_add_co_ci_u32_e32 v8, vcc_lo, v9, v11, vcc_lo
	v_add_co_ci_u32_e32 v9, vcc_lo, 0, v13, vcc_lo
	s_delay_alu instid0(VALU_DEP_2) | instskip(NEXT) | instid1(VALU_DEP_2)
	v_add_co_u32 v10, vcc_lo, v8, v12
	v_add_co_ci_u32_e32 v11, vcc_lo, 0, v9, vcc_lo
	s_delay_alu instid0(VALU_DEP_2) | instskip(SKIP_1) | instid1(VALU_DEP_3)
	v_mul_lo_u32 v12, s17, v10
	v_mad_u64_u32 v[8:9], null, s16, v10, 0
	v_mul_lo_u32 v13, s16, v11
	s_delay_alu instid0(VALU_DEP_2) | instskip(NEXT) | instid1(VALU_DEP_2)
	v_sub_co_u32 v2, vcc_lo, v2, v8
	v_add3_u32 v9, v9, v13, v12
	s_delay_alu instid0(VALU_DEP_1) | instskip(NEXT) | instid1(VALU_DEP_1)
	v_sub_nc_u32_e32 v12, v15, v9
	v_subrev_co_ci_u32_e64 v8, s13, s17, v12, vcc_lo
	v_add_co_u32 v12, s13, v10, 2
	s_delay_alu instid0(VALU_DEP_1) | instskip(SKIP_3) | instid1(VALU_DEP_3)
	v_add_co_ci_u32_e64 v13, s13, 0, v11, s13
	v_sub_co_u32 v14, s13, v2, s16
	v_sub_co_ci_u32_e32 v9, vcc_lo, v15, v9, vcc_lo
	v_subrev_co_ci_u32_e64 v8, s13, 0, v8, s13
	v_cmp_le_u32_e32 vcc_lo, s16, v14
	s_delay_alu instid0(VALU_DEP_3) | instskip(SKIP_1) | instid1(VALU_DEP_4)
	v_cmp_eq_u32_e64 s13, s17, v9
	v_cndmask_b32_e64 v14, 0, -1, vcc_lo
	v_cmp_le_u32_e32 vcc_lo, s17, v8
	v_cndmask_b32_e64 v15, 0, -1, vcc_lo
	v_cmp_le_u32_e32 vcc_lo, s16, v2
	;; [unrolled: 2-line block ×3, first 2 shown]
	v_cndmask_b32_e64 v49, 0, -1, vcc_lo
	v_cmp_eq_u32_e32 vcc_lo, s17, v8
	s_delay_alu instid0(VALU_DEP_2) | instskip(SKIP_3) | instid1(VALU_DEP_3)
	v_cndmask_b32_e64 v2, v49, v2, s13
	v_cndmask_b32_e32 v8, v15, v14, vcc_lo
	v_add_co_u32 v14, vcc_lo, v10, 1
	v_add_co_ci_u32_e32 v15, vcc_lo, 0, v11, vcc_lo
	v_cmp_ne_u32_e32 vcc_lo, 0, v8
	s_delay_alu instid0(VALU_DEP_2) | instskip(SKIP_3) | instid1(VALU_DEP_3)
	v_dual_cndmask_b32 v8, v15, v13 :: v_dual_cndmask_b32 v9, v14, v12
	v_cmp_ne_u32_e32 vcc_lo, 0, v2
	v_xor_b32_e32 v2, s14, v48
	s_mov_b32 s14, s38
	v_dual_cndmask_b32 v8, v11, v8 :: v_dual_cndmask_b32 v9, v10, v9
	v_xor_b32_e32 v10, s15, v48
	s_delay_alu instid0(VALU_DEP_2) | instskip(NEXT) | instid1(VALU_DEP_2)
	v_xor_b32_e32 v9, v9, v2
	v_xor_b32_e32 v11, v8, v10
	s_delay_alu instid0(VALU_DEP_2) | instskip(NEXT) | instid1(VALU_DEP_2)
	v_sub_co_u32 v8, vcc_lo, v9, v2
	v_sub_co_ci_u32_e32 v9, vcc_lo, v11, v10, vcc_lo
                                        ; implicit-def: $vgpr2
.LBB4_54:                               ;   in Loop: Header=BB4_51 Depth=1
	s_and_not1_saveexec_b32 s13, s37
	s_cbranch_execz .LBB4_56
; %bb.55:                               ;   in Loop: Header=BB4_51 Depth=1
	v_cvt_f32_u32_e32 v8, s19
	s_delay_alu instid0(VALU_DEP_1) | instskip(SKIP_2) | instid1(VALU_DEP_1)
	v_rcp_iflag_f32_e32 v8, v8
	s_waitcnt_depctr 0xfff
	v_mul_f32_e32 v8, 0x4f7ffffe, v8
	v_cvt_u32_f32_e32 v8, v8
	s_delay_alu instid0(VALU_DEP_1) | instskip(NEXT) | instid1(VALU_DEP_1)
	v_mul_lo_u32 v9, s31, v8
	v_mul_hi_u32 v9, v8, v9
	s_delay_alu instid0(VALU_DEP_1) | instskip(NEXT) | instid1(VALU_DEP_1)
	v_add_nc_u32_e32 v8, v8, v9
	v_mul_hi_u32 v8, v2, v8
	s_delay_alu instid0(VALU_DEP_1) | instskip(NEXT) | instid1(VALU_DEP_1)
	v_mul_lo_u32 v9, v8, s19
	v_sub_nc_u32_e32 v2, v2, v9
	s_delay_alu instid0(VALU_DEP_1) | instskip(SKIP_1) | instid1(VALU_DEP_2)
	v_subrev_nc_u32_e32 v10, s19, v2
	v_cmp_le_u32_e32 vcc_lo, s19, v2
	v_dual_cndmask_b32 v2, v2, v10 :: v_dual_add_nc_u32 v9, 1, v8
	s_delay_alu instid0(VALU_DEP_1) | instskip(NEXT) | instid1(VALU_DEP_2)
	v_cndmask_b32_e32 v8, v8, v9, vcc_lo
	v_cmp_le_u32_e32 vcc_lo, s19, v2
	s_delay_alu instid0(VALU_DEP_2) | instskip(NEXT) | instid1(VALU_DEP_1)
	v_add_nc_u32_e32 v9, 1, v8
	v_cndmask_b32_e32 v2, v8, v9, vcc_lo
	s_delay_alu instid0(VALU_DEP_1)
	v_dual_mov_b32 v9, v3 :: v_dual_mov_b32 v8, v2
.LBB4_56:                               ;   in Loop: Header=BB4_51 Depth=1
	s_or_b32 exec_lo, exec_lo, s13
	s_delay_alu instid0(VALU_DEP_1) | instskip(NEXT) | instid1(VALU_DEP_2)
	v_add_co_u32 v2, vcc_lo, v8, 15
	v_add_co_ci_u32_e32 v49, vcc_lo, 0, v9, vcc_lo
	s_delay_alu instid0(VALU_DEP_2)
	v_and_b32_e32 v48, -16, v2
.LBB4_57:                               ;   in Loop: Header=BB4_51 Depth=1
	s_or_b32 exec_lo, exec_lo, s36
	s_delay_alu instid0(VALU_DEP_2) | instskip(NEXT) | instid1(VALU_DEP_2)
	v_mul_lo_u32 v2, v49, s26
	v_mul_lo_u32 v8, v48, s27
	v_mad_u64_u32 v[14:15], null, v48, s26, 0
	s_mov_b32 s16, 0
	v_mov_b32_e32 v67, 0
	s_delay_alu instid0(VALU_DEP_2) | instskip(NEXT) | instid1(VALU_DEP_3)
	v_add3_u32 v15, v15, v8, v2
	v_sub_co_u32 v8, vcc_lo, v50, v14
	s_delay_alu instid0(VALU_DEP_2) | instskip(NEXT) | instid1(VALU_DEP_1)
	v_sub_co_ci_u32_e32 v9, vcc_lo, v51, v15, vcc_lo
	v_cmp_lt_i64_e32 vcc_lo, v[48:49], v[8:9]
	v_cndmask_b32_e32 v8, v8, v48, vcc_lo
	v_add_co_u32 v119, vcc_lo, v38, v16
	v_add_co_ci_u32_e32 v128, vcc_lo, v39, v17, vcc_lo
	s_delay_alu instid0(VALU_DEP_3) | instskip(NEXT) | instid1(VALU_DEP_1)
	v_max_i32_e32 v66, 0, v8
	v_add_nc_u32_e32 v2, 31, v66
	s_delay_alu instid0(VALU_DEP_1) | instskip(NEXT) | instid1(VALU_DEP_1)
	v_lshrrev_b32_e32 v2, 1, v2
	v_and_b32_e32 v9, 0x3ffffff0, v2
	v_cmp_lt_i32_e32 vcc_lo, 0, v8
	v_mov_b32_e32 v2, 0
	s_delay_alu instid0(VALU_DEP_3) | instskip(SKIP_1) | instid1(SALU_CYCLE_1)
	v_max_i32_e32 v12, s28, v9
	s_and_b32 s13, s30, vcc_lo
	s_and_saveexec_b32 s15, s13
                                        ; implicit-def: $vgpr122 : SGPR spill to VGPR lane
	s_cbranch_execz .LBB4_1810
; %bb.58:                               ;   in Loop: Header=BB4_51 Depth=1
	v_mov_b32_e32 v67, 0
	s_mov_b32 s36, 1
	s_mov_b32 s17, -1
.LBB4_59:                               ;   Parent Loop BB4_51 Depth=1
                                        ; =>  This Loop Header: Depth=2
                                        ;       Child Loop BB4_68 Depth 3
                                        ;       Child Loop BB4_95 Depth 3
                                        ;       Child Loop BB4_118 Depth 3
                                        ;       Child Loop BB4_144 Depth 3
                                        ;       Child Loop BB4_1183 Depth 3
                                        ;       Child Loop BB4_1455 Depth 3
                                        ;       Child Loop BB4_1727 Depth 3
                                        ;       Child Loop BB4_1765 Depth 3
                                        ;       Child Loop BB4_1791 Depth 3
	s_and_saveexec_b32 s13, s0
	s_cbranch_execz .LBB4_62
; %bb.60:                               ;   in Loop: Header=BB4_59 Depth=2
	s_cbranch_execz .LBB4_61
; %bb.11483:
	s_getpc_b64 s[48:49]
.Lpost_getpc150:
	s_add_u32 s48, s48, (.LBB4_10942-.Lpost_getpc150)&4294967295
	s_addc_u32 s49, s49, (.LBB4_10942-.Lpost_getpc150)>>32
	s_setpc_b64 s[48:49]
.LBB4_61:                               ;   in Loop: Header=BB4_59 Depth=2
	ds_load_b64 v[8:9], v0
	s_waitcnt lgkmcnt(0)
	v_add_co_u32 v2, vcc_lo, v8, v119
	v_add_co_ci_u32_e32 v8, vcc_lo, v9, v128, vcc_lo
	v_ashrrev_i32_e32 v9, 31, v67
	s_delay_alu instid0(VALU_DEP_3) | instskip(NEXT) | instid1(VALU_DEP_3)
	v_add_co_u32 v2, vcc_lo, v2, v14
	v_add_co_ci_u32_e32 v10, vcc_lo, v8, v15, vcc_lo
	s_delay_alu instid0(VALU_DEP_2) | instskip(NEXT) | instid1(VALU_DEP_2)
	v_add_co_u32 v8, vcc_lo, v2, v67
	v_add_co_ci_u32_e32 v9, vcc_lo, v10, v9, vcc_lo
	v_mov_b32_e32 v2, v3
	ds_store_b64 v0, v[8:9]
	ds_store_b64 v0, v[2:3]
.LBB4_62:                               ;   in Loop: Header=BB4_59 Depth=2
	s_or_b32 exec_lo, exec_lo, s13
	v_and_b32_e32 v2, 8, v30
	s_mov_b32 s37, -1
	s_mov_b32 s13, exec_lo
	s_delay_alu instid0(VALU_DEP_1)
	v_cmpx_ne_u32_e32 0, v2
	s_cbranch_execz .LBB4_76
; %bb.63:                               ;   in Loop: Header=BB4_59 Depth=2
	v_add_co_u32 v10, vcc_lo, v34, 8
	v_add_co_ci_u32_e32 v11, vcc_lo, 0, v35, vcc_lo
	v_add_co_u32 v8, vcc_lo, v24, 2
	v_add_co_ci_u32_e32 v9, vcc_lo, 0, v25, vcc_lo
	v_mov_b32_e32 v2, 1
	s_mov_b32 s37, exec_lo
	s_delay_alu instid0(VALU_DEP_2)
	v_cmpx_lt_u64_e64 v[10:11], v[8:9]
	s_cbranch_execz .LBB4_75
; %bb.64:                               ;   in Loop: Header=BB4_59 Depth=2
	v_mov_b32_e32 v2, 0
	s_mov_b32 s38, 0
                                        ; implicit-def: $sgpr39
	s_branch .LBB4_68
.LBB4_65:                               ;   in Loop: Header=BB4_68 Depth=3
	s_or_b32 exec_lo, exec_lo, s43
	v_mov_b32_e32 v10, 0
	s_or_not1_b32 s42, s42, exec_lo
.LBB4_66:                               ;   in Loop: Header=BB4_68 Depth=3
	s_or_b32 exec_lo, exec_lo, s41
	s_delay_alu instid0(VALU_DEP_1) | instskip(SKIP_2) | instid1(SALU_CYCLE_1)
	v_mov_b32_e32 v2, v10
	s_and_not1_b32 vcc_lo, s39, exec_lo
	s_and_b32 s39, s42, exec_lo
	s_or_b32 s39, vcc_lo, s39
.LBB4_67:                               ;   in Loop: Header=BB4_68 Depth=3
	s_or_b32 exec_lo, exec_lo, s40
	s_waitcnt vmcnt(0) lgkmcnt(0)
	v_add_co_u32 v10, vcc_lo, v34, 8
	v_add_co_ci_u32_e32 v11, vcc_lo, 0, v35, vcc_lo
	s_xor_b32 s40, s39, -1
	s_delay_alu instid0(VALU_DEP_1) | instskip(SKIP_1) | instid1(SALU_CYCLE_1)
	v_cmp_ge_u64_e32 vcc_lo, v[10:11], v[8:9]
	s_or_b32 vcc_lo, s40, vcc_lo
	s_and_b32 vcc_lo, exec_lo, vcc_lo
	s_delay_alu instid0(SALU_CYCLE_1) | instskip(NEXT) | instid1(SALU_CYCLE_1)
	s_or_b32 s38, vcc_lo, s38
	s_and_not1_b32 exec_lo, exec_lo, s38
	s_cbranch_execz .LBB4_74
.LBB4_68:                               ;   Parent Loop BB4_51 Depth=1
                                        ;     Parent Loop BB4_59 Depth=2
                                        ; =>    This Inner Loop Header: Depth=3
	s_sleep 1
	flat_load_b64 v[34:35], v[22:23] glc
	v_and_b32_e32 v10, 64, v30
	s_and_not1_b32 s39, s39, exec_lo
	s_mov_b32 s40, exec_lo
	s_delay_alu instid0(VALU_DEP_1)
	v_cmpx_eq_u32_e32 0, v10
	s_cbranch_execz .LBB4_67
; %bb.69:                               ;   in Loop: Header=BB4_68 Depth=3
	v_add_nc_u32_e32 v10, 1, v2
	s_mov_b32 s42, -1
	s_mov_b32 s41, exec_lo
	v_cmpx_lt_i32_e32 0x270e, v2
	s_cbranch_execz .LBB4_66
; %bb.70:                               ;   in Loop: Header=BB4_68 Depth=3
	s_cbranch_execz .LBB4_71
; %bb.11485:
	s_getpc_b64 s[48:49]
.Lpost_getpc151:
	s_add_u32 s48, s48, (.LBB4_10964-.Lpost_getpc151)&4294967295
	s_addc_u32 s49, s49, (.LBB4_10964-.Lpost_getpc151)>>32
	s_setpc_b64 s[48:49]
.LBB4_71:                               ;   in Loop: Header=BB4_68 Depth=3
	ds_load_b64 v[10:11], v0
	s_mov_b32 s43, exec_lo
	s_waitcnt vmcnt(0) lgkmcnt(0)
	s_waitcnt_vscnt null, 0x0
	flat_load_b32 v2, v[10:11] glc
	s_waitcnt vmcnt(0) lgkmcnt(0)
	buffer_gl1_inv
	buffer_gl0_inv
	v_cmpx_ne_u32_e32 0, v2
	s_cbranch_execz .LBB4_65
; %bb.72:                               ;   in Loop: Header=BB4_68 Depth=3
	ds_store_b32 v0, v2
	s_cbranch_execz .LBB4_73
; %bb.11487:
	s_getpc_b64 s[48:49]
.Lpost_getpc152:
	s_add_u32 s48, s48, (.LBB4_10983-.Lpost_getpc152)&4294967295
	s_addc_u32 s49, s49, (.LBB4_10983-.Lpost_getpc152)>>32
	s_setpc_b64 s[48:49]
.LBB4_73:                               ;   in Loop: Header=BB4_68 Depth=3
	v_or_b32_e32 v30, 64, v30
	s_xor_b32 s42, exec_lo, -1
	s_branch .LBB4_65
.LBB4_74:                               ;   in Loop: Header=BB4_59 Depth=2
	s_or_b32 exec_lo, exec_lo, s38
	v_and_b32_e32 v2, 8, v30
.LBB4_75:                               ;   in Loop: Header=BB4_59 Depth=2
	s_or_b32 exec_lo, exec_lo, s37
	s_delay_alu instid0(VALU_DEP_1)
	v_cmp_eq_u32_e32 vcc_lo, 0, v2
	;;#ASMSTART
	s_wakeup
	;;#ASMEND
	s_or_not1_b32 s37, vcc_lo, exec_lo
.LBB4_76:                               ;   in Loop: Header=BB4_59 Depth=2
	s_or_b32 exec_lo, exec_lo, s13
	v_sub_nc_u32_e32 v2, v66, v67
	s_xor_b32 s13, s37, -1
	s_delay_alu instid0(VALU_DEP_1)
	v_min_i32_e32 v12, v12, v2
	s_and_saveexec_b32 s37, s13
	s_cbranch_execz .LBB4_86
; %bb.77:                               ;   in Loop: Header=BB4_59 Depth=2
	v_and_b32_e32 v2, 0x100, v30
	s_mov_b32 s13, -1
                                        ; implicit-def: $vgpr8_vgpr9
	s_delay_alu instid0(VALU_DEP_1)
	v_cmp_ne_u32_e32 vcc_lo, 0, v2
	v_and_b32_e32 v2, 7, v24
	s_and_saveexec_b32 s38, vcc_lo
	s_cbranch_execz .LBB4_81
; %bb.78:                               ;   in Loop: Header=BB4_59 Depth=2
	s_delay_alu instid0(VALU_DEP_1)
	v_mad_u64_u32 v[10:11], null, v2, 24, v[6:7]
	v_ashrrev_i32_e32 v13, 31, v12
	flat_load_b32 v8, v[10:11]
	flat_store_b64 v[10:11], v[12:13] offset:8
	s_waitcnt vmcnt(0) lgkmcnt(1)
	v_cmp_ne_u32_e32 vcc_lo, 1, v8
	v_cmp_eq_u32_e64 s13, 1, v8
                                        ; implicit-def: $vgpr8_vgpr9
	s_delay_alu instid0(VALU_DEP_1)
	s_and_saveexec_b32 s39, s13
	s_cbranch_execz .LBB4_80
; %bb.79:                               ;   in Loop: Header=BB4_59 Depth=2
	flat_load_b32 v8, v[10:11] offset:4 glc
	s_waitcnt vmcnt(0) lgkmcnt(0)
	v_ashrrev_i32_e32 v9, 31, v8
.LBB4_80:                               ;   in Loop: Header=BB4_59 Depth=2
	s_or_b32 exec_lo, exec_lo, s39
	s_delay_alu instid0(SALU_CYCLE_1)
	s_or_not1_b32 s13, vcc_lo, exec_lo
.LBB4_81:                               ;   in Loop: Header=BB4_59 Depth=2
	s_or_b32 exec_lo, exec_lo, s38
	s_and_saveexec_b32 vcc_lo, s13
; %bb.82:                               ;   in Loop: Header=BB4_59 Depth=2
	v_mad_i64_i32 v[8:9], null, v2, v70, 0
; %bb.83:                               ;   in Loop: Header=BB4_59 Depth=2
	s_or_b32 exec_lo, exec_lo, vcc_lo
	s_delay_alu instid0(VALU_DEP_1) | instskip(SKIP_1) | instid1(VALU_DEP_3)
	v_add_co_u32 v8, vcc_lo, v26, v8
	v_and_b32_e32 v2, 0x2000, v30
	v_add_co_ci_u32_e32 v9, vcc_lo, v27, v9, vcc_lo
	s_mov_b32 s13, exec_lo
	ds_store_b64 v0, v[8:9] offset:784
	v_cmpx_ne_u32_e32 0, v2
	s_cbranch_execz .LBB4_85
; %bb.84:                               ;   in Loop: Header=BB4_59 Depth=2
	ds_load_b64 v[8:9], v0 offset:584
	s_waitcnt lgkmcnt(0)
	v_add_co_u32 v8, vcc_lo, v8, 1
	v_add_co_ci_u32_e32 v9, vcc_lo, 0, v9, vcc_lo
	ds_store_b64 v0, v[8:9] offset:584
.LBB4_85:                               ;   in Loop: Header=BB4_59 Depth=2
	s_or_b32 exec_lo, exec_lo, s13
	v_add_co_u32 v24, vcc_lo, v24, 2
	v_add_co_ci_u32_e32 v25, vcc_lo, 0, v25, vcc_lo
.LBB4_86:                               ;   in Loop: Header=BB4_59 Depth=2
	s_or_b32 exec_lo, exec_lo, s37
	s_and_saveexec_b32 s13, s3
	s_cbranch_execz .LBB4_108
; %bb.87:                               ;   in Loop: Header=BB4_59 Depth=2
	s_and_saveexec_b32 vcc_lo, s4
	s_delay_alu instid0(SALU_CYCLE_1)
	s_xor_b32 s37, exec_lo, vcc_lo
	s_cbranch_execz .LBB4_105
; %bb.88:                               ;   in Loop: Header=BB4_59 Depth=2
	s_and_saveexec_b32 s38, s1
	s_cbranch_execz .LBB4_104
; %bb.89:                               ;   in Loop: Header=BB4_59 Depth=2
	s_mov_b32 s40, exec_lo
	s_mov_b32 s39, exec_lo
	v_mbcnt_lo_u32_b32 v2, s40, 0
	s_waitcnt lgkmcnt(0)
	s_waitcnt_vscnt null, 0x0
	buffer_gl1_inv
	buffer_gl0_inv
	v_cmpx_eq_u32_e32 0, v2
	s_cbranch_execz .LBB4_91
; %bb.90:                               ;   in Loop: Header=BB4_59 Depth=2
	s_bcnt1_i32_b32 vcc_lo, s40
	s_delay_alu instid0(SALU_CYCLE_1)
	v_mov_b32_e32 v2, vcc_lo
	ds_add_u64 v0, v[2:3]
	s_cbranch_execz .LBB4_91
; %bb.11489:
	s_getpc_b64 s[48:49]
.Lpost_getpc153:
	s_add_u32 s48, s48, (.LBB4_11009-.Lpost_getpc153)&4294967295
	s_addc_u32 s49, s49, (.LBB4_11009-.Lpost_getpc153)>>32
	s_setpc_b64 s[48:49]
.LBB4_91:                               ;   in Loop: Header=BB4_59 Depth=2
	s_or_b32 exec_lo, exec_lo, s39
	s_cbranch_execz .LBB4_92
; %bb.11491:
	s_getpc_b64 s[48:49]
.Lpost_getpc154:
	s_add_u32 s48, s48, (.LBB4_10989-.Lpost_getpc154)&4294967295
	s_addc_u32 s49, s49, (.LBB4_10989-.Lpost_getpc154)>>32
	s_setpc_b64 s[48:49]
.LBB4_92:                               ;   in Loop: Header=BB4_59 Depth=2
	ds_load_b64 v[8:9], v0
	v_add_co_u32 v32, vcc_lo, v32, v81
	v_add_co_ci_u32_e32 v33, vcc_lo, 0, v33, vcc_lo
	s_mov_b32 s39, exec_lo
	s_waitcnt lgkmcnt(0)
	s_delay_alu instid0(VALU_DEP_1)
	v_cmpx_lt_u64_e64 v[8:9], v[32:33]
	s_cbranch_execz .LBB4_103
; %bb.93:                               ;   in Loop: Header=BB4_59 Depth=2
	s_mov_b32 s40, 0
	s_mov_b32 s43, 0
                                        ; implicit-def: $sgpr41
                                        ; implicit-def: $sgpr42
	s_branch .LBB4_95
.LBB4_94:                               ;   in Loop: Header=BB4_95 Depth=3
	s_or_b32 exec_lo, exec_lo, s45
	s_delay_alu instid0(SALU_CYCLE_1) | instskip(NEXT) | instid1(SALU_CYCLE_1)
	s_and_b32 vcc_lo, exec_lo, vcc_lo
	s_or_b32 s40, vcc_lo, s40
	s_and_not1_b32 vcc_lo, s41, exec_lo
	s_and_b32 s41, s42, exec_lo
	s_delay_alu instid0(SALU_CYCLE_1)
	s_or_b32 s41, vcc_lo, s41
	s_and_not1_b32 exec_lo, exec_lo, s40
	s_cbranch_execz .LBB4_101
.LBB4_95:                               ;   Parent Loop BB4_51 Depth=1
                                        ;     Parent Loop BB4_59 Depth=2
                                        ; =>    This Inner Loop Header: Depth=3
	s_add_i32 s43, s43, 1
                                        ; implicit-def: $sgpr45
	s_delay_alu instid0(SALU_CYCLE_1) | instskip(SKIP_1) | instid1(SALU_CYCLE_1)
	s_cmpk_lg_i32 s43, 0x2710
	s_cselect_b32 s44, -1, 0
	s_and_b32 vcc_lo, exec_lo, s44
	s_cbranch_vccz .LBB4_99
.LBB4_96:                               ;   in Loop: Header=BB4_95 Depth=3
	s_and_not1_b32 s42, s42, exec_lo
	s_and_b32 s45, s45, exec_lo
	s_mov_b32 vcc_lo, -1
	s_or_b32 s42, s42, s45
	s_and_saveexec_b32 s45, s44
	s_cbranch_execz .LBB4_94
; %bb.97:                               ;   in Loop: Header=BB4_95 Depth=3
	s_sleep 1
	s_cbranch_execz .LBB4_98
; %bb.11493:
	s_getpc_b64 s[48:49]
.Lpost_getpc155:
	s_add_u32 s48, s48, (.LBB4_11037-.Lpost_getpc155)&4294967295
	s_addc_u32 s49, s49, (.LBB4_11037-.Lpost_getpc155)>>32
	s_setpc_b64 s[48:49]
.LBB4_98:                               ;   in Loop: Header=BB4_95 Depth=3
	ds_load_b64 v[8:9], v0
	s_and_not1_b32 s42, s42, exec_lo
	s_waitcnt lgkmcnt(0)
	v_cmp_ge_u64_e32 vcc_lo, v[8:9], v[32:33]
	s_or_not1_b32 vcc_lo, vcc_lo, exec_lo
	s_branch .LBB4_94
.LBB4_99:                               ;   in Loop: Header=BB4_95 Depth=3
	s_cbranch_execz .LBB4_100
; %bb.11495:
	s_getpc_b64 s[48:49]
.Lpost_getpc156:
	s_add_u32 s48, s48, (.LBB4_11045-.Lpost_getpc156)&4294967295
	s_addc_u32 s49, s49, (.LBB4_11045-.Lpost_getpc156)>>32
	s_setpc_b64 s[48:49]
.LBB4_100:                              ;   in Loop: Header=BB4_95 Depth=3
	ds_load_b64 v[8:9], v0
	s_and_not1_b32 s44, s44, exec_lo
	s_mov_b32 s43, 0
	s_mov_b32 s45, -1
	s_waitcnt lgkmcnt(0)
	flat_load_b32 v2, v[8:9] glc
	s_waitcnt vmcnt(0) lgkmcnt(0)
	buffer_gl1_inv
	buffer_gl0_inv
	v_cmp_eq_u32_e32 vcc_lo, 0, v2
	s_and_b32 vcc_lo, vcc_lo, exec_lo
	s_delay_alu instid0(SALU_CYCLE_1)
	s_or_b32 s44, s44, vcc_lo
	s_branch .LBB4_96
.LBB4_101:                              ;   in Loop: Header=BB4_59 Depth=2
	s_or_b32 exec_lo, exec_lo, s40
	s_and_saveexec_b32 vcc_lo, s41
	s_delay_alu instid0(SALU_CYCLE_1)
	s_xor_b32 vcc_lo, exec_lo, vcc_lo
	s_cbranch_execz .LBB4_103
; %bb.102:                              ;   in Loop: Header=BB4_59 Depth=2
	ds_store_b32 v0, v118
	s_cbranch_execz .LBB4_103
; %bb.11497:
	s_getpc_b64 s[48:49]
.Lpost_getpc157:
	s_add_u32 s48, s48, (.LBB4_11265-.Lpost_getpc157)&4294967295
	s_addc_u32 s49, s49, (.LBB4_11265-.Lpost_getpc157)>>32
	s_setpc_b64 s[48:49]
.LBB4_103:                              ;   in Loop: Header=BB4_59 Depth=2
	s_or_b32 exec_lo, exec_lo, s39
	;;#ASMSTART
	s_wakeup
	;;#ASMEND
.LBB4_104:                              ;   in Loop: Header=BB4_59 Depth=2
	s_or_b32 exec_lo, exec_lo, s38
.LBB4_105:                              ;   in Loop: Header=BB4_59 Depth=2
	s_and_not1_saveexec_b32 vcc_lo, s37
	s_cbranch_execz .LBB4_107
; %bb.106:                              ;   in Loop: Header=BB4_59 Depth=2
	s_waitcnt lgkmcnt(0)
	s_waitcnt_vscnt null, 0x0
	buffer_gl1_inv
	buffer_gl0_inv
	s_barrier
.LBB4_107:                              ;   in Loop: Header=BB4_59 Depth=2
	s_or_b32 exec_lo, exec_lo, vcc_lo
.LBB4_108:                              ;   in Loop: Header=BB4_59 Depth=2
	s_delay_alu instid0(SALU_CYCLE_1)
	s_or_b32 exec_lo, exec_lo, s13
	s_cbranch_execz .LBB4_109
; %bb.11499:
	s_getpc_b64 s[48:49]
.Lpost_getpc158:
	s_add_u32 s48, s48, (.LBB4_10940-.Lpost_getpc158)&4294967295
	s_addc_u32 s49, s49, (.LBB4_10940-.Lpost_getpc158)>>32
	s_setpc_b64 s[48:49]
.LBB4_109:                              ;   in Loop: Header=BB4_59 Depth=2
	ds_load_b32 v8, v0
	v_and_b32_e32 v2, 0x4000, v30
	s_xor_b32 s13, s2, -1
	s_delay_alu instid0(VALU_DEP_1) | instskip(SKIP_1) | instid1(SALU_CYCLE_1)
	v_cmp_ne_u32_e32 vcc_lo, 0, v2
	s_and_b32 vcc_lo, s13, vcc_lo
	s_and_saveexec_b32 s13, vcc_lo
	s_cbranch_execz .LBB4_131
; %bb.110:                              ;   in Loop: Header=BB4_59 Depth=2
	s_and_saveexec_b32 vcc_lo, s4
	s_delay_alu instid0(SALU_CYCLE_1)
	s_xor_b32 s37, exec_lo, vcc_lo
	s_cbranch_execz .LBB4_128
; %bb.111:                              ;   in Loop: Header=BB4_59 Depth=2
	s_and_saveexec_b32 s38, s1
	s_cbranch_execz .LBB4_127
; %bb.112:                              ;   in Loop: Header=BB4_59 Depth=2
	s_mov_b32 s40, exec_lo
	s_mov_b32 s39, exec_lo
	v_mbcnt_lo_u32_b32 v2, s40, 0
	s_waitcnt lgkmcnt(0)
	s_waitcnt_vscnt null, 0x0
	buffer_gl1_inv
	buffer_gl0_inv
	v_cmpx_eq_u32_e32 0, v2
	s_cbranch_execz .LBB4_114
; %bb.113:                              ;   in Loop: Header=BB4_59 Depth=2
	s_bcnt1_i32_b32 vcc_lo, s40
	s_delay_alu instid0(SALU_CYCLE_1)
	v_mov_b32_e32 v2, vcc_lo
	ds_add_u64 v0, v[2:3]
	s_cbranch_execz .LBB4_114
; %bb.11501:
	s_getpc_b64 s[48:49]
.Lpost_getpc159:
	s_add_u32 s48, s48, (.LBB4_11035-.Lpost_getpc159)&4294967295
	s_addc_u32 s49, s49, (.LBB4_11035-.Lpost_getpc159)>>32
	s_setpc_b64 s[48:49]
.LBB4_114:                              ;   in Loop: Header=BB4_59 Depth=2
	s_or_b32 exec_lo, exec_lo, s39
	s_cbranch_execz .LBB4_115
; %bb.11503:
	s_getpc_b64 s[48:49]
.Lpost_getpc160:
	s_add_u32 s48, s48, (.LBB4_11023-.Lpost_getpc160)&4294967295
	s_addc_u32 s49, s49, (.LBB4_11023-.Lpost_getpc160)>>32
	s_setpc_b64 s[48:49]
.LBB4_115:                              ;   in Loop: Header=BB4_59 Depth=2
	ds_load_b64 v[9:10], v0
	v_add_co_u32 v32, vcc_lo, v32, v81
	v_add_co_ci_u32_e32 v33, vcc_lo, 0, v33, vcc_lo
	s_mov_b32 s39, exec_lo
	s_waitcnt lgkmcnt(0)
	s_delay_alu instid0(VALU_DEP_1)
	v_cmpx_lt_u64_e64 v[9:10], v[32:33]
	s_cbranch_execz .LBB4_126
; %bb.116:                              ;   in Loop: Header=BB4_59 Depth=2
	s_mov_b32 s40, 0
	s_mov_b32 s43, 0
                                        ; implicit-def: $sgpr41
                                        ; implicit-def: $sgpr42
	s_branch .LBB4_118
.LBB4_117:                              ;   in Loop: Header=BB4_118 Depth=3
	s_or_b32 exec_lo, exec_lo, s45
	s_delay_alu instid0(SALU_CYCLE_1) | instskip(NEXT) | instid1(SALU_CYCLE_1)
	s_and_b32 vcc_lo, exec_lo, vcc_lo
	s_or_b32 s40, vcc_lo, s40
	s_and_not1_b32 vcc_lo, s41, exec_lo
	s_and_b32 s41, s42, exec_lo
	s_delay_alu instid0(SALU_CYCLE_1)
	s_or_b32 s41, vcc_lo, s41
	s_and_not1_b32 exec_lo, exec_lo, s40
	s_cbranch_execz .LBB4_124
.LBB4_118:                              ;   Parent Loop BB4_51 Depth=1
                                        ;     Parent Loop BB4_59 Depth=2
                                        ; =>    This Inner Loop Header: Depth=3
	s_add_i32 s43, s43, 1
                                        ; implicit-def: $sgpr45
	s_delay_alu instid0(SALU_CYCLE_1) | instskip(SKIP_1) | instid1(SALU_CYCLE_1)
	s_cmpk_lg_i32 s43, 0x2710
	s_cselect_b32 s44, -1, 0
	s_and_b32 vcc_lo, exec_lo, s44
	s_cbranch_vccz .LBB4_122
.LBB4_119:                              ;   in Loop: Header=BB4_118 Depth=3
	s_and_not1_b32 s42, s42, exec_lo
	s_and_b32 s45, s45, exec_lo
	s_mov_b32 vcc_lo, -1
	s_or_b32 s42, s42, s45
	s_and_saveexec_b32 s45, s44
	s_cbranch_execz .LBB4_117
; %bb.120:                              ;   in Loop: Header=BB4_118 Depth=3
	s_sleep 1
	s_cbranch_execz .LBB4_121
; %bb.11505:
	s_getpc_b64 s[48:49]
.Lpost_getpc161:
	s_add_u32 s48, s48, (.LBB4_11077-.Lpost_getpc161)&4294967295
	s_addc_u32 s49, s49, (.LBB4_11077-.Lpost_getpc161)>>32
	s_setpc_b64 s[48:49]
.LBB4_121:                              ;   in Loop: Header=BB4_118 Depth=3
	ds_load_b64 v[9:10], v0
	s_and_not1_b32 s42, s42, exec_lo
	s_waitcnt lgkmcnt(0)
	v_cmp_ge_u64_e32 vcc_lo, v[9:10], v[32:33]
	s_or_not1_b32 vcc_lo, vcc_lo, exec_lo
	s_branch .LBB4_117
.LBB4_122:                              ;   in Loop: Header=BB4_118 Depth=3
	s_cbranch_execz .LBB4_123
; %bb.11507:
	s_getpc_b64 s[48:49]
.Lpost_getpc162:
	s_add_u32 s48, s48, (.LBB4_11095-.Lpost_getpc162)&4294967295
	s_addc_u32 s49, s49, (.LBB4_11095-.Lpost_getpc162)>>32
	s_setpc_b64 s[48:49]
.LBB4_123:                              ;   in Loop: Header=BB4_118 Depth=3
	ds_load_b64 v[9:10], v0
	s_and_not1_b32 s44, s44, exec_lo
	s_mov_b32 s43, 0
	s_mov_b32 s45, -1
	s_waitcnt lgkmcnt(0)
	flat_load_b32 v2, v[9:10] glc
	s_waitcnt vmcnt(0) lgkmcnt(0)
	buffer_gl1_inv
	buffer_gl0_inv
	v_cmp_eq_u32_e32 vcc_lo, 0, v2
	s_and_b32 vcc_lo, vcc_lo, exec_lo
	s_delay_alu instid0(SALU_CYCLE_1)
	s_or_b32 s44, s44, vcc_lo
	s_branch .LBB4_119
.LBB4_124:                              ;   in Loop: Header=BB4_59 Depth=2
	s_or_b32 exec_lo, exec_lo, s40
	s_and_saveexec_b32 vcc_lo, s41
	s_delay_alu instid0(SALU_CYCLE_1)
	s_xor_b32 vcc_lo, exec_lo, vcc_lo
	s_cbranch_execz .LBB4_126
; %bb.125:                              ;   in Loop: Header=BB4_59 Depth=2
	ds_store_b32 v0, v118
	s_cbranch_execz .LBB4_126
; %bb.11509:
	s_getpc_b64 s[48:49]
.Lpost_getpc163:
	s_add_u32 s48, s48, (.LBB4_11317-.Lpost_getpc163)&4294967295
	s_addc_u32 s49, s49, (.LBB4_11317-.Lpost_getpc163)>>32
	s_setpc_b64 s[48:49]
.LBB4_126:                              ;   in Loop: Header=BB4_59 Depth=2
	s_or_b32 exec_lo, exec_lo, s39
	;;#ASMSTART
	s_wakeup
	;;#ASMEND
.LBB4_127:                              ;   in Loop: Header=BB4_59 Depth=2
	s_or_b32 exec_lo, exec_lo, s38
.LBB4_128:                              ;   in Loop: Header=BB4_59 Depth=2
	s_and_not1_saveexec_b32 vcc_lo, s37
	s_cbranch_execz .LBB4_130
; %bb.129:                              ;   in Loop: Header=BB4_59 Depth=2
	s_waitcnt lgkmcnt(0)
	s_waitcnt_vscnt null, 0x0
	buffer_gl1_inv
	buffer_gl0_inv
	s_barrier
.LBB4_130:                              ;   in Loop: Header=BB4_59 Depth=2
	s_or_b32 exec_lo, exec_lo, vcc_lo
.LBB4_131:                              ;   in Loop: Header=BB4_59 Depth=2
	s_delay_alu instid0(SALU_CYCLE_1)
	s_or_b32 exec_lo, exec_lo, s13
	s_cbranch_execz .LBB4_132
; %bb.11511:
	s_getpc_b64 s[48:49]
.Lpost_getpc164:
	s_add_u32 s48, s48, (.LBB4_10966-.Lpost_getpc164)&4294967295
	s_addc_u32 s49, s49, (.LBB4_10966-.Lpost_getpc164)>>32
	s_setpc_b64 s[48:49]
.LBB4_132:                              ;   in Loop: Header=BB4_59 Depth=2
	ds_load_b64 v[9:10], v0
	v_mov_b32_e32 v13, 0
	s_waitcnt lgkmcnt(0)
	v_cmp_eq_u64_e32 vcc_lo, 0, v[9:10]
	s_or_b32 s13, vcc_lo, vcc_lo
	s_delay_alu instid0(SALU_CYCLE_1)
	s_and_b32 vcc_lo, exec_lo, s13
	s_cbranch_vccnz .LBB4_1756
; %bb.133:                              ;   in Loop: Header=BB4_59 Depth=2
	v_writelane_b32 v122, s36, 0
	s_mov_b32 s13, -1
	v_writelane_b32 v122, s31, 1
	v_writelane_b32 v122, s30, 2
	;; [unrolled: 1-line block ×5, first 2 shown]
	s_and_saveexec_b32 s14, s5
	s_cbranch_execz .LBB4_135
; %bb.134:                              ;   in Loop: Header=BB4_59 Depth=2
	ds_load_b32 v2, v0 offset:720
	s_waitcnt lgkmcnt(0)
	v_and_b32_e32 v2, 15, v2
	s_delay_alu instid0(VALU_DEP_1)
	v_cmp_eq_u32_e32 vcc_lo, 0, v2
	s_or_not1_b32 s13, vcc_lo, exec_lo
.LBB4_135:                              ;   in Loop: Header=BB4_59 Depth=2
	s_or_b32 exec_lo, exec_lo, s14
	s_and_saveexec_b32 s14, s6
	s_cbranch_execz .LBB4_137
; %bb.136:                              ;   in Loop: Header=BB4_59 Depth=2
	ds_load_b32 v2, v0 offset:784
	s_waitcnt lgkmcnt(0)
	v_and_b32_e32 v2, 15, v2
	s_delay_alu instid0(VALU_DEP_1) | instskip(SKIP_3) | instid1(SALU_CYCLE_1)
	v_cmp_eq_u32_e32 vcc_lo, 0, v2
	s_and_b32 vcc_lo, s13, vcc_lo
	s_and_not1_b32 s13, s13, exec_lo
	s_and_b32 vcc_lo, vcc_lo, exec_lo
	s_or_b32 s13, s13, vcc_lo
.LBB4_137:                              ;   in Loop: Header=BB4_59 Depth=2
	s_or_b32 exec_lo, exec_lo, s14
	v_cmp_eq_u32_e32 vcc_lo, 0, v8
	s_xor_b32 s13, s13, -1
	v_mov_b32_e32 v65, v0
	v_cndmask_b32_e64 v2, 0, 1, s13
	;;#ASMSTART
	;;#ASMEND
	v_dual_cndmask_b32 v13, 0, v12 :: v_dual_mov_b32 v54, 0
	s_delay_alu instid0(VALU_DEP_2) | instskip(SKIP_1) | instid1(VALU_DEP_2)
	v_cmp_ne_u32_e32 vcc_lo, 0, v2
	s_mov_b32 s13, -1
	v_dual_mov_b32 v10, v83 :: v_dual_mov_b32 v55, v13
	s_cbranch_vccnz .LBB4_1451
; %bb.138:                              ;   in Loop: Header=BB4_59 Depth=2
	v_ashrrev_i32_e32 v2, 31, v13
	s_mov_b32 s14, exec_lo
	s_delay_alu instid0(VALU_DEP_1) | instskip(NEXT) | instid1(VALU_DEP_1)
	v_lshrrev_b32_e32 v2, 21, v2
	v_add_nc_u32_e32 v2, v13, v2
	s_delay_alu instid0(VALU_DEP_1) | instskip(NEXT) | instid1(VALU_DEP_1)
	v_ashrrev_i32_e32 v72, 11, v2
	v_sub_nc_u32_e32 v2, v72, v83
	s_delay_alu instid0(VALU_DEP_1)
	v_cmpx_lt_i32_e32 0, v2
	s_cbranch_execz .LBB4_1176
; %bb.139:                              ;   in Loop: Header=BB4_59 Depth=2
	s_cbranch_execz .LBB4_140
; %bb.11513:
	s_getpc_b64 s[48:49]
.Lpost_getpc165:
	s_add_u32 s48, s48, (.LBB4_11049-.Lpost_getpc165)&4294967295
	s_addc_u32 s49, s49, (.LBB4_11049-.Lpost_getpc165)>>32
	s_setpc_b64 s[48:49]
.LBB4_140:                              ;   in Loop: Header=BB4_59 Depth=2
	ds_load_b64 v[52:53], v0
	s_waitcnt lgkmcnt(0)
	v_readfirstlane_b32 s13, v52
	v_mov_b32_e32 v55, v53
	v_dual_mov_b32 v54, v52 :: v_dual_and_b32 v69, 0xff, v52
	s_delay_alu instid0(VALU_DEP_3) | instskip(SKIP_2) | instid1(SALU_CYCLE_1)
	s_and_b32 vcc_lo, s13, 3
	s_bfe_u32 s34, s13, 0x50002
	s_clz_i32_u32 s30, vcc_lo
	s_min_u32 s30, s30, 32
	s_delay_alu instid0(SALU_CYCLE_1) | instskip(SKIP_2) | instid1(SALU_CYCLE_1)
	s_sub_i32 s31, s30, 29
	s_sub_i32 s30, 30, s30
	s_lshl_b32 s31, s13, s31
	s_and_b32 s31, s31, 3
	s_cmp_eq_u32 s34, 0
	s_cselect_b32 s30, s30, s34
	s_cselect_b32 vcc_lo, s31, vcc_lo
	s_lshl_b32 s13, s13, 24
	s_lshl_b32 s30, s30, 23
	s_and_b32 s13, s13, 0x80000000
	s_add_i32 s30, s30, 0x37800000
	s_lshl_b32 vcc_lo, vcc_lo, 21
	s_or_b32 s13, s13, s30
	s_mov_b32 s30, 0
	s_or_b32 s31, s13, vcc_lo
	s_branch .LBB4_144
.LBB4_141:                              ;   in Loop: Header=BB4_144 Depth=3
	s_or_b32 exec_lo, exec_lo, s13
	s_delay_alu instid0(VALU_DEP_1) | instskip(NEXT) | instid1(VALU_DEP_2)
	v_lshrrev_b32_e32 v77, 21, v77
	v_cmp_gt_i32_e32 vcc_lo, 32, v11
	v_min_i32_e32 v78, 31, v11
	v_lshrrev_b32_e32 v79, 24, v109
	v_dual_mov_b32 v90, v59 :: v_dual_mov_b32 v89, v60
	s_delay_alu instid0(VALU_DEP_3) | instskip(NEXT) | instid1(VALU_DEP_3)
	v_dual_cndmask_b32 v77, 3, v77 :: v_dual_lshlrev_b32 v78, 2, v78
	v_and_b32_e32 v79, 0x80, v79
	v_dual_mov_b32 v91, v61 :: v_dual_mov_b32 v94, v63
	s_delay_alu instid0(VALU_DEP_3) | instskip(SKIP_2) | instid1(VALU_DEP_3)
	v_or_b32_e32 v11, v11, v77
	v_dual_mov_b32 v93, v62 :: v_dual_and_b32 v88, 3, v77
	v_mov_b32_e32 v92, v58
	v_cmp_ne_u32_e32 vcc_lo, 0, v11
	v_and_b32_e32 v78, 0xfc, v78
	s_delay_alu instid0(VALU_DEP_1) | instskip(SKIP_1) | instid1(VALU_DEP_2)
	v_or3_b32 v78, v79, v78, v88
	v_dual_mov_b32 v79, v57 :: v_dual_mov_b32 v88, v47
	v_dual_mov_b32 v78, v68 :: v_dual_lshlrev_b32 v77, 8, v78
	s_delay_alu instid0(VALU_DEP_1)
	v_cndmask_b32_e32 v11, 0, v77, vcc_lo
	v_mov_b32_e32 v77, v56
.LBB4_142:                              ;   in Loop: Header=BB4_144 Depth=3
	s_or_b32 exec_lo, exec_lo, s35
.LBB4_143:                              ;   in Loop: Header=BB4_144 Depth=3
	s_delay_alu instid0(SALU_CYCLE_1)
	s_or_b32 exec_lo, exec_lo, s34
	v_or_b32_e32 v68, v88, v78
	v_and_b32_e32 v43, 0xff, v43
	v_lshlrev_b32_e32 v42, 8, v42
	v_or_b32_e32 v57, v94, v93
	v_lshlrev_b32_e32 v44, 24, v44
	v_lshlrev_b32_e32 v68, 16, v68
	;; [unrolled: 1-line block ×3, first 2 shown]
	v_perm_b32 v41, v42, v41, 0xc0c0500
	v_or_b32_e32 v167, v176, v167
	v_and_b32_e32 v163, 0xff, v163
	v_or3_b32 v42, v46, v45, v68
	v_lshlrev_b32_e32 v68, 16, v57
	v_or3_b32 v41, v44, v43, v41
	v_lshlrev_b32_e32 v162, 8, v162
	v_lshlrev_b32_e32 v176, 8, v178
	v_or_b32_e32 v178, v40, v183
	v_or3_b32 v44, v91, v89, v68
	v_lshlrev_b32_e32 v68, 16, v167
	v_lshlrev_b32_e32 v164, 24, v164
	v_lshlrev_b32_e32 v163, 16, v163
	v_perm_b32 v161, v162, v161, 0xc0c0500
	v_or_b32_e32 v135, v144, v135
	v_or3_b32 v162, v166, v165, v68
	v_lshlrev_b32_e32 v68, 16, v178
	v_and_b32_e32 v131, 0xff, v131
	v_or3_b32 v161, v164, v163, v161
	v_lshlrev_b32_e32 v130, 8, v130
	v_lshlrev_b32_e32 v144, 8, v146
	v_or3_b32 v164, v182, v181, v68
	v_lshlrev_b32_e32 v68, 16, v135
	v_or_b32_e32 v146, v160, v151
	v_and_b32_e32 v135, 0xff, v147
	v_lshlrev_b32_e32 v132, 24, v132
	v_lshlrev_b32_e32 v131, 16, v131
	v_perm_b32 v129, v130, v129, 0xc0c0500
	v_or3_b32 v130, v134, v133, v68
	v_lshlrev_b32_e32 v68, 16, v146
	v_and_b32_e32 v133, 0xff, v73
	v_lshlrev_b32_e32 v147, 24, v148
	v_lshlrev_b32_e32 v135, 16, v135
	v_perm_b32 v144, v144, v145, 0xc0c0500
	v_lshlrev_b32_e32 v65, 8, v65
	v_and_b32_e32 v47, 0xff, v92
	v_lshlrev_b32_e32 v56, 8, v79
	v_and_b32_e32 v167, 0xff, v179
	v_or_b32_e32 v9, v9, v76
	v_or3_b32 v129, v132, v131, v129
	v_or3_b32 v132, v150, v149, v68
	v_lshlrev_b32_e32 v68, 16, v133
	v_and_b32_e32 v133, 0xff, v105
	v_lshlrev_b32_e32 v134, 8, v104
	v_or_b32_e32 v11, v11, v108
	v_or3_b32 v131, v147, v135, v144
	v_perm_b32 v135, v65, v64, 0xc0c0500
	v_add_co_u32 v64, vcc_lo, v86, v52
	v_sub_nc_u32_e32 v2, v2, v81
	v_add_co_ci_u32_e32 v65, vcc_lo, v96, v53, vcc_lo
	v_lshlrev_b32_e32 v58, 24, v90
	v_lshlrev_b32_e32 v47, 16, v47
	v_perm_b32 v56, v56, v77, 0xc0c0500
	v_add_co_u32 v54, vcc_lo, v54, v97
	v_lshlrev_b32_e32 v179, 24, v180
	v_lshlrev_b32_e32 v167, 16, v167
	v_perm_b32 v176, v176, v177, 0xc0c0500
	v_lshlrev_b32_e32 v9, 16, v9
	v_lshlrev_b32_e32 v8, 24, v8
	;; [unrolled: 1-line block ×4, first 2 shown]
	v_perm_b32 v134, v134, v95, 0xc0c0500
	v_lshlrev_b32_e32 v11, 16, v11
	v_add_co_ci_u32_e32 v55, vcc_lo, v55, v98, vcc_lo
	v_cmp_gt_i32_e32 vcc_lo, 1, v2
	v_add_co_u32 v52, s13, v52, v97
	v_or3_b32 v43, v58, v47, v56
	v_add_co_ci_u32_e64 v53, s13, v53, v98, s13
	v_or3_b32 v163, v179, v167, v176
	v_or3_b32 v9, v75, v74, v9
	;; [unrolled: 1-line block ×5, first 2 shown]
	s_or_b32 s30, vcc_lo, s30
	s_clause 0x3
	global_store_b128 v[64:65], v[129:132], off glc slc dlc
	global_store_b128 v[64:65], v[161:164], off offset:512 glc slc dlc
	global_store_b128 v[64:65], v[41:44], off offset:1024 glc slc dlc
	;; [unrolled: 1-line block ×3, first 2 shown]
	s_and_not1_b32 exec_lo, exec_lo, s30
	s_cbranch_execz .LBB4_1175
.LBB4_144:                              ;   Parent Loop BB4_51 Depth=1
                                        ;     Parent Loop BB4_59 Depth=2
                                        ; =>    This Inner Loop Header: Depth=3
	v_cmp_gt_i16_e32 vcc_lo, 0x80, v69
	s_cbranch_vccnz .LBB4_148
; %bb.145:                              ;   in Loop: Header=BB4_144 Depth=3
	v_cmp_eq_u16_e32 vcc_lo, 0x80, v69
	s_mov_b32 s13, -1
                                        ; implicit-def: $sgpr34
	s_cbranch_vccz .LBB4_147
; %bb.146:                              ;   in Loop: Header=BB4_144 Depth=3
	s_mov_b32 s13, 0
	s_mov_b32 s34, 0x7f800001
.LBB4_147:                              ;   in Loop: Header=BB4_144 Depth=3
	s_mov_b32 vcc_lo, 0
	s_branch .LBB4_149
.LBB4_148:                              ;   in Loop: Header=BB4_144 Depth=3
	s_mov_b32 vcc_lo, -1
	s_mov_b32 s13, 0
                                        ; implicit-def: $sgpr34
.LBB4_149:                              ;   in Loop: Header=BB4_144 Depth=3
	s_and_b32 vcc_lo, exec_lo, vcc_lo
	s_cbranch_vccz .LBB4_151
; %bb.150:                              ;   in Loop: Header=BB4_144 Depth=3
	v_cmp_ne_u16_e64 s13, 0, v69
	s_mov_b32 s34, 0
.LBB4_151:                              ;   in Loop: Header=BB4_144 Depth=3
	s_delay_alu instid0(VALU_DEP_1)
	s_and_not1_b32 vcc_lo, exec_lo, s13
	s_cbranch_vccnz .LBB4_153
; %bb.152:                              ;   in Loop: Header=BB4_144 Depth=3
	s_mov_b32 s34, s31
.LBB4_153:                              ;   in Loop: Header=BB4_144 Depth=3
	v_add_co_u32 v64, vcc_lo, v86, v54
	v_add_co_ci_u32_e32 v65, vcc_lo, v96, v55, vcc_lo
	s_mov_b32 s13, 0
	s_mov_b32 s36, exec_lo
                                        ; implicit-def: $sgpr35
	global_load_b128 v[8:11], v[64:65], off slc dlc
	s_waitcnt vmcnt(0)
	v_and_b32_e32 v129, 0xff, v8
	s_delay_alu instid0(VALU_DEP_1)
	v_cmpx_lt_i16_e64 0x7f, v129
	s_xor_b32 s36, exec_lo, s36
	s_cbranch_execnz .LBB4_919
; %bb.154:                              ;   in Loop: Header=BB4_144 Depth=3
	s_or_saveexec_b32 s36, s36
	v_mov_b32_e32 v68, s35
	s_xor_b32 exec_lo, exec_lo, s36
	s_cbranch_execnz .LBB4_922
.LBB4_155:                              ;   in Loop: Header=BB4_144 Depth=3
	s_or_b32 exec_lo, exec_lo, s36
	s_and_saveexec_b32 s35, s13
	s_cbranch_execz .LBB4_157
.LBB4_156:                              ;   in Loop: Header=BB4_144 Depth=3
	v_bfe_u32 v131, v8, 2, 5
	v_lshlrev_b32_e32 v132, 24, v8
	s_delay_alu instid0(VALU_DEP_2) | instskip(SKIP_1) | instid1(VALU_DEP_1)
	v_cmp_eq_u32_e32 vcc_lo, 0, v131
	v_and_b32_e32 v68, 3, v8
	v_clz_i32_u32_e32 v129, v68
	s_delay_alu instid0(VALU_DEP_1) | instskip(NEXT) | instid1(VALU_DEP_1)
	v_min_u32_e32 v129, 32, v129
	v_subrev_nc_u32_e32 v130, 29, v129
	v_sub_nc_u32_e32 v129, 30, v129
	s_delay_alu instid0(VALU_DEP_1) | instskip(NEXT) | instid1(VALU_DEP_1)
	v_dual_cndmask_b32 v129, v131, v129 :: v_dual_lshlrev_b32 v130, v130, v8
	v_and_b32_e32 v130, 3, v130
	s_delay_alu instid0(VALU_DEP_2) | instskip(NEXT) | instid1(VALU_DEP_2)
	v_lshl_add_u32 v129, v129, 23, 0x37800000
	v_cndmask_b32_e32 v68, v68, v130, vcc_lo
	v_and_b32_e32 v130, 0x80000000, v132
	s_delay_alu instid0(VALU_DEP_2) | instskip(NEXT) | instid1(VALU_DEP_1)
	v_lshlrev_b32_e32 v68, 21, v68
	v_or3_b32 v68, v130, v129, v68
.LBB4_157:                              ;   in Loop: Header=BB4_144 Depth=3
	s_or_b32 exec_lo, exec_lo, s35
	s_delay_alu instid0(VALU_DEP_1) | instskip(NEXT) | instid1(VALU_DEP_1)
	v_mul_f32_e32 v68, s34, v68
	v_and_b32_e32 v129, 0x7f800000, v68
	s_delay_alu instid0(VALU_DEP_1)
	v_cmp_ne_u32_e32 vcc_lo, 0x7f800000, v129
	v_mov_b32_e32 v129, 0x80
	s_and_saveexec_b32 s35, vcc_lo
	s_cbranch_execz .LBB4_165
; %bb.158:                              ;   in Loop: Header=BB4_144 Depth=3
	v_mov_b32_e32 v129, 0
	s_mov_b32 s36, exec_lo
	v_cmpx_ne_u32_e32 0, v68
	s_cbranch_execz .LBB4_164
; %bb.159:                              ;   in Loop: Header=BB4_144 Depth=3
	v_bfe_u32 v129, v68, 23, 8
	s_delay_alu instid0(VALU_DEP_1) | instskip(SKIP_1) | instid1(VALU_DEP_2)
	v_sub_nc_u32_e32 v131, 0x70, v129
	v_cmp_gt_u32_e32 vcc_lo, 0x71, v129
	v_dual_cndmask_b32 v131, 0, v131 :: v_dual_and_b32 v130, 0x7fffff, v68
	s_delay_alu instid0(VALU_DEP_1) | instskip(SKIP_2) | instid1(VALU_DEP_4)
	v_or_b32_e32 v132, 0x800000, v130
	v_cmp_eq_u32_e32 vcc_lo, 0, v129
	v_add_nc_u32_e32 v129, 0xffffff91, v129
	v_cndmask_b32_e64 v131, v131, 0x6f, vcc_lo
	s_delay_alu instid0(VALU_DEP_4) | instskip(NEXT) | instid1(VALU_DEP_3)
	v_cndmask_b32_e32 v130, v132, v130, vcc_lo
	v_cndmask_b32_e64 v129, v129, 0xffffff92, vcc_lo
	s_delay_alu instid0(VALU_DEP_3) | instskip(NEXT) | instid1(VALU_DEP_3)
	v_lshl_add_u32 v132, 0x200000, v131, -1
	v_lshrrev_b32_e32 v133, v131, v130
	v_lshlrev_b32_e64 v135, v131, 0x100000
	s_delay_alu instid0(VALU_DEP_4) | instskip(NEXT) | instid1(VALU_DEP_4)
	v_add_nc_u32_e32 v131, v131, v129
	v_and_b32_e32 v130, v132, v130
	s_delay_alu instid0(VALU_DEP_4) | instskip(NEXT) | instid1(VALU_DEP_2)
	v_bfe_u32 v134, v133, 21, 1
	v_cmp_eq_u32_e64 s13, v130, v135
	s_delay_alu instid0(VALU_DEP_2) | instskip(NEXT) | instid1(VALU_DEP_1)
	v_add_nc_u32_e32 v132, -1, v134
	v_cndmask_b32_e64 v130, 0, v132, s13
	v_lshrrev_b32_e32 v132, 23, v133
	s_mov_b32 s13, exec_lo
	s_delay_alu instid0(VALU_DEP_2) | instskip(NEXT) | instid1(VALU_DEP_2)
	v_add_nc_u32_e32 v130, v130, v133
	v_xor_b32_e32 v132, 1, v132
	s_delay_alu instid0(VALU_DEP_2) | instskip(NEXT) | instid1(VALU_DEP_1)
	v_and_b32_e32 v129, 0x1fffff, v130
	v_add_nc_u32_e32 v130, v129, v133
                                        ; implicit-def: $vgpr129
	s_delay_alu instid0(VALU_DEP_3)
	v_cmpx_ne_u32_e64 v131, v132
	s_xor_b32 s13, exec_lo, s13
; %bb.160:                              ;   in Loop: Header=BB4_144 Depth=3
	s_delay_alu instid0(VALU_DEP_2) | instskip(SKIP_2) | instid1(VALU_DEP_2)
	v_cmp_lt_u32_e32 vcc_lo, 0xffffff, v130
	v_sub_nc_u32_e32 v129, v131, v132
	v_cndmask_b32_e64 v131, 0, 1, vcc_lo
	v_add_co_ci_u32_e32 v129, vcc_lo, 0, v129, vcc_lo
	s_delay_alu instid0(VALU_DEP_2)
	v_lshrrev_b32_e32 v130, v131, v130
; %bb.161:                              ;   in Loop: Header=BB4_144 Depth=3
	s_and_not1_saveexec_b32 s13, s13
; %bb.162:                              ;   in Loop: Header=BB4_144 Depth=3
	s_delay_alu instid0(VALU_DEP_1)
	v_bfe_u32 v129, v130, 23, 1
; %bb.163:                              ;   in Loop: Header=BB4_144 Depth=3
	s_or_b32 exec_lo, exec_lo, s13
	v_lshrrev_b32_e32 v130, 21, v130
	s_delay_alu instid0(VALU_DEP_2) | instskip(SKIP_2) | instid1(VALU_DEP_2)
	v_cmp_gt_i32_e32 vcc_lo, 32, v129
	v_min_i32_e32 v131, 31, v129
	v_lshrrev_b32_e32 v68, 24, v68
	v_dual_cndmask_b32 v130, 3, v130 :: v_dual_lshlrev_b32 v131, 2, v131
	s_delay_alu instid0(VALU_DEP_2) | instskip(NEXT) | instid1(VALU_DEP_2)
	v_and_b32_e32 v68, 0x80, v68
	v_or_b32_e32 v129, v129, v130
	s_delay_alu instid0(VALU_DEP_1) | instskip(SKIP_1) | instid1(VALU_DEP_1)
	v_cmp_ne_u32_e32 vcc_lo, 0, v129
	v_and_b32_e32 v132, 3, v130
	v_or3_b32 v68, v131, v68, v132
	s_delay_alu instid0(VALU_DEP_1)
	v_cndmask_b32_e32 v129, 0, v68, vcc_lo
.LBB4_164:                              ;   in Loop: Header=BB4_144 Depth=3
	s_or_b32 exec_lo, exec_lo, s36
.LBB4_165:                              ;   in Loop: Header=BB4_144 Depth=3
	s_delay_alu instid0(SALU_CYCLE_1) | instskip(SKIP_3) | instid1(VALU_DEP_1)
	s_or_b32 exec_lo, exec_lo, s35
	v_lshrrev_b16 v68, 8, v8
	s_mov_b32 s13, 0
	s_mov_b32 s36, exec_lo
                                        ; implicit-def: $sgpr35
	v_cmpx_lt_i16_e32 0x7f, v68
	s_xor_b32 s36, exec_lo, s36
	s_cbranch_execnz .LBB4_923
; %bb.166:                              ;   in Loop: Header=BB4_144 Depth=3
	s_or_saveexec_b32 s36, s36
	v_mov_b32_e32 v130, s35
	s_xor_b32 exec_lo, exec_lo, s36
	s_cbranch_execnz .LBB4_926
.LBB4_167:                              ;   in Loop: Header=BB4_144 Depth=3
	s_or_b32 exec_lo, exec_lo, s36
	s_and_saveexec_b32 s35, s13
	s_cbranch_execz .LBB4_169
.LBB4_168:                              ;   in Loop: Header=BB4_144 Depth=3
	v_and_b32_e32 v130, 0xffff, v68
	v_lshlrev_b32_e32 v68, 24, v68
	s_delay_alu instid0(VALU_DEP_2) | instskip(NEXT) | instid1(VALU_DEP_2)
	v_and_b32_e32 v131, 3, v130
	v_and_b32_e32 v68, 0x80000000, v68
	s_delay_alu instid0(VALU_DEP_2) | instskip(NEXT) | instid1(VALU_DEP_1)
	v_clz_i32_u32_e32 v132, v131
	v_min_u32_e32 v132, 32, v132
	s_delay_alu instid0(VALU_DEP_1) | instskip(SKIP_1) | instid1(VALU_DEP_2)
	v_subrev_nc_u32_e32 v133, 29, v132
	v_sub_nc_u32_e32 v132, 30, v132
	v_lshlrev_b32_e32 v133, v133, v130
	v_bfe_u32 v130, v130, 2, 5
	s_delay_alu instid0(VALU_DEP_2) | instskip(NEXT) | instid1(VALU_DEP_2)
	v_and_b32_e32 v133, 3, v133
	v_cmp_eq_u32_e32 vcc_lo, 0, v130
	s_delay_alu instid0(VALU_DEP_2) | instskip(NEXT) | instid1(VALU_DEP_1)
	v_dual_cndmask_b32 v130, v130, v132 :: v_dual_cndmask_b32 v131, v131, v133
	v_lshl_add_u32 v130, v130, 23, 0x37800000
	s_delay_alu instid0(VALU_DEP_2) | instskip(NEXT) | instid1(VALU_DEP_1)
	v_lshlrev_b32_e32 v131, 21, v131
	v_or3_b32 v130, v68, v130, v131
.LBB4_169:                              ;   in Loop: Header=BB4_144 Depth=3
	s_or_b32 exec_lo, exec_lo, s35
	s_delay_alu instid0(VALU_DEP_1) | instskip(NEXT) | instid1(VALU_DEP_1)
	v_mul_f32_e32 v68, s34, v130
	v_and_b32_e32 v130, 0x7f800000, v68
	s_delay_alu instid0(VALU_DEP_1)
	v_cmp_ne_u32_e32 vcc_lo, 0x7f800000, v130
	v_mov_b32_e32 v130, 0x80
	s_and_saveexec_b32 s35, vcc_lo
	s_cbranch_execz .LBB4_177
; %bb.170:                              ;   in Loop: Header=BB4_144 Depth=3
	v_mov_b32_e32 v130, 0
	s_mov_b32 s36, exec_lo
	v_cmpx_ne_u32_e32 0, v68
	s_cbranch_execz .LBB4_176
; %bb.171:                              ;   in Loop: Header=BB4_144 Depth=3
	v_bfe_u32 v130, v68, 23, 8
	v_and_b32_e32 v131, 0x7fffff, v68
	s_delay_alu instid0(VALU_DEP_2) | instskip(SKIP_1) | instid1(VALU_DEP_3)
	v_sub_nc_u32_e32 v132, 0x70, v130
	v_cmp_gt_u32_e32 vcc_lo, 0x71, v130
	v_or_b32_e32 v133, 0x800000, v131
	s_delay_alu instid0(VALU_DEP_3) | instskip(SKIP_1) | instid1(VALU_DEP_3)
	v_cndmask_b32_e32 v132, 0, v132, vcc_lo
	v_cmp_eq_u32_e32 vcc_lo, 0, v130
	v_dual_cndmask_b32 v131, v133, v131 :: v_dual_add_nc_u32 v130, 0xffffff91, v130
	s_delay_alu instid0(VALU_DEP_3) | instskip(NEXT) | instid1(VALU_DEP_2)
	v_cndmask_b32_e64 v132, v132, 0x6f, vcc_lo
	v_cndmask_b32_e64 v130, v130, 0xffffff92, vcc_lo
	s_delay_alu instid0(VALU_DEP_2) | instskip(SKIP_2) | instid1(VALU_DEP_4)
	v_lshrrev_b32_e32 v134, v132, v131
	v_lshl_add_u32 v133, 0x200000, v132, -1
	v_lshlrev_b32_e64 v144, v132, 0x100000
	v_add_nc_u32_e32 v132, v132, v130
	s_delay_alu instid0(VALU_DEP_4) | instskip(NEXT) | instid1(VALU_DEP_4)
	v_bfe_u32 v135, v134, 21, 1
	v_and_b32_e32 v131, v133, v131
	s_delay_alu instid0(VALU_DEP_2) | instskip(NEXT) | instid1(VALU_DEP_2)
	v_add_nc_u32_e32 v133, -1, v135
	v_cmp_eq_u32_e64 s13, v131, v144
	s_delay_alu instid0(VALU_DEP_1) | instskip(SKIP_2) | instid1(VALU_DEP_2)
	v_cndmask_b32_e64 v131, 0, v133, s13
	v_lshrrev_b32_e32 v133, 23, v134
	s_mov_b32 s13, exec_lo
	v_add_nc_u32_e32 v131, v131, v134
	s_delay_alu instid0(VALU_DEP_2) | instskip(NEXT) | instid1(VALU_DEP_2)
	v_xor_b32_e32 v133, 1, v133
	v_and_b32_e32 v130, 0x1fffff, v131
	s_delay_alu instid0(VALU_DEP_1) | instskip(NEXT) | instid1(VALU_DEP_3)
	v_add_nc_u32_e32 v131, v130, v134
                                        ; implicit-def: $vgpr130
	v_cmpx_ne_u32_e64 v132, v133
	s_xor_b32 s13, exec_lo, s13
; %bb.172:                              ;   in Loop: Header=BB4_144 Depth=3
	s_delay_alu instid0(VALU_DEP_2) | instskip(SKIP_2) | instid1(VALU_DEP_2)
	v_cmp_lt_u32_e32 vcc_lo, 0xffffff, v131
	v_sub_nc_u32_e32 v130, v132, v133
	v_cndmask_b32_e64 v132, 0, 1, vcc_lo
	v_add_co_ci_u32_e32 v130, vcc_lo, 0, v130, vcc_lo
	s_delay_alu instid0(VALU_DEP_2)
	v_lshrrev_b32_e32 v131, v132, v131
; %bb.173:                              ;   in Loop: Header=BB4_144 Depth=3
	s_and_not1_saveexec_b32 s13, s13
; %bb.174:                              ;   in Loop: Header=BB4_144 Depth=3
	s_delay_alu instid0(VALU_DEP_1)
	v_bfe_u32 v130, v131, 23, 1
; %bb.175:                              ;   in Loop: Header=BB4_144 Depth=3
	s_or_b32 exec_lo, exec_lo, s13
	v_lshrrev_b32_e32 v131, 21, v131
	s_delay_alu instid0(VALU_DEP_2) | instskip(SKIP_2) | instid1(VALU_DEP_2)
	v_cmp_gt_i32_e32 vcc_lo, 32, v130
	v_lshrrev_b32_e32 v68, 24, v68
	v_min_i32_e32 v132, 31, v130
	v_dual_cndmask_b32 v131, 3, v131 :: v_dual_and_b32 v68, 0x80, v68
	s_delay_alu instid0(VALU_DEP_2) | instskip(NEXT) | instid1(VALU_DEP_2)
	v_lshlrev_b32_e32 v132, 2, v132
	v_or_b32_e32 v130, v130, v131
	s_delay_alu instid0(VALU_DEP_1) | instskip(SKIP_1) | instid1(VALU_DEP_1)
	v_cmp_ne_u32_e32 vcc_lo, 0, v130
	v_and_b32_e32 v133, 3, v131
	v_or3_b32 v68, v132, v68, v133
	s_delay_alu instid0(VALU_DEP_1)
	v_cndmask_b32_e32 v130, 0, v68, vcc_lo
.LBB4_176:                              ;   in Loop: Header=BB4_144 Depth=3
	s_or_b32 exec_lo, exec_lo, s36
.LBB4_177:                              ;   in Loop: Header=BB4_144 Depth=3
	s_delay_alu instid0(SALU_CYCLE_1) | instskip(SKIP_3) | instid1(VALU_DEP_1)
	s_or_b32 exec_lo, exec_lo, s35
	v_lshrrev_b32_e32 v68, 16, v8
	s_mov_b32 s13, 0
	s_mov_b32 s36, exec_lo
                                        ; implicit-def: $sgpr35
	v_and_b32_e32 v132, 0xff, v68
	s_delay_alu instid0(VALU_DEP_1)
	v_cmpx_lt_i16_e64 0x7f, v132
	s_xor_b32 s36, exec_lo, s36
	s_cbranch_execnz .LBB4_927
; %bb.178:                              ;   in Loop: Header=BB4_144 Depth=3
	s_or_saveexec_b32 s36, s36
	v_mov_b32_e32 v131, s35
	s_xor_b32 exec_lo, exec_lo, s36
	s_cbranch_execnz .LBB4_930
.LBB4_179:                              ;   in Loop: Header=BB4_144 Depth=3
	s_or_b32 exec_lo, exec_lo, s36
	s_and_saveexec_b32 s35, s13
	s_cbranch_execz .LBB4_181
.LBB4_180:                              ;   in Loop: Header=BB4_144 Depth=3
	v_bfe_u32 v131, v8, 16, 2
	v_lshlrev_b32_e32 v134, 8, v8
	s_delay_alu instid0(VALU_DEP_2) | instskip(NEXT) | instid1(VALU_DEP_1)
	v_clz_i32_u32_e32 v132, v131
	v_min_u32_e32 v132, 32, v132
	s_delay_alu instid0(VALU_DEP_1) | instskip(SKIP_1) | instid1(VALU_DEP_2)
	v_subrev_nc_u32_e32 v133, 29, v132
	v_sub_nc_u32_e32 v132, 30, v132
	v_lshlrev_b32_e32 v68, v133, v68
	v_bfe_u32 v133, v8, 18, 5
	s_delay_alu instid0(VALU_DEP_2) | instskip(NEXT) | instid1(VALU_DEP_2)
	v_and_b32_e32 v68, 3, v68
	v_cmp_eq_u32_e32 vcc_lo, 0, v133
	v_cndmask_b32_e32 v132, v133, v132, vcc_lo
	s_delay_alu instid0(VALU_DEP_3) | instskip(NEXT) | instid1(VALU_DEP_2)
	v_dual_cndmask_b32 v68, v131, v68 :: v_dual_and_b32 v131, 0x80000000, v134
	v_lshl_add_u32 v132, v132, 23, 0x37800000
	s_delay_alu instid0(VALU_DEP_2) | instskip(NEXT) | instid1(VALU_DEP_1)
	v_lshlrev_b32_e32 v68, 21, v68
	v_or3_b32 v131, v131, v132, v68
.LBB4_181:                              ;   in Loop: Header=BB4_144 Depth=3
	s_or_b32 exec_lo, exec_lo, s35
	s_delay_alu instid0(VALU_DEP_1) | instskip(NEXT) | instid1(VALU_DEP_1)
	v_mul_f32_e32 v68, s34, v131
	v_and_b32_e32 v131, 0x7f800000, v68
	s_delay_alu instid0(VALU_DEP_1)
	v_cmp_ne_u32_e32 vcc_lo, 0x7f800000, v131
	v_mov_b32_e32 v131, 0x80
	s_and_saveexec_b32 s35, vcc_lo
	s_cbranch_execz .LBB4_189
; %bb.182:                              ;   in Loop: Header=BB4_144 Depth=3
	v_mov_b32_e32 v131, 0
	s_mov_b32 s36, exec_lo
	v_cmpx_ne_u32_e32 0, v68
	s_cbranch_execz .LBB4_188
; %bb.183:                              ;   in Loop: Header=BB4_144 Depth=3
	v_bfe_u32 v131, v68, 23, 8
	s_delay_alu instid0(VALU_DEP_1) | instskip(SKIP_1) | instid1(VALU_DEP_2)
	v_sub_nc_u32_e32 v133, 0x70, v131
	v_cmp_gt_u32_e32 vcc_lo, 0x71, v131
	v_dual_cndmask_b32 v133, 0, v133 :: v_dual_and_b32 v132, 0x7fffff, v68
	s_delay_alu instid0(VALU_DEP_1) | instskip(SKIP_2) | instid1(VALU_DEP_4)
	v_or_b32_e32 v134, 0x800000, v132
	v_cmp_eq_u32_e32 vcc_lo, 0, v131
	v_add_nc_u32_e32 v131, 0xffffff91, v131
	v_cndmask_b32_e64 v133, v133, 0x6f, vcc_lo
	s_delay_alu instid0(VALU_DEP_4) | instskip(NEXT) | instid1(VALU_DEP_3)
	v_cndmask_b32_e32 v132, v134, v132, vcc_lo
	v_cndmask_b32_e64 v131, v131, 0xffffff92, vcc_lo
	s_delay_alu instid0(VALU_DEP_3) | instskip(NEXT) | instid1(VALU_DEP_3)
	v_lshl_add_u32 v134, 0x200000, v133, -1
	v_lshrrev_b32_e32 v135, v133, v132
	v_lshlrev_b32_e64 v145, v133, 0x100000
	s_delay_alu instid0(VALU_DEP_4) | instskip(NEXT) | instid1(VALU_DEP_4)
	v_add_nc_u32_e32 v133, v133, v131
	v_and_b32_e32 v132, v134, v132
	s_delay_alu instid0(VALU_DEP_4) | instskip(NEXT) | instid1(VALU_DEP_2)
	v_bfe_u32 v144, v135, 21, 1
	v_cmp_eq_u32_e64 s13, v132, v145
	s_delay_alu instid0(VALU_DEP_2) | instskip(NEXT) | instid1(VALU_DEP_1)
	v_add_nc_u32_e32 v134, -1, v144
	v_cndmask_b32_e64 v132, 0, v134, s13
	v_lshrrev_b32_e32 v134, 23, v135
	s_mov_b32 s13, exec_lo
	s_delay_alu instid0(VALU_DEP_2) | instskip(NEXT) | instid1(VALU_DEP_2)
	v_add_nc_u32_e32 v132, v132, v135
	v_xor_b32_e32 v134, 1, v134
	s_delay_alu instid0(VALU_DEP_2) | instskip(NEXT) | instid1(VALU_DEP_1)
	v_and_b32_e32 v131, 0x1fffff, v132
	v_add_nc_u32_e32 v132, v131, v135
                                        ; implicit-def: $vgpr131
	s_delay_alu instid0(VALU_DEP_3)
	v_cmpx_ne_u32_e64 v133, v134
	s_xor_b32 s13, exec_lo, s13
; %bb.184:                              ;   in Loop: Header=BB4_144 Depth=3
	s_delay_alu instid0(VALU_DEP_2) | instskip(SKIP_2) | instid1(VALU_DEP_2)
	v_cmp_lt_u32_e32 vcc_lo, 0xffffff, v132
	v_sub_nc_u32_e32 v131, v133, v134
	v_cndmask_b32_e64 v133, 0, 1, vcc_lo
	v_add_co_ci_u32_e32 v131, vcc_lo, 0, v131, vcc_lo
	s_delay_alu instid0(VALU_DEP_2)
	v_lshrrev_b32_e32 v132, v133, v132
; %bb.185:                              ;   in Loop: Header=BB4_144 Depth=3
	s_and_not1_saveexec_b32 s13, s13
; %bb.186:                              ;   in Loop: Header=BB4_144 Depth=3
	s_delay_alu instid0(VALU_DEP_1)
	v_bfe_u32 v131, v132, 23, 1
; %bb.187:                              ;   in Loop: Header=BB4_144 Depth=3
	s_or_b32 exec_lo, exec_lo, s13
	v_lshrrev_b32_e32 v132, 21, v132
	s_delay_alu instid0(VALU_DEP_2) | instskip(SKIP_2) | instid1(VALU_DEP_4)
	v_cmp_gt_i32_e32 vcc_lo, 32, v131
	v_lshrrev_b32_e32 v68, 24, v68
	v_min_i32_e32 v133, 31, v131
	v_cndmask_b32_e32 v132, 3, v132, vcc_lo
	s_delay_alu instid0(VALU_DEP_3) | instskip(NEXT) | instid1(VALU_DEP_3)
	v_and_b32_e32 v68, 0x80, v68
	v_lshlrev_b32_e32 v133, 2, v133
	s_delay_alu instid0(VALU_DEP_3) | instskip(SKIP_1) | instid1(VALU_DEP_2)
	v_and_b32_e32 v134, 3, v132
	v_or_b32_e32 v131, v131, v132
	v_or3_b32 v68, v133, v68, v134
	s_delay_alu instid0(VALU_DEP_2) | instskip(NEXT) | instid1(VALU_DEP_2)
	v_cmp_ne_u32_e32 vcc_lo, 0, v131
	v_cndmask_b32_e32 v131, 0, v68, vcc_lo
.LBB4_188:                              ;   in Loop: Header=BB4_144 Depth=3
	s_or_b32 exec_lo, exec_lo, s36
.LBB4_189:                              ;   in Loop: Header=BB4_144 Depth=3
	s_delay_alu instid0(SALU_CYCLE_1) | instskip(SKIP_3) | instid1(VALU_DEP_1)
	s_or_b32 exec_lo, exec_lo, s35
	v_lshrrev_b32_e32 v68, 24, v8
	s_mov_b32 s13, 0
	s_mov_b32 s36, exec_lo
                                        ; implicit-def: $sgpr35
	v_cmpx_lt_i16_e32 0x7f, v68
	s_xor_b32 s36, exec_lo, s36
	s_cbranch_execnz .LBB4_931
; %bb.190:                              ;   in Loop: Header=BB4_144 Depth=3
	s_or_saveexec_b32 s36, s36
	v_mov_b32_e32 v132, s35
	s_xor_b32 exec_lo, exec_lo, s36
	s_cbranch_execnz .LBB4_934
.LBB4_191:                              ;   in Loop: Header=BB4_144 Depth=3
	s_or_b32 exec_lo, exec_lo, s36
	s_and_saveexec_b32 s35, s13
	s_cbranch_execz .LBB4_193
.LBB4_192:                              ;   in Loop: Header=BB4_144 Depth=3
	v_bfe_u32 v132, v8, 24, 2
	s_delay_alu instid0(VALU_DEP_1) | instskip(NEXT) | instid1(VALU_DEP_1)
	v_clz_i32_u32_e32 v133, v132
	v_min_u32_e32 v133, 32, v133
	s_delay_alu instid0(VALU_DEP_1) | instskip(SKIP_1) | instid1(VALU_DEP_2)
	v_subrev_nc_u32_e32 v134, 29, v133
	v_sub_nc_u32_e32 v133, 30, v133
	v_lshlrev_b32_e32 v68, v134, v68
	v_bfe_u32 v134, v8, 26, 5
	v_and_b32_e32 v8, 0x80000000, v8
	s_delay_alu instid0(VALU_DEP_2) | instskip(NEXT) | instid1(VALU_DEP_4)
	v_cmp_eq_u32_e32 vcc_lo, 0, v134
	v_dual_cndmask_b32 v133, v134, v133 :: v_dual_and_b32 v68, 3, v68
	s_delay_alu instid0(VALU_DEP_1) | instskip(NEXT) | instid1(VALU_DEP_2)
	v_cndmask_b32_e32 v68, v132, v68, vcc_lo
	v_lshl_add_u32 v132, v133, 23, 0x37800000
	s_delay_alu instid0(VALU_DEP_2) | instskip(NEXT) | instid1(VALU_DEP_1)
	v_lshlrev_b32_e32 v68, 21, v68
	v_or3_b32 v132, v8, v132, v68
.LBB4_193:                              ;   in Loop: Header=BB4_144 Depth=3
	s_or_b32 exec_lo, exec_lo, s35
	s_delay_alu instid0(VALU_DEP_1) | instskip(SKIP_2) | instid1(VALU_DEP_2)
	v_mul_f32_e32 v8, s34, v132
	v_mov_b32_e32 v132, 0x80
	s_mov_b32 s35, exec_lo
	v_and_b32_e32 v68, 0x7f800000, v8
	s_delay_alu instid0(VALU_DEP_1)
	v_cmpx_ne_u32_e32 0x7f800000, v68
	s_cbranch_execz .LBB4_201
; %bb.194:                              ;   in Loop: Header=BB4_144 Depth=3
	v_mov_b32_e32 v132, 0
	s_mov_b32 s36, exec_lo
	v_cmpx_ne_u32_e32 0, v8
	s_cbranch_execz .LBB4_200
; %bb.195:                              ;   in Loop: Header=BB4_144 Depth=3
	v_bfe_u32 v68, v8, 23, 8
	s_delay_alu instid0(VALU_DEP_1) | instskip(SKIP_1) | instid1(VALU_DEP_2)
	v_sub_nc_u32_e32 v133, 0x70, v68
	v_cmp_gt_u32_e32 vcc_lo, 0x71, v68
	v_dual_cndmask_b32 v133, 0, v133 :: v_dual_and_b32 v132, 0x7fffff, v8
	s_delay_alu instid0(VALU_DEP_1) | instskip(SKIP_2) | instid1(VALU_DEP_4)
	v_or_b32_e32 v134, 0x800000, v132
	v_cmp_eq_u32_e32 vcc_lo, 0, v68
	v_add_nc_u32_e32 v68, 0xffffff91, v68
	v_cndmask_b32_e64 v133, v133, 0x6f, vcc_lo
	s_delay_alu instid0(VALU_DEP_4) | instskip(NEXT) | instid1(VALU_DEP_3)
	v_cndmask_b32_e32 v132, v134, v132, vcc_lo
	v_cndmask_b32_e64 v68, v68, 0xffffff92, vcc_lo
	s_delay_alu instid0(VALU_DEP_3) | instskip(NEXT) | instid1(VALU_DEP_3)
	v_lshl_add_u32 v134, 0x200000, v133, -1
	v_lshrrev_b32_e32 v135, v133, v132
	v_lshlrev_b32_e64 v145, v133, 0x100000
	s_delay_alu instid0(VALU_DEP_4) | instskip(NEXT) | instid1(VALU_DEP_4)
	v_add_nc_u32_e32 v133, v133, v68
	v_and_b32_e32 v132, v134, v132
	s_delay_alu instid0(VALU_DEP_4) | instskip(NEXT) | instid1(VALU_DEP_2)
	v_bfe_u32 v144, v135, 21, 1
	v_cmp_eq_u32_e64 s13, v132, v145
	s_delay_alu instid0(VALU_DEP_2) | instskip(NEXT) | instid1(VALU_DEP_1)
	v_add_nc_u32_e32 v134, -1, v144
	v_cndmask_b32_e64 v132, 0, v134, s13
	v_lshrrev_b32_e32 v134, 23, v135
	s_mov_b32 s13, exec_lo
	s_delay_alu instid0(VALU_DEP_2) | instskip(NEXT) | instid1(VALU_DEP_2)
	v_add_nc_u32_e32 v132, v132, v135
	v_xor_b32_e32 v134, 1, v134
	s_delay_alu instid0(VALU_DEP_2) | instskip(NEXT) | instid1(VALU_DEP_1)
	v_and_b32_e32 v68, 0x1fffff, v132
	v_add_nc_u32_e32 v132, v68, v135
                                        ; implicit-def: $vgpr68
	s_delay_alu instid0(VALU_DEP_3)
	v_cmpx_ne_u32_e64 v133, v134
	s_xor_b32 s13, exec_lo, s13
; %bb.196:                              ;   in Loop: Header=BB4_144 Depth=3
	s_delay_alu instid0(VALU_DEP_2) | instskip(SKIP_2) | instid1(VALU_DEP_2)
	v_cmp_lt_u32_e32 vcc_lo, 0xffffff, v132
	v_sub_nc_u32_e32 v68, v133, v134
	v_cndmask_b32_e64 v133, 0, 1, vcc_lo
	v_add_co_ci_u32_e32 v68, vcc_lo, 0, v68, vcc_lo
	s_delay_alu instid0(VALU_DEP_2)
	v_lshrrev_b32_e32 v132, v133, v132
; %bb.197:                              ;   in Loop: Header=BB4_144 Depth=3
	s_and_not1_saveexec_b32 s13, s13
; %bb.198:                              ;   in Loop: Header=BB4_144 Depth=3
	s_delay_alu instid0(VALU_DEP_1)
	v_bfe_u32 v68, v132, 23, 1
; %bb.199:                              ;   in Loop: Header=BB4_144 Depth=3
	s_or_b32 exec_lo, exec_lo, s13
	v_lshrrev_b32_e32 v132, 21, v132
	s_delay_alu instid0(VALU_DEP_2) | instskip(SKIP_2) | instid1(VALU_DEP_4)
	v_cmp_gt_i32_e32 vcc_lo, 32, v68
	v_lshrrev_b32_e32 v8, 24, v8
	v_min_i32_e32 v133, 31, v68
	v_cndmask_b32_e32 v132, 3, v132, vcc_lo
	s_delay_alu instid0(VALU_DEP_3) | instskip(NEXT) | instid1(VALU_DEP_3)
	v_and_b32_e32 v8, 0x80, v8
	v_lshlrev_b32_e32 v133, 2, v133
	s_delay_alu instid0(VALU_DEP_3) | instskip(SKIP_1) | instid1(VALU_DEP_2)
	v_and_b32_e32 v134, 3, v132
	v_or_b32_e32 v68, v68, v132
	v_or3_b32 v8, v133, v8, v134
	s_delay_alu instid0(VALU_DEP_2) | instskip(NEXT) | instid1(VALU_DEP_2)
	v_cmp_ne_u32_e32 vcc_lo, 0, v68
	v_cndmask_b32_e32 v132, 0, v8, vcc_lo
.LBB4_200:                              ;   in Loop: Header=BB4_144 Depth=3
	s_or_b32 exec_lo, exec_lo, s36
.LBB4_201:                              ;   in Loop: Header=BB4_144 Depth=3
	s_delay_alu instid0(SALU_CYCLE_1) | instskip(SKIP_3) | instid1(VALU_DEP_1)
	s_or_b32 exec_lo, exec_lo, s35
	v_and_b32_e32 v68, 0xff, v9
	s_mov_b32 s13, 0
	s_mov_b32 s36, exec_lo
                                        ; implicit-def: $sgpr35
	v_cmpx_lt_i16_e32 0x7f, v68
	s_xor_b32 s36, exec_lo, s36
	s_cbranch_execnz .LBB4_935
; %bb.202:                              ;   in Loop: Header=BB4_144 Depth=3
	s_or_saveexec_b32 s36, s36
	v_mov_b32_e32 v8, s35
	s_xor_b32 exec_lo, exec_lo, s36
	s_cbranch_execnz .LBB4_938
.LBB4_203:                              ;   in Loop: Header=BB4_144 Depth=3
	s_or_b32 exec_lo, exec_lo, s36
	s_and_saveexec_b32 s35, s13
	s_cbranch_execz .LBB4_205
.LBB4_204:                              ;   in Loop: Header=BB4_144 Depth=3
	v_and_b32_e32 v8, 3, v9
	v_bfe_u32 v134, v9, 2, 5
	v_lshlrev_b32_e32 v135, 24, v9
	s_delay_alu instid0(VALU_DEP_3) | instskip(NEXT) | instid1(VALU_DEP_3)
	v_clz_i32_u32_e32 v68, v8
	v_cmp_eq_u32_e32 vcc_lo, 0, v134
	s_delay_alu instid0(VALU_DEP_2) | instskip(NEXT) | instid1(VALU_DEP_1)
	v_min_u32_e32 v68, 32, v68
	v_subrev_nc_u32_e32 v133, 29, v68
	v_sub_nc_u32_e32 v68, 30, v68
	s_delay_alu instid0(VALU_DEP_1) | instskip(NEXT) | instid1(VALU_DEP_1)
	v_dual_cndmask_b32 v68, v134, v68 :: v_dual_lshlrev_b32 v133, v133, v9
	v_and_b32_e32 v133, 3, v133
	s_delay_alu instid0(VALU_DEP_2) | instskip(NEXT) | instid1(VALU_DEP_2)
	v_lshl_add_u32 v68, v68, 23, 0x37800000
	v_dual_cndmask_b32 v8, v8, v133 :: v_dual_and_b32 v133, 0x80000000, v135
	s_delay_alu instid0(VALU_DEP_1) | instskip(NEXT) | instid1(VALU_DEP_1)
	v_lshlrev_b32_e32 v8, 21, v8
	v_or3_b32 v8, v133, v68, v8
.LBB4_205:                              ;   in Loop: Header=BB4_144 Depth=3
	s_or_b32 exec_lo, exec_lo, s35
	s_delay_alu instid0(VALU_DEP_1) | instskip(SKIP_1) | instid1(VALU_DEP_1)
	v_dual_mul_f32 v8, s34, v8 :: v_dual_mov_b32 v133, 0x80
	s_mov_b32 s35, exec_lo
	v_and_b32_e32 v68, 0x7f800000, v8
	s_delay_alu instid0(VALU_DEP_1)
	v_cmpx_ne_u32_e32 0x7f800000, v68
	s_cbranch_execz .LBB4_213
; %bb.206:                              ;   in Loop: Header=BB4_144 Depth=3
	v_mov_b32_e32 v133, 0
	s_mov_b32 s36, exec_lo
	v_cmpx_ne_u32_e32 0, v8
	s_cbranch_execz .LBB4_212
; %bb.207:                              ;   in Loop: Header=BB4_144 Depth=3
	v_bfe_u32 v68, v8, 23, 8
	s_delay_alu instid0(VALU_DEP_1) | instskip(SKIP_1) | instid1(VALU_DEP_2)
	v_sub_nc_u32_e32 v134, 0x70, v68
	v_cmp_gt_u32_e32 vcc_lo, 0x71, v68
	v_dual_cndmask_b32 v134, 0, v134 :: v_dual_and_b32 v133, 0x7fffff, v8
	s_delay_alu instid0(VALU_DEP_1) | instskip(SKIP_2) | instid1(VALU_DEP_4)
	v_or_b32_e32 v135, 0x800000, v133
	v_cmp_eq_u32_e32 vcc_lo, 0, v68
	v_add_nc_u32_e32 v68, 0xffffff91, v68
	v_cndmask_b32_e64 v134, v134, 0x6f, vcc_lo
	s_delay_alu instid0(VALU_DEP_4) | instskip(NEXT) | instid1(VALU_DEP_3)
	v_cndmask_b32_e32 v133, v135, v133, vcc_lo
	v_cndmask_b32_e64 v68, v68, 0xffffff92, vcc_lo
	s_delay_alu instid0(VALU_DEP_3) | instskip(NEXT) | instid1(VALU_DEP_3)
	v_lshl_add_u32 v135, 0x200000, v134, -1
	v_lshrrev_b32_e32 v144, v134, v133
	v_lshlrev_b32_e64 v146, v134, 0x100000
	s_delay_alu instid0(VALU_DEP_4) | instskip(NEXT) | instid1(VALU_DEP_4)
	v_add_nc_u32_e32 v134, v134, v68
	v_and_b32_e32 v133, v135, v133
	s_delay_alu instid0(VALU_DEP_4) | instskip(NEXT) | instid1(VALU_DEP_2)
	v_bfe_u32 v145, v144, 21, 1
	v_cmp_eq_u32_e64 s13, v133, v146
	s_delay_alu instid0(VALU_DEP_2) | instskip(NEXT) | instid1(VALU_DEP_1)
	v_add_nc_u32_e32 v135, -1, v145
	v_cndmask_b32_e64 v133, 0, v135, s13
	v_lshrrev_b32_e32 v135, 23, v144
	s_mov_b32 s13, exec_lo
	s_delay_alu instid0(VALU_DEP_2) | instskip(NEXT) | instid1(VALU_DEP_2)
	v_add_nc_u32_e32 v133, v133, v144
	v_xor_b32_e32 v135, 1, v135
	s_delay_alu instid0(VALU_DEP_2) | instskip(NEXT) | instid1(VALU_DEP_1)
	v_and_b32_e32 v68, 0x1fffff, v133
	v_add_nc_u32_e32 v133, v68, v144
                                        ; implicit-def: $vgpr68
	s_delay_alu instid0(VALU_DEP_3)
	v_cmpx_ne_u32_e64 v134, v135
	s_xor_b32 s13, exec_lo, s13
; %bb.208:                              ;   in Loop: Header=BB4_144 Depth=3
	s_delay_alu instid0(VALU_DEP_2) | instskip(SKIP_2) | instid1(VALU_DEP_2)
	v_cmp_lt_u32_e32 vcc_lo, 0xffffff, v133
	v_sub_nc_u32_e32 v68, v134, v135
	v_cndmask_b32_e64 v134, 0, 1, vcc_lo
	v_add_co_ci_u32_e32 v68, vcc_lo, 0, v68, vcc_lo
	s_delay_alu instid0(VALU_DEP_2)
	v_lshrrev_b32_e32 v133, v134, v133
; %bb.209:                              ;   in Loop: Header=BB4_144 Depth=3
	s_and_not1_saveexec_b32 s13, s13
; %bb.210:                              ;   in Loop: Header=BB4_144 Depth=3
	s_delay_alu instid0(VALU_DEP_1)
	v_bfe_u32 v68, v133, 23, 1
; %bb.211:                              ;   in Loop: Header=BB4_144 Depth=3
	s_or_b32 exec_lo, exec_lo, s13
	v_lshrrev_b32_e32 v133, 21, v133
	s_delay_alu instid0(VALU_DEP_2) | instskip(SKIP_2) | instid1(VALU_DEP_2)
	v_cmp_gt_i32_e32 vcc_lo, 32, v68
	v_min_i32_e32 v134, 31, v68
	v_lshrrev_b32_e32 v8, 24, v8
	v_dual_cndmask_b32 v133, 3, v133 :: v_dual_lshlrev_b32 v134, 2, v134
	s_delay_alu instid0(VALU_DEP_2) | instskip(NEXT) | instid1(VALU_DEP_2)
	v_and_b32_e32 v8, 0x80, v8
	v_or_b32_e32 v68, v68, v133
	v_and_b32_e32 v135, 3, v133
	s_delay_alu instid0(VALU_DEP_2) | instskip(SKIP_1) | instid1(VALU_DEP_1)
	v_cmp_ne_u32_e32 vcc_lo, 0, v68
	v_and_b32_e32 v134, 0xfc, v134
	v_or3_b32 v8, v134, v8, v135
	s_delay_alu instid0(VALU_DEP_1)
	v_cndmask_b32_e32 v133, 0, v8, vcc_lo
.LBB4_212:                              ;   in Loop: Header=BB4_144 Depth=3
	s_or_b32 exec_lo, exec_lo, s36
.LBB4_213:                              ;   in Loop: Header=BB4_144 Depth=3
	s_delay_alu instid0(SALU_CYCLE_1) | instskip(SKIP_3) | instid1(VALU_DEP_1)
	s_or_b32 exec_lo, exec_lo, s35
	v_lshrrev_b16 v8, 8, v9
	s_mov_b32 s13, 0
	s_mov_b32 s36, exec_lo
                                        ; implicit-def: $sgpr35
	v_cmpx_lt_i16_e32 0x7f, v8
	s_xor_b32 s36, exec_lo, s36
	s_cbranch_execnz .LBB4_939
; %bb.214:                              ;   in Loop: Header=BB4_144 Depth=3
	s_or_saveexec_b32 s36, s36
	v_mov_b32_e32 v68, s35
	s_xor_b32 exec_lo, exec_lo, s36
	s_cbranch_execnz .LBB4_942
.LBB4_215:                              ;   in Loop: Header=BB4_144 Depth=3
	s_or_b32 exec_lo, exec_lo, s36
	s_and_saveexec_b32 s35, s13
	s_cbranch_execz .LBB4_217
.LBB4_216:                              ;   in Loop: Header=BB4_144 Depth=3
	v_and_b32_e32 v68, 0xffff, v8
	v_lshlrev_b32_e32 v8, 24, v8
	s_delay_alu instid0(VALU_DEP_2) | instskip(NEXT) | instid1(VALU_DEP_2)
	v_and_b32_e32 v134, 3, v68
	v_and_b32_e32 v8, 0x80000000, v8
	s_delay_alu instid0(VALU_DEP_2) | instskip(NEXT) | instid1(VALU_DEP_1)
	v_clz_i32_u32_e32 v135, v134
	v_min_u32_e32 v135, 32, v135
	s_delay_alu instid0(VALU_DEP_1) | instskip(SKIP_1) | instid1(VALU_DEP_2)
	v_subrev_nc_u32_e32 v144, 29, v135
	v_sub_nc_u32_e32 v135, 30, v135
	v_lshlrev_b32_e32 v144, v144, v68
	v_bfe_u32 v68, v68, 2, 5
	s_delay_alu instid0(VALU_DEP_2) | instskip(NEXT) | instid1(VALU_DEP_2)
	v_and_b32_e32 v144, 3, v144
	v_cmp_eq_u32_e32 vcc_lo, 0, v68
	v_cndmask_b32_e32 v68, v68, v135, vcc_lo
	s_delay_alu instid0(VALU_DEP_3) | instskip(NEXT) | instid1(VALU_DEP_2)
	v_cndmask_b32_e32 v134, v134, v144, vcc_lo
	v_lshl_add_u32 v68, v68, 23, 0x37800000
	s_delay_alu instid0(VALU_DEP_2) | instskip(NEXT) | instid1(VALU_DEP_1)
	v_lshlrev_b32_e32 v134, 21, v134
	v_or3_b32 v68, v8, v68, v134
.LBB4_217:                              ;   in Loop: Header=BB4_144 Depth=3
	s_or_b32 exec_lo, exec_lo, s35
	s_delay_alu instid0(VALU_DEP_1) | instskip(SKIP_2) | instid1(VALU_DEP_2)
	v_mul_f32_e32 v8, s34, v68
	v_mov_b32_e32 v134, 0x8000
	s_mov_b32 s35, exec_lo
	v_and_b32_e32 v68, 0x7f800000, v8
	s_delay_alu instid0(VALU_DEP_1)
	v_cmpx_ne_u32_e32 0x7f800000, v68
	s_cbranch_execz .LBB4_225
; %bb.218:                              ;   in Loop: Header=BB4_144 Depth=3
	v_mov_b32_e32 v134, 0
	s_mov_b32 s36, exec_lo
	v_cmpx_ne_u32_e32 0, v8
	s_cbranch_execz .LBB4_224
; %bb.219:                              ;   in Loop: Header=BB4_144 Depth=3
	v_bfe_u32 v68, v8, 23, 8
	s_delay_alu instid0(VALU_DEP_1) | instskip(SKIP_1) | instid1(VALU_DEP_2)
	v_sub_nc_u32_e32 v135, 0x70, v68
	v_cmp_gt_u32_e32 vcc_lo, 0x71, v68
	v_dual_cndmask_b32 v135, 0, v135 :: v_dual_and_b32 v134, 0x7fffff, v8
	s_delay_alu instid0(VALU_DEP_1) | instskip(SKIP_2) | instid1(VALU_DEP_4)
	v_or_b32_e32 v144, 0x800000, v134
	v_cmp_eq_u32_e32 vcc_lo, 0, v68
	v_add_nc_u32_e32 v68, 0xffffff91, v68
	v_cndmask_b32_e64 v135, v135, 0x6f, vcc_lo
	s_delay_alu instid0(VALU_DEP_2) | instskip(SKIP_1) | instid1(VALU_DEP_3)
	v_cndmask_b32_e64 v68, v68, 0xffffff92, vcc_lo
	v_cndmask_b32_e32 v134, v144, v134, vcc_lo
	v_lshl_add_u32 v144, 0x200000, v135, -1
	v_lshlrev_b32_e64 v147, v135, 0x100000
	s_delay_alu instid0(VALU_DEP_3) | instskip(SKIP_1) | instid1(VALU_DEP_4)
	v_lshrrev_b32_e32 v145, v135, v134
	v_add_nc_u32_e32 v135, v135, v68
	v_and_b32_e32 v134, v144, v134
	s_delay_alu instid0(VALU_DEP_3) | instskip(NEXT) | instid1(VALU_DEP_2)
	v_bfe_u32 v146, v145, 21, 1
	v_cmp_eq_u32_e64 s13, v134, v147
	s_delay_alu instid0(VALU_DEP_2) | instskip(NEXT) | instid1(VALU_DEP_1)
	v_add_nc_u32_e32 v144, -1, v146
	v_cndmask_b32_e64 v134, 0, v144, s13
	v_lshrrev_b32_e32 v144, 23, v145
	s_mov_b32 s13, exec_lo
	s_delay_alu instid0(VALU_DEP_2) | instskip(NEXT) | instid1(VALU_DEP_2)
	v_add_nc_u32_e32 v134, v134, v145
	v_xor_b32_e32 v144, 1, v144
	s_delay_alu instid0(VALU_DEP_2) | instskip(NEXT) | instid1(VALU_DEP_1)
	v_and_b32_e32 v68, 0x1fffff, v134
	v_add_nc_u32_e32 v134, v68, v145
                                        ; implicit-def: $vgpr68
	s_delay_alu instid0(VALU_DEP_3)
	v_cmpx_ne_u32_e64 v135, v144
	s_xor_b32 s13, exec_lo, s13
; %bb.220:                              ;   in Loop: Header=BB4_144 Depth=3
	s_delay_alu instid0(VALU_DEP_2) | instskip(SKIP_2) | instid1(VALU_DEP_2)
	v_cmp_lt_u32_e32 vcc_lo, 0xffffff, v134
	v_sub_nc_u32_e32 v68, v135, v144
	v_cndmask_b32_e64 v135, 0, 1, vcc_lo
	v_add_co_ci_u32_e32 v68, vcc_lo, 0, v68, vcc_lo
	s_delay_alu instid0(VALU_DEP_2)
	v_lshrrev_b32_e32 v134, v135, v134
; %bb.221:                              ;   in Loop: Header=BB4_144 Depth=3
	s_and_not1_saveexec_b32 s13, s13
; %bb.222:                              ;   in Loop: Header=BB4_144 Depth=3
	s_delay_alu instid0(VALU_DEP_1)
	v_bfe_u32 v68, v134, 23, 1
; %bb.223:                              ;   in Loop: Header=BB4_144 Depth=3
	s_or_b32 exec_lo, exec_lo, s13
	v_lshrrev_b32_e32 v134, 21, v134
	s_delay_alu instid0(VALU_DEP_2) | instskip(SKIP_2) | instid1(VALU_DEP_2)
	v_cmp_gt_i32_e32 vcc_lo, 32, v68
	v_min_i32_e32 v135, 31, v68
	v_lshrrev_b32_e32 v8, 24, v8
	v_dual_cndmask_b32 v134, 3, v134 :: v_dual_lshlrev_b32 v135, 2, v135
	s_delay_alu instid0(VALU_DEP_2) | instskip(NEXT) | instid1(VALU_DEP_2)
	v_and_b32_e32 v8, 0x80, v8
	v_or_b32_e32 v68, v68, v134
	v_and_b32_e32 v144, 3, v134
	s_delay_alu instid0(VALU_DEP_2) | instskip(SKIP_1) | instid1(VALU_DEP_1)
	v_cmp_ne_u32_e32 vcc_lo, 0, v68
	v_and_b32_e32 v135, 0xfc, v135
	v_or3_b32 v8, v8, v135, v144
	s_delay_alu instid0(VALU_DEP_1) | instskip(NEXT) | instid1(VALU_DEP_1)
	v_lshlrev_b32_e32 v8, 8, v8
	v_cndmask_b32_e32 v134, 0, v8, vcc_lo
.LBB4_224:                              ;   in Loop: Header=BB4_144 Depth=3
	s_or_b32 exec_lo, exec_lo, s36
.LBB4_225:                              ;   in Loop: Header=BB4_144 Depth=3
	s_delay_alu instid0(SALU_CYCLE_1) | instskip(SKIP_3) | instid1(VALU_DEP_1)
	s_or_b32 exec_lo, exec_lo, s35
	v_lshrrev_b32_e32 v8, 16, v9
	s_mov_b32 s13, 0
	s_mov_b32 s36, exec_lo
                                        ; implicit-def: $sgpr35
	v_and_b32_e32 v135, 0xff, v8
	s_delay_alu instid0(VALU_DEP_1)
	v_cmpx_lt_i16_e64 0x7f, v135
	s_xor_b32 s36, exec_lo, s36
	s_cbranch_execnz .LBB4_943
; %bb.226:                              ;   in Loop: Header=BB4_144 Depth=3
	s_or_saveexec_b32 s36, s36
	v_mov_b32_e32 v68, s35
	s_xor_b32 exec_lo, exec_lo, s36
	s_cbranch_execnz .LBB4_946
.LBB4_227:                              ;   in Loop: Header=BB4_144 Depth=3
	s_or_b32 exec_lo, exec_lo, s36
	s_and_saveexec_b32 s35, s13
	s_cbranch_execz .LBB4_229
.LBB4_228:                              ;   in Loop: Header=BB4_144 Depth=3
	v_bfe_u32 v68, v9, 16, 2
	s_delay_alu instid0(VALU_DEP_1) | instskip(NEXT) | instid1(VALU_DEP_1)
	v_clz_i32_u32_e32 v135, v68
	v_min_u32_e32 v135, 32, v135
	s_delay_alu instid0(VALU_DEP_1) | instskip(SKIP_1) | instid1(VALU_DEP_2)
	v_subrev_nc_u32_e32 v144, 29, v135
	v_sub_nc_u32_e32 v135, 30, v135
	v_lshlrev_b32_e32 v8, v144, v8
	v_bfe_u32 v144, v9, 18, 5
	s_delay_alu instid0(VALU_DEP_1) | instskip(NEXT) | instid1(VALU_DEP_3)
	v_cmp_eq_u32_e32 vcc_lo, 0, v144
	v_dual_cndmask_b32 v135, v144, v135 :: v_dual_and_b32 v8, 3, v8
	s_delay_alu instid0(VALU_DEP_1) | instskip(NEXT) | instid1(VALU_DEP_2)
	v_dual_cndmask_b32 v8, v68, v8 :: v_dual_lshlrev_b32 v145, 8, v9
	v_lshl_add_u32 v135, v135, 23, 0x37800000
	s_delay_alu instid0(VALU_DEP_2) | instskip(NEXT) | instid1(VALU_DEP_3)
	v_and_b32_e32 v68, 0x80000000, v145
	v_lshlrev_b32_e32 v8, 21, v8
	s_delay_alu instid0(VALU_DEP_1)
	v_or3_b32 v68, v68, v135, v8
.LBB4_229:                              ;   in Loop: Header=BB4_144 Depth=3
	s_or_b32 exec_lo, exec_lo, s35
	s_delay_alu instid0(VALU_DEP_1) | instskip(SKIP_1) | instid1(VALU_DEP_1)
	v_dual_mul_f32 v8, s34, v68 :: v_dual_mov_b32 v135, 0x80
	s_mov_b32 s35, exec_lo
	v_and_b32_e32 v68, 0x7f800000, v8
	s_delay_alu instid0(VALU_DEP_1)
	v_cmpx_ne_u32_e32 0x7f800000, v68
	s_cbranch_execz .LBB4_237
; %bb.230:                              ;   in Loop: Header=BB4_144 Depth=3
	v_mov_b32_e32 v135, 0
	s_mov_b32 s36, exec_lo
	v_cmpx_ne_u32_e32 0, v8
	s_cbranch_execz .LBB4_236
; %bb.231:                              ;   in Loop: Header=BB4_144 Depth=3
	v_bfe_u32 v68, v8, 23, 8
	v_and_b32_e32 v135, 0x7fffff, v8
	s_delay_alu instid0(VALU_DEP_2) | instskip(SKIP_1) | instid1(VALU_DEP_3)
	v_sub_nc_u32_e32 v144, 0x70, v68
	v_cmp_gt_u32_e32 vcc_lo, 0x71, v68
	v_or_b32_e32 v145, 0x800000, v135
	s_delay_alu instid0(VALU_DEP_3) | instskip(SKIP_1) | instid1(VALU_DEP_3)
	v_cndmask_b32_e32 v144, 0, v144, vcc_lo
	v_cmp_eq_u32_e32 vcc_lo, 0, v68
	v_dual_cndmask_b32 v135, v145, v135 :: v_dual_add_nc_u32 v68, 0xffffff91, v68
	s_delay_alu instid0(VALU_DEP_3) | instskip(NEXT) | instid1(VALU_DEP_2)
	v_cndmask_b32_e64 v144, v144, 0x6f, vcc_lo
	v_cndmask_b32_e64 v68, v68, 0xffffff92, vcc_lo
	s_delay_alu instid0(VALU_DEP_2) | instskip(SKIP_2) | instid1(VALU_DEP_4)
	v_lshrrev_b32_e32 v146, v144, v135
	v_lshl_add_u32 v145, 0x200000, v144, -1
	v_lshlrev_b32_e64 v148, v144, 0x100000
	v_add_nc_u32_e32 v144, v144, v68
	s_delay_alu instid0(VALU_DEP_4) | instskip(NEXT) | instid1(VALU_DEP_4)
	v_bfe_u32 v147, v146, 21, 1
	v_and_b32_e32 v135, v145, v135
	s_delay_alu instid0(VALU_DEP_2) | instskip(NEXT) | instid1(VALU_DEP_2)
	v_add_nc_u32_e32 v145, -1, v147
	v_cmp_eq_u32_e64 s13, v135, v148
	s_delay_alu instid0(VALU_DEP_1) | instskip(SKIP_2) | instid1(VALU_DEP_2)
	v_cndmask_b32_e64 v135, 0, v145, s13
	v_lshrrev_b32_e32 v145, 23, v146
	s_mov_b32 s13, exec_lo
	v_add_nc_u32_e32 v135, v135, v146
	s_delay_alu instid0(VALU_DEP_2) | instskip(NEXT) | instid1(VALU_DEP_2)
	v_xor_b32_e32 v145, 1, v145
	v_and_b32_e32 v68, 0x1fffff, v135
	s_delay_alu instid0(VALU_DEP_1) | instskip(NEXT) | instid1(VALU_DEP_3)
	v_add_nc_u32_e32 v135, v68, v146
                                        ; implicit-def: $vgpr68
	v_cmpx_ne_u32_e64 v144, v145
	s_xor_b32 s13, exec_lo, s13
; %bb.232:                              ;   in Loop: Header=BB4_144 Depth=3
	s_delay_alu instid0(VALU_DEP_2) | instskip(SKIP_2) | instid1(VALU_DEP_2)
	v_cmp_lt_u32_e32 vcc_lo, 0xffffff, v135
	v_sub_nc_u32_e32 v68, v144, v145
	v_cndmask_b32_e64 v144, 0, 1, vcc_lo
	v_add_co_ci_u32_e32 v68, vcc_lo, 0, v68, vcc_lo
	s_delay_alu instid0(VALU_DEP_2)
	v_lshrrev_b32_e32 v135, v144, v135
; %bb.233:                              ;   in Loop: Header=BB4_144 Depth=3
	s_and_not1_saveexec_b32 s13, s13
; %bb.234:                              ;   in Loop: Header=BB4_144 Depth=3
	s_delay_alu instid0(VALU_DEP_1)
	v_bfe_u32 v68, v135, 23, 1
; %bb.235:                              ;   in Loop: Header=BB4_144 Depth=3
	s_or_b32 exec_lo, exec_lo, s13
	v_lshrrev_b32_e32 v135, 21, v135
	s_delay_alu instid0(VALU_DEP_2) | instskip(SKIP_2) | instid1(VALU_DEP_3)
	v_min_i32_e32 v144, 31, v68
	v_cmp_gt_i32_e32 vcc_lo, 32, v68
	v_lshrrev_b32_e32 v8, 24, v8
	v_dual_cndmask_b32 v135, 3, v135 :: v_dual_lshlrev_b32 v144, 2, v144
	s_delay_alu instid0(VALU_DEP_2) | instskip(NEXT) | instid1(VALU_DEP_2)
	v_and_b32_e32 v8, 0x80, v8
	v_and_b32_e32 v144, 0xfc, v144
	s_delay_alu instid0(VALU_DEP_3) | instskip(SKIP_1) | instid1(VALU_DEP_2)
	v_and_b32_e32 v145, 3, v135
	v_or_b32_e32 v68, v68, v135
	v_or3_b32 v8, v144, v8, v145
	s_delay_alu instid0(VALU_DEP_2) | instskip(NEXT) | instid1(VALU_DEP_2)
	v_cmp_ne_u32_e32 vcc_lo, 0, v68
	v_cndmask_b32_e32 v135, 0, v8, vcc_lo
.LBB4_236:                              ;   in Loop: Header=BB4_144 Depth=3
	s_or_b32 exec_lo, exec_lo, s36
.LBB4_237:                              ;   in Loop: Header=BB4_144 Depth=3
	s_delay_alu instid0(SALU_CYCLE_1) | instskip(SKIP_3) | instid1(VALU_DEP_1)
	s_or_b32 exec_lo, exec_lo, s35
	v_lshrrev_b32_e32 v8, 24, v9
	s_mov_b32 s13, 0
	s_mov_b32 s36, exec_lo
                                        ; implicit-def: $sgpr35
	v_cmpx_lt_i16_e32 0x7f, v8
	s_xor_b32 s36, exec_lo, s36
	s_cbranch_execnz .LBB4_947
; %bb.238:                              ;   in Loop: Header=BB4_144 Depth=3
	s_or_saveexec_b32 s36, s36
	v_mov_b32_e32 v68, s35
	s_xor_b32 exec_lo, exec_lo, s36
	s_cbranch_execnz .LBB4_950
.LBB4_239:                              ;   in Loop: Header=BB4_144 Depth=3
	s_or_b32 exec_lo, exec_lo, s36
	s_and_saveexec_b32 s35, s13
	s_cbranch_execz .LBB4_241
.LBB4_240:                              ;   in Loop: Header=BB4_144 Depth=3
	v_bfe_u32 v68, v9, 24, 2
	s_delay_alu instid0(VALU_DEP_1) | instskip(NEXT) | instid1(VALU_DEP_1)
	v_clz_i32_u32_e32 v144, v68
	v_min_u32_e32 v144, 32, v144
	s_delay_alu instid0(VALU_DEP_1) | instskip(SKIP_1) | instid1(VALU_DEP_2)
	v_subrev_nc_u32_e32 v145, 29, v144
	v_sub_nc_u32_e32 v144, 30, v144
	v_lshlrev_b32_e32 v8, v145, v8
	v_bfe_u32 v145, v9, 26, 5
	v_and_b32_e32 v9, 0x80000000, v9
	s_delay_alu instid0(VALU_DEP_3) | instskip(NEXT) | instid1(VALU_DEP_3)
	v_and_b32_e32 v8, 3, v8
	v_cmp_eq_u32_e32 vcc_lo, 0, v145
	v_cndmask_b32_e32 v144, v145, v144, vcc_lo
	s_delay_alu instid0(VALU_DEP_3) | instskip(NEXT) | instid1(VALU_DEP_2)
	v_cndmask_b32_e32 v8, v68, v8, vcc_lo
	v_lshl_add_u32 v68, v144, 23, 0x37800000
	s_delay_alu instid0(VALU_DEP_2) | instskip(NEXT) | instid1(VALU_DEP_1)
	v_lshlrev_b32_e32 v8, 21, v8
	v_or3_b32 v68, v9, v68, v8
.LBB4_241:                              ;   in Loop: Header=BB4_144 Depth=3
	s_or_b32 exec_lo, exec_lo, s35
	s_delay_alu instid0(VALU_DEP_1) | instskip(SKIP_2) | instid1(VALU_DEP_2)
	v_mul_f32_e32 v8, s34, v68
	v_mov_b32_e32 v144, 0x8000
	s_mov_b32 s35, exec_lo
	v_and_b32_e32 v9, 0x7f800000, v8
	s_delay_alu instid0(VALU_DEP_1)
	v_cmpx_ne_u32_e32 0x7f800000, v9
	s_cbranch_execz .LBB4_249
; %bb.242:                              ;   in Loop: Header=BB4_144 Depth=3
	v_mov_b32_e32 v144, 0
	s_mov_b32 s36, exec_lo
	v_cmpx_ne_u32_e32 0, v8
	s_cbranch_execz .LBB4_248
; %bb.243:                              ;   in Loop: Header=BB4_144 Depth=3
	v_bfe_u32 v9, v8, 23, 8
	v_and_b32_e32 v68, 0x7fffff, v8
	s_delay_alu instid0(VALU_DEP_2) | instskip(SKIP_1) | instid1(VALU_DEP_3)
	v_sub_nc_u32_e32 v144, 0x70, v9
	v_cmp_gt_u32_e32 vcc_lo, 0x71, v9
	v_or_b32_e32 v145, 0x800000, v68
	s_delay_alu instid0(VALU_DEP_3) | instskip(SKIP_2) | instid1(VALU_DEP_3)
	v_cndmask_b32_e32 v144, 0, v144, vcc_lo
	v_cmp_eq_u32_e32 vcc_lo, 0, v9
	v_add_nc_u32_e32 v9, 0xffffff91, v9
	v_cndmask_b32_e64 v144, v144, 0x6f, vcc_lo
	v_cndmask_b32_e32 v68, v145, v68, vcc_lo
	s_delay_alu instid0(VALU_DEP_3) | instskip(NEXT) | instid1(VALU_DEP_3)
	v_cndmask_b32_e64 v9, v9, 0xffffff92, vcc_lo
	v_lshl_add_u32 v145, 0x200000, v144, -1
	s_delay_alu instid0(VALU_DEP_3) | instskip(SKIP_1) | instid1(VALU_DEP_4)
	v_lshrrev_b32_e32 v146, v144, v68
	v_lshlrev_b32_e64 v148, v144, 0x100000
	v_add_nc_u32_e32 v144, v144, v9
	s_delay_alu instid0(VALU_DEP_4) | instskip(NEXT) | instid1(VALU_DEP_4)
	v_and_b32_e32 v68, v145, v68
	v_bfe_u32 v147, v146, 21, 1
	s_delay_alu instid0(VALU_DEP_2) | instskip(NEXT) | instid1(VALU_DEP_2)
	v_cmp_eq_u32_e64 s13, v68, v148
	v_add_nc_u32_e32 v145, -1, v147
	s_delay_alu instid0(VALU_DEP_1) | instskip(SKIP_2) | instid1(VALU_DEP_2)
	v_cndmask_b32_e64 v68, 0, v145, s13
	v_lshrrev_b32_e32 v145, 23, v146
	s_mov_b32 s13, exec_lo
	v_add_nc_u32_e32 v68, v68, v146
	s_delay_alu instid0(VALU_DEP_2) | instskip(NEXT) | instid1(VALU_DEP_2)
	v_xor_b32_e32 v145, 1, v145
	v_and_b32_e32 v9, 0x1fffff, v68
	s_delay_alu instid0(VALU_DEP_1) | instskip(NEXT) | instid1(VALU_DEP_3)
	v_add_nc_u32_e32 v68, v9, v146
                                        ; implicit-def: $vgpr9
	v_cmpx_ne_u32_e64 v144, v145
	s_xor_b32 s13, exec_lo, s13
; %bb.244:                              ;   in Loop: Header=BB4_144 Depth=3
	s_delay_alu instid0(VALU_DEP_2) | instskip(SKIP_2) | instid1(VALU_DEP_2)
	v_cmp_lt_u32_e32 vcc_lo, 0xffffff, v68
	v_sub_nc_u32_e32 v9, v144, v145
	v_cndmask_b32_e64 v144, 0, 1, vcc_lo
	v_add_co_ci_u32_e32 v9, vcc_lo, 0, v9, vcc_lo
	s_delay_alu instid0(VALU_DEP_2)
	v_lshrrev_b32_e32 v68, v144, v68
; %bb.245:                              ;   in Loop: Header=BB4_144 Depth=3
	s_and_not1_saveexec_b32 s13, s13
; %bb.246:                              ;   in Loop: Header=BB4_144 Depth=3
	s_delay_alu instid0(VALU_DEP_1)
	v_bfe_u32 v9, v68, 23, 1
; %bb.247:                              ;   in Loop: Header=BB4_144 Depth=3
	s_or_b32 exec_lo, exec_lo, s13
	v_lshrrev_b32_e32 v68, 21, v68
	s_delay_alu instid0(VALU_DEP_2) | instskip(SKIP_2) | instid1(VALU_DEP_3)
	v_min_i32_e32 v144, 31, v9
	v_cmp_gt_i32_e32 vcc_lo, 32, v9
	v_lshrrev_b32_e32 v8, 24, v8
	v_lshlrev_b32_e32 v144, 2, v144
	v_cndmask_b32_e32 v68, 3, v68, vcc_lo
	s_delay_alu instid0(VALU_DEP_3) | instskip(NEXT) | instid1(VALU_DEP_3)
	v_and_b32_e32 v8, 0x80, v8
	v_and_b32_e32 v144, 0xfc, v144
	s_delay_alu instid0(VALU_DEP_3) | instskip(SKIP_1) | instid1(VALU_DEP_2)
	v_and_b32_e32 v145, 3, v68
	v_or_b32_e32 v9, v9, v68
	v_or3_b32 v8, v8, v144, v145
	s_delay_alu instid0(VALU_DEP_2) | instskip(NEXT) | instid1(VALU_DEP_2)
	v_cmp_ne_u32_e32 vcc_lo, 0, v9
	v_lshlrev_b32_e32 v8, 8, v8
	s_delay_alu instid0(VALU_DEP_1)
	v_cndmask_b32_e32 v144, 0, v8, vcc_lo
.LBB4_248:                              ;   in Loop: Header=BB4_144 Depth=3
	s_or_b32 exec_lo, exec_lo, s36
.LBB4_249:                              ;   in Loop: Header=BB4_144 Depth=3
	s_delay_alu instid0(SALU_CYCLE_1) | instskip(SKIP_3) | instid1(VALU_DEP_1)
	s_or_b32 exec_lo, exec_lo, s35
	v_and_b32_e32 v9, 0xff, v10
	s_mov_b32 s13, 0
	s_mov_b32 s36, exec_lo
                                        ; implicit-def: $sgpr35
	v_cmpx_lt_i16_e32 0x7f, v9
	s_xor_b32 s36, exec_lo, s36
	s_cbranch_execnz .LBB4_951
; %bb.250:                              ;   in Loop: Header=BB4_144 Depth=3
	s_or_saveexec_b32 s36, s36
	v_mov_b32_e32 v8, s35
	s_xor_b32 exec_lo, exec_lo, s36
	s_cbranch_execnz .LBB4_954
.LBB4_251:                              ;   in Loop: Header=BB4_144 Depth=3
	s_or_b32 exec_lo, exec_lo, s36
	s_and_saveexec_b32 s35, s13
	s_cbranch_execz .LBB4_253
.LBB4_252:                              ;   in Loop: Header=BB4_144 Depth=3
	v_bfe_u32 v145, v10, 2, 5
	v_lshlrev_b32_e32 v146, 24, v10
	s_delay_alu instid0(VALU_DEP_2) | instskip(SKIP_1) | instid1(VALU_DEP_1)
	v_cmp_eq_u32_e32 vcc_lo, 0, v145
	v_and_b32_e32 v8, 3, v10
	v_clz_i32_u32_e32 v9, v8
	s_delay_alu instid0(VALU_DEP_1) | instskip(NEXT) | instid1(VALU_DEP_1)
	v_min_u32_e32 v9, 32, v9
	v_subrev_nc_u32_e32 v68, 29, v9
	v_sub_nc_u32_e32 v9, 30, v9
	s_delay_alu instid0(VALU_DEP_1) | instskip(NEXT) | instid1(VALU_DEP_1)
	v_dual_cndmask_b32 v9, v145, v9 :: v_dual_lshlrev_b32 v68, v68, v10
	v_and_b32_e32 v68, 3, v68
	s_delay_alu instid0(VALU_DEP_2) | instskip(NEXT) | instid1(VALU_DEP_2)
	v_lshl_add_u32 v9, v9, 23, 0x37800000
	v_cndmask_b32_e32 v8, v8, v68, vcc_lo
	v_and_b32_e32 v68, 0x80000000, v146
	s_delay_alu instid0(VALU_DEP_2) | instskip(NEXT) | instid1(VALU_DEP_1)
	v_lshlrev_b32_e32 v8, 21, v8
	v_or3_b32 v8, v68, v9, v8
.LBB4_253:                              ;   in Loop: Header=BB4_144 Depth=3
	s_or_b32 exec_lo, exec_lo, s35
	s_delay_alu instid0(VALU_DEP_1) | instskip(SKIP_1) | instid1(VALU_DEP_1)
	v_dual_mul_f32 v8, s34, v8 :: v_dual_mov_b32 v145, 0x80
	s_mov_b32 s35, exec_lo
	v_and_b32_e32 v9, 0x7f800000, v8
	s_delay_alu instid0(VALU_DEP_1)
	v_cmpx_ne_u32_e32 0x7f800000, v9
	s_cbranch_execz .LBB4_261
; %bb.254:                              ;   in Loop: Header=BB4_144 Depth=3
	v_mov_b32_e32 v145, 0
	s_mov_b32 s36, exec_lo
	v_cmpx_ne_u32_e32 0, v8
	s_cbranch_execz .LBB4_260
; %bb.255:                              ;   in Loop: Header=BB4_144 Depth=3
	v_bfe_u32 v9, v8, 23, 8
	s_delay_alu instid0(VALU_DEP_1) | instskip(SKIP_1) | instid1(VALU_DEP_2)
	v_sub_nc_u32_e32 v145, 0x70, v9
	v_cmp_gt_u32_e32 vcc_lo, 0x71, v9
	v_dual_cndmask_b32 v145, 0, v145 :: v_dual_and_b32 v68, 0x7fffff, v8
	s_delay_alu instid0(VALU_DEP_1) | instskip(SKIP_2) | instid1(VALU_DEP_4)
	v_or_b32_e32 v146, 0x800000, v68
	v_cmp_eq_u32_e32 vcc_lo, 0, v9
	v_add_nc_u32_e32 v9, 0xffffff91, v9
	v_cndmask_b32_e64 v145, v145, 0x6f, vcc_lo
	s_delay_alu instid0(VALU_DEP_4) | instskip(NEXT) | instid1(VALU_DEP_3)
	v_cndmask_b32_e32 v68, v146, v68, vcc_lo
	v_cndmask_b32_e64 v9, v9, 0xffffff92, vcc_lo
	s_delay_alu instid0(VALU_DEP_3) | instskip(NEXT) | instid1(VALU_DEP_3)
	v_lshl_add_u32 v146, 0x200000, v145, -1
	v_lshrrev_b32_e32 v147, v145, v68
	v_lshlrev_b32_e64 v149, v145, 0x100000
	s_delay_alu instid0(VALU_DEP_4) | instskip(NEXT) | instid1(VALU_DEP_4)
	v_add_nc_u32_e32 v145, v145, v9
	v_and_b32_e32 v68, v146, v68
	s_delay_alu instid0(VALU_DEP_4) | instskip(NEXT) | instid1(VALU_DEP_2)
	v_bfe_u32 v148, v147, 21, 1
	v_cmp_eq_u32_e64 s13, v68, v149
	s_delay_alu instid0(VALU_DEP_2) | instskip(NEXT) | instid1(VALU_DEP_1)
	v_add_nc_u32_e32 v146, -1, v148
	v_cndmask_b32_e64 v68, 0, v146, s13
	v_lshrrev_b32_e32 v146, 23, v147
	s_mov_b32 s13, exec_lo
	s_delay_alu instid0(VALU_DEP_2) | instskip(NEXT) | instid1(VALU_DEP_2)
	v_add_nc_u32_e32 v68, v68, v147
	v_xor_b32_e32 v146, 1, v146
	s_delay_alu instid0(VALU_DEP_2) | instskip(NEXT) | instid1(VALU_DEP_1)
	v_and_b32_e32 v9, 0x1fffff, v68
	v_add_nc_u32_e32 v68, v9, v147
                                        ; implicit-def: $vgpr9
	s_delay_alu instid0(VALU_DEP_3)
	v_cmpx_ne_u32_e64 v145, v146
	s_xor_b32 s13, exec_lo, s13
; %bb.256:                              ;   in Loop: Header=BB4_144 Depth=3
	s_delay_alu instid0(VALU_DEP_2) | instskip(SKIP_2) | instid1(VALU_DEP_2)
	v_cmp_lt_u32_e32 vcc_lo, 0xffffff, v68
	v_sub_nc_u32_e32 v9, v145, v146
	v_cndmask_b32_e64 v145, 0, 1, vcc_lo
	v_add_co_ci_u32_e32 v9, vcc_lo, 0, v9, vcc_lo
	s_delay_alu instid0(VALU_DEP_2)
	v_lshrrev_b32_e32 v68, v145, v68
; %bb.257:                              ;   in Loop: Header=BB4_144 Depth=3
	s_and_not1_saveexec_b32 s13, s13
; %bb.258:                              ;   in Loop: Header=BB4_144 Depth=3
	s_delay_alu instid0(VALU_DEP_1)
	v_bfe_u32 v9, v68, 23, 1
; %bb.259:                              ;   in Loop: Header=BB4_144 Depth=3
	s_or_b32 exec_lo, exec_lo, s13
	v_lshrrev_b32_e32 v68, 21, v68
	s_delay_alu instid0(VALU_DEP_2) | instskip(SKIP_2) | instid1(VALU_DEP_4)
	v_cmp_gt_i32_e32 vcc_lo, 32, v9
	v_lshrrev_b32_e32 v8, 24, v8
	v_min_i32_e32 v145, 31, v9
	v_cndmask_b32_e32 v68, 3, v68, vcc_lo
	s_delay_alu instid0(VALU_DEP_3) | instskip(NEXT) | instid1(VALU_DEP_3)
	v_and_b32_e32 v8, 0x80, v8
	v_lshlrev_b32_e32 v145, 2, v145
	s_delay_alu instid0(VALU_DEP_3) | instskip(SKIP_1) | instid1(VALU_DEP_2)
	v_and_b32_e32 v146, 3, v68
	v_or_b32_e32 v9, v9, v68
	v_or3_b32 v8, v145, v8, v146
	s_delay_alu instid0(VALU_DEP_2) | instskip(NEXT) | instid1(VALU_DEP_2)
	v_cmp_ne_u32_e32 vcc_lo, 0, v9
	v_cndmask_b32_e32 v145, 0, v8, vcc_lo
.LBB4_260:                              ;   in Loop: Header=BB4_144 Depth=3
	s_or_b32 exec_lo, exec_lo, s36
.LBB4_261:                              ;   in Loop: Header=BB4_144 Depth=3
	s_delay_alu instid0(SALU_CYCLE_1) | instskip(SKIP_3) | instid1(VALU_DEP_1)
	s_or_b32 exec_lo, exec_lo, s35
	v_lshrrev_b16 v8, 8, v10
	s_mov_b32 s13, 0
	s_mov_b32 s36, exec_lo
                                        ; implicit-def: $sgpr35
	v_cmpx_lt_i16_e32 0x7f, v8
	s_xor_b32 s36, exec_lo, s36
	s_cbranch_execnz .LBB4_955
; %bb.262:                              ;   in Loop: Header=BB4_144 Depth=3
	s_or_saveexec_b32 s36, s36
	v_mov_b32_e32 v9, s35
	s_xor_b32 exec_lo, exec_lo, s36
	s_cbranch_execnz .LBB4_958
.LBB4_263:                              ;   in Loop: Header=BB4_144 Depth=3
	s_or_b32 exec_lo, exec_lo, s36
	s_and_saveexec_b32 s35, s13
	s_cbranch_execz .LBB4_265
.LBB4_264:                              ;   in Loop: Header=BB4_144 Depth=3
	v_and_b32_e32 v9, 0xffff, v8
	v_lshlrev_b32_e32 v8, 24, v8
	s_delay_alu instid0(VALU_DEP_2) | instskip(NEXT) | instid1(VALU_DEP_2)
	v_and_b32_e32 v68, 3, v9
	v_and_b32_e32 v8, 0x80000000, v8
	s_delay_alu instid0(VALU_DEP_2) | instskip(NEXT) | instid1(VALU_DEP_1)
	v_clz_i32_u32_e32 v146, v68
	v_min_u32_e32 v146, 32, v146
	s_delay_alu instid0(VALU_DEP_1) | instskip(SKIP_1) | instid1(VALU_DEP_2)
	v_subrev_nc_u32_e32 v147, 29, v146
	v_sub_nc_u32_e32 v146, 30, v146
	v_lshlrev_b32_e32 v147, v147, v9
	v_bfe_u32 v9, v9, 2, 5
	s_delay_alu instid0(VALU_DEP_2) | instskip(NEXT) | instid1(VALU_DEP_2)
	v_and_b32_e32 v147, 3, v147
	v_cmp_eq_u32_e32 vcc_lo, 0, v9
	s_delay_alu instid0(VALU_DEP_2) | instskip(NEXT) | instid1(VALU_DEP_1)
	v_dual_cndmask_b32 v9, v9, v146 :: v_dual_cndmask_b32 v68, v68, v147
	v_lshl_add_u32 v9, v9, 23, 0x37800000
	s_delay_alu instid0(VALU_DEP_2) | instskip(NEXT) | instid1(VALU_DEP_1)
	v_lshlrev_b32_e32 v68, 21, v68
	v_or3_b32 v9, v8, v9, v68
.LBB4_265:                              ;   in Loop: Header=BB4_144 Depth=3
	s_or_b32 exec_lo, exec_lo, s35
	s_delay_alu instid0(VALU_DEP_1) | instskip(SKIP_2) | instid1(VALU_DEP_2)
	v_mul_f32_e32 v8, s34, v9
	v_mov_b32_e32 v146, 0x80
	s_mov_b32 s35, exec_lo
	v_and_b32_e32 v9, 0x7f800000, v8
	s_delay_alu instid0(VALU_DEP_1)
	v_cmpx_ne_u32_e32 0x7f800000, v9
	s_cbranch_execz .LBB4_273
; %bb.266:                              ;   in Loop: Header=BB4_144 Depth=3
	v_mov_b32_e32 v146, 0
	s_mov_b32 s36, exec_lo
	v_cmpx_ne_u32_e32 0, v8
	s_cbranch_execz .LBB4_272
; %bb.267:                              ;   in Loop: Header=BB4_144 Depth=3
	v_bfe_u32 v9, v8, 23, 8
	v_and_b32_e32 v68, 0x7fffff, v8
	s_delay_alu instid0(VALU_DEP_2) | instskip(SKIP_1) | instid1(VALU_DEP_3)
	v_sub_nc_u32_e32 v146, 0x70, v9
	v_cmp_gt_u32_e32 vcc_lo, 0x71, v9
	v_or_b32_e32 v147, 0x800000, v68
	s_delay_alu instid0(VALU_DEP_3) | instskip(SKIP_2) | instid1(VALU_DEP_3)
	v_cndmask_b32_e32 v146, 0, v146, vcc_lo
	v_cmp_eq_u32_e32 vcc_lo, 0, v9
	v_add_nc_u32_e32 v9, 0xffffff91, v9
	v_cndmask_b32_e64 v146, v146, 0x6f, vcc_lo
	v_cndmask_b32_e32 v68, v147, v68, vcc_lo
	s_delay_alu instid0(VALU_DEP_3) | instskip(NEXT) | instid1(VALU_DEP_3)
	v_cndmask_b32_e64 v9, v9, 0xffffff92, vcc_lo
	v_lshl_add_u32 v147, 0x200000, v146, -1
	s_delay_alu instid0(VALU_DEP_3) | instskip(SKIP_1) | instid1(VALU_DEP_4)
	v_lshrrev_b32_e32 v148, v146, v68
	v_lshlrev_b32_e64 v150, v146, 0x100000
	v_add_nc_u32_e32 v146, v146, v9
	s_delay_alu instid0(VALU_DEP_4) | instskip(NEXT) | instid1(VALU_DEP_4)
	v_and_b32_e32 v68, v147, v68
	v_bfe_u32 v149, v148, 21, 1
	s_delay_alu instid0(VALU_DEP_2) | instskip(NEXT) | instid1(VALU_DEP_2)
	v_cmp_eq_u32_e64 s13, v68, v150
	v_add_nc_u32_e32 v147, -1, v149
	s_delay_alu instid0(VALU_DEP_1) | instskip(SKIP_2) | instid1(VALU_DEP_2)
	v_cndmask_b32_e64 v68, 0, v147, s13
	v_lshrrev_b32_e32 v147, 23, v148
	s_mov_b32 s13, exec_lo
	v_add_nc_u32_e32 v68, v68, v148
	s_delay_alu instid0(VALU_DEP_2) | instskip(NEXT) | instid1(VALU_DEP_2)
	v_xor_b32_e32 v147, 1, v147
	v_and_b32_e32 v9, 0x1fffff, v68
	s_delay_alu instid0(VALU_DEP_1) | instskip(NEXT) | instid1(VALU_DEP_3)
	v_add_nc_u32_e32 v68, v9, v148
                                        ; implicit-def: $vgpr9
	v_cmpx_ne_u32_e64 v146, v147
	s_xor_b32 s13, exec_lo, s13
; %bb.268:                              ;   in Loop: Header=BB4_144 Depth=3
	s_delay_alu instid0(VALU_DEP_2) | instskip(SKIP_2) | instid1(VALU_DEP_2)
	v_cmp_lt_u32_e32 vcc_lo, 0xffffff, v68
	v_sub_nc_u32_e32 v9, v146, v147
	v_cndmask_b32_e64 v146, 0, 1, vcc_lo
	v_add_co_ci_u32_e32 v9, vcc_lo, 0, v9, vcc_lo
	s_delay_alu instid0(VALU_DEP_2)
	v_lshrrev_b32_e32 v68, v146, v68
; %bb.269:                              ;   in Loop: Header=BB4_144 Depth=3
	s_and_not1_saveexec_b32 s13, s13
; %bb.270:                              ;   in Loop: Header=BB4_144 Depth=3
	s_delay_alu instid0(VALU_DEP_1)
	v_bfe_u32 v9, v68, 23, 1
; %bb.271:                              ;   in Loop: Header=BB4_144 Depth=3
	s_or_b32 exec_lo, exec_lo, s13
	v_lshrrev_b32_e32 v68, 21, v68
	s_delay_alu instid0(VALU_DEP_2) | instskip(SKIP_2) | instid1(VALU_DEP_4)
	v_cmp_gt_i32_e32 vcc_lo, 32, v9
	v_lshrrev_b32_e32 v8, 24, v8
	v_min_i32_e32 v146, 31, v9
	v_cndmask_b32_e32 v68, 3, v68, vcc_lo
	s_delay_alu instid0(VALU_DEP_3) | instskip(NEXT) | instid1(VALU_DEP_3)
	v_and_b32_e32 v8, 0x80, v8
	v_lshlrev_b32_e32 v146, 2, v146
	s_delay_alu instid0(VALU_DEP_3) | instskip(SKIP_1) | instid1(VALU_DEP_2)
	v_and_b32_e32 v147, 3, v68
	v_or_b32_e32 v9, v9, v68
	v_or3_b32 v8, v146, v8, v147
	s_delay_alu instid0(VALU_DEP_2) | instskip(NEXT) | instid1(VALU_DEP_2)
	v_cmp_ne_u32_e32 vcc_lo, 0, v9
	v_cndmask_b32_e32 v146, 0, v8, vcc_lo
.LBB4_272:                              ;   in Loop: Header=BB4_144 Depth=3
	s_or_b32 exec_lo, exec_lo, s36
.LBB4_273:                              ;   in Loop: Header=BB4_144 Depth=3
	s_delay_alu instid0(SALU_CYCLE_1) | instskip(SKIP_3) | instid1(VALU_DEP_1)
	s_or_b32 exec_lo, exec_lo, s35
	v_lshrrev_b32_e32 v8, 16, v10
	s_mov_b32 s13, 0
	s_mov_b32 s36, exec_lo
                                        ; implicit-def: $sgpr35
	v_and_b32_e32 v68, 0xff, v8
	s_delay_alu instid0(VALU_DEP_1)
	v_cmpx_lt_i16_e32 0x7f, v68
	s_xor_b32 s36, exec_lo, s36
	s_cbranch_execnz .LBB4_959
; %bb.274:                              ;   in Loop: Header=BB4_144 Depth=3
	s_or_saveexec_b32 s36, s36
	v_mov_b32_e32 v9, s35
	s_xor_b32 exec_lo, exec_lo, s36
	s_cbranch_execnz .LBB4_962
.LBB4_275:                              ;   in Loop: Header=BB4_144 Depth=3
	s_or_b32 exec_lo, exec_lo, s36
	s_and_saveexec_b32 s35, s13
	s_cbranch_execz .LBB4_277
.LBB4_276:                              ;   in Loop: Header=BB4_144 Depth=3
	v_bfe_u32 v9, v10, 16, 2
	v_lshlrev_b32_e32 v148, 8, v10
	s_delay_alu instid0(VALU_DEP_2) | instskip(NEXT) | instid1(VALU_DEP_1)
	v_clz_i32_u32_e32 v68, v9
	v_min_u32_e32 v68, 32, v68
	s_delay_alu instid0(VALU_DEP_1) | instskip(SKIP_1) | instid1(VALU_DEP_2)
	v_subrev_nc_u32_e32 v147, 29, v68
	v_sub_nc_u32_e32 v68, 30, v68
	v_lshlrev_b32_e32 v8, v147, v8
	v_bfe_u32 v147, v10, 18, 5
	s_delay_alu instid0(VALU_DEP_2) | instskip(NEXT) | instid1(VALU_DEP_2)
	v_and_b32_e32 v8, 3, v8
	v_cmp_eq_u32_e32 vcc_lo, 0, v147
	v_cndmask_b32_e32 v68, v147, v68, vcc_lo
	s_delay_alu instid0(VALU_DEP_3) | instskip(SKIP_1) | instid1(VALU_DEP_3)
	v_cndmask_b32_e32 v8, v9, v8, vcc_lo
	v_and_b32_e32 v9, 0x80000000, v148
	v_lshl_add_u32 v68, v68, 23, 0x37800000
	s_delay_alu instid0(VALU_DEP_3) | instskip(NEXT) | instid1(VALU_DEP_1)
	v_lshlrev_b32_e32 v8, 21, v8
	v_or3_b32 v9, v9, v68, v8
.LBB4_277:                              ;   in Loop: Header=BB4_144 Depth=3
	s_or_b32 exec_lo, exec_lo, s35
	s_delay_alu instid0(VALU_DEP_1) | instskip(SKIP_1) | instid1(VALU_DEP_1)
	v_dual_mul_f32 v8, s34, v9 :: v_dual_mov_b32 v147, 0x80
	s_mov_b32 s35, exec_lo
	v_and_b32_e32 v9, 0x7f800000, v8
	s_delay_alu instid0(VALU_DEP_1)
	v_cmpx_ne_u32_e32 0x7f800000, v9
	s_cbranch_execz .LBB4_285
; %bb.278:                              ;   in Loop: Header=BB4_144 Depth=3
	v_mov_b32_e32 v147, 0
	s_mov_b32 s36, exec_lo
	v_cmpx_ne_u32_e32 0, v8
	s_cbranch_execz .LBB4_284
; %bb.279:                              ;   in Loop: Header=BB4_144 Depth=3
	v_bfe_u32 v9, v8, 23, 8
	s_delay_alu instid0(VALU_DEP_1) | instskip(SKIP_1) | instid1(VALU_DEP_2)
	v_sub_nc_u32_e32 v147, 0x70, v9
	v_cmp_gt_u32_e32 vcc_lo, 0x71, v9
	v_dual_cndmask_b32 v147, 0, v147 :: v_dual_and_b32 v68, 0x7fffff, v8
	s_delay_alu instid0(VALU_DEP_1) | instskip(SKIP_2) | instid1(VALU_DEP_4)
	v_or_b32_e32 v148, 0x800000, v68
	v_cmp_eq_u32_e32 vcc_lo, 0, v9
	v_add_nc_u32_e32 v9, 0xffffff91, v9
	v_cndmask_b32_e64 v147, v147, 0x6f, vcc_lo
	s_delay_alu instid0(VALU_DEP_4) | instskip(NEXT) | instid1(VALU_DEP_3)
	v_cndmask_b32_e32 v68, v148, v68, vcc_lo
	v_cndmask_b32_e64 v9, v9, 0xffffff92, vcc_lo
	s_delay_alu instid0(VALU_DEP_3) | instskip(NEXT) | instid1(VALU_DEP_3)
	v_lshl_add_u32 v148, 0x200000, v147, -1
	v_lshrrev_b32_e32 v149, v147, v68
	v_lshlrev_b32_e64 v151, v147, 0x100000
	s_delay_alu instid0(VALU_DEP_4) | instskip(NEXT) | instid1(VALU_DEP_4)
	v_add_nc_u32_e32 v147, v147, v9
	v_and_b32_e32 v68, v148, v68
	s_delay_alu instid0(VALU_DEP_4) | instskip(NEXT) | instid1(VALU_DEP_2)
	v_bfe_u32 v150, v149, 21, 1
	v_cmp_eq_u32_e64 s13, v68, v151
	s_delay_alu instid0(VALU_DEP_2) | instskip(NEXT) | instid1(VALU_DEP_1)
	v_add_nc_u32_e32 v148, -1, v150
	v_cndmask_b32_e64 v68, 0, v148, s13
	v_lshrrev_b32_e32 v148, 23, v149
	s_mov_b32 s13, exec_lo
	s_delay_alu instid0(VALU_DEP_2) | instskip(NEXT) | instid1(VALU_DEP_2)
	v_add_nc_u32_e32 v68, v68, v149
	v_xor_b32_e32 v148, 1, v148
	s_delay_alu instid0(VALU_DEP_2) | instskip(NEXT) | instid1(VALU_DEP_1)
	v_and_b32_e32 v9, 0x1fffff, v68
	v_add_nc_u32_e32 v68, v9, v149
                                        ; implicit-def: $vgpr9
	s_delay_alu instid0(VALU_DEP_3)
	v_cmpx_ne_u32_e64 v147, v148
	s_xor_b32 s13, exec_lo, s13
; %bb.280:                              ;   in Loop: Header=BB4_144 Depth=3
	s_delay_alu instid0(VALU_DEP_2) | instskip(SKIP_2) | instid1(VALU_DEP_2)
	v_cmp_lt_u32_e32 vcc_lo, 0xffffff, v68
	v_sub_nc_u32_e32 v9, v147, v148
	v_cndmask_b32_e64 v147, 0, 1, vcc_lo
	v_add_co_ci_u32_e32 v9, vcc_lo, 0, v9, vcc_lo
	s_delay_alu instid0(VALU_DEP_2)
	v_lshrrev_b32_e32 v68, v147, v68
; %bb.281:                              ;   in Loop: Header=BB4_144 Depth=3
	s_and_not1_saveexec_b32 s13, s13
; %bb.282:                              ;   in Loop: Header=BB4_144 Depth=3
	s_delay_alu instid0(VALU_DEP_1)
	v_bfe_u32 v9, v68, 23, 1
; %bb.283:                              ;   in Loop: Header=BB4_144 Depth=3
	s_or_b32 exec_lo, exec_lo, s13
	v_lshrrev_b32_e32 v68, 21, v68
	s_delay_alu instid0(VALU_DEP_2) | instskip(SKIP_2) | instid1(VALU_DEP_4)
	v_cmp_gt_i32_e32 vcc_lo, 32, v9
	v_lshrrev_b32_e32 v8, 24, v8
	v_min_i32_e32 v147, 31, v9
	v_cndmask_b32_e32 v68, 3, v68, vcc_lo
	s_delay_alu instid0(VALU_DEP_3) | instskip(NEXT) | instid1(VALU_DEP_3)
	v_and_b32_e32 v8, 0x80, v8
	v_lshlrev_b32_e32 v147, 2, v147
	s_delay_alu instid0(VALU_DEP_3) | instskip(SKIP_1) | instid1(VALU_DEP_2)
	v_and_b32_e32 v148, 3, v68
	v_or_b32_e32 v9, v9, v68
	v_or3_b32 v8, v147, v8, v148
	s_delay_alu instid0(VALU_DEP_2) | instskip(NEXT) | instid1(VALU_DEP_2)
	v_cmp_ne_u32_e32 vcc_lo, 0, v9
	v_cndmask_b32_e32 v147, 0, v8, vcc_lo
.LBB4_284:                              ;   in Loop: Header=BB4_144 Depth=3
	s_or_b32 exec_lo, exec_lo, s36
.LBB4_285:                              ;   in Loop: Header=BB4_144 Depth=3
	s_delay_alu instid0(SALU_CYCLE_1) | instskip(SKIP_3) | instid1(VALU_DEP_1)
	s_or_b32 exec_lo, exec_lo, s35
	v_lshrrev_b32_e32 v8, 24, v10
	s_mov_b32 s13, 0
	s_mov_b32 s36, exec_lo
                                        ; implicit-def: $sgpr35
	v_cmpx_lt_i16_e32 0x7f, v8
	s_xor_b32 s36, exec_lo, s36
	s_cbranch_execnz .LBB4_963
; %bb.286:                              ;   in Loop: Header=BB4_144 Depth=3
	s_or_saveexec_b32 s36, s36
	v_mov_b32_e32 v9, s35
	s_xor_b32 exec_lo, exec_lo, s36
	s_cbranch_execnz .LBB4_966
.LBB4_287:                              ;   in Loop: Header=BB4_144 Depth=3
	s_or_b32 exec_lo, exec_lo, s36
	s_and_saveexec_b32 s35, s13
	s_cbranch_execz .LBB4_289
.LBB4_288:                              ;   in Loop: Header=BB4_144 Depth=3
	v_bfe_u32 v9, v10, 24, 2
	s_delay_alu instid0(VALU_DEP_1) | instskip(NEXT) | instid1(VALU_DEP_1)
	v_clz_i32_u32_e32 v68, v9
	v_min_u32_e32 v68, 32, v68
	s_delay_alu instid0(VALU_DEP_1) | instskip(SKIP_1) | instid1(VALU_DEP_2)
	v_subrev_nc_u32_e32 v148, 29, v68
	v_sub_nc_u32_e32 v68, 30, v68
	v_lshlrev_b32_e32 v8, v148, v8
	v_bfe_u32 v148, v10, 26, 5
	s_delay_alu instid0(VALU_DEP_2) | instskip(NEXT) | instid1(VALU_DEP_2)
	v_and_b32_e32 v8, 3, v8
	v_cmp_eq_u32_e32 vcc_lo, 0, v148
	v_cndmask_b32_e32 v68, v148, v68, vcc_lo
	s_delay_alu instid0(VALU_DEP_3) | instskip(NEXT) | instid1(VALU_DEP_2)
	v_dual_cndmask_b32 v8, v9, v8 :: v_dual_and_b32 v9, 0x80000000, v10
	v_lshl_add_u32 v10, v68, 23, 0x37800000
	s_delay_alu instid0(VALU_DEP_2) | instskip(NEXT) | instid1(VALU_DEP_1)
	v_lshlrev_b32_e32 v8, 21, v8
	v_or3_b32 v9, v9, v10, v8
.LBB4_289:                              ;   in Loop: Header=BB4_144 Depth=3
	s_or_b32 exec_lo, exec_lo, s35
	s_delay_alu instid0(VALU_DEP_1) | instskip(SKIP_2) | instid1(VALU_DEP_2)
	v_mul_f32_e32 v8, s34, v9
	v_mov_b32_e32 v148, 0x80
	s_mov_b32 s35, exec_lo
	v_and_b32_e32 v9, 0x7f800000, v8
	s_delay_alu instid0(VALU_DEP_1)
	v_cmpx_ne_u32_e32 0x7f800000, v9
	s_cbranch_execz .LBB4_297
; %bb.290:                              ;   in Loop: Header=BB4_144 Depth=3
	v_mov_b32_e32 v148, 0
	s_mov_b32 s36, exec_lo
	v_cmpx_ne_u32_e32 0, v8
	s_cbranch_execz .LBB4_296
; %bb.291:                              ;   in Loop: Header=BB4_144 Depth=3
	v_bfe_u32 v9, v8, 23, 8
	v_and_b32_e32 v10, 0x7fffff, v8
	s_delay_alu instid0(VALU_DEP_2) | instskip(SKIP_1) | instid1(VALU_DEP_3)
	v_sub_nc_u32_e32 v68, 0x70, v9
	v_cmp_gt_u32_e32 vcc_lo, 0x71, v9
	v_or_b32_e32 v148, 0x800000, v10
	s_delay_alu instid0(VALU_DEP_3) | instskip(SKIP_2) | instid1(VALU_DEP_3)
	v_cndmask_b32_e32 v68, 0, v68, vcc_lo
	v_cmp_eq_u32_e32 vcc_lo, 0, v9
	v_add_nc_u32_e32 v9, 0xffffff91, v9
	v_cndmask_b32_e64 v68, v68, 0x6f, vcc_lo
	v_cndmask_b32_e32 v10, v148, v10, vcc_lo
	s_delay_alu instid0(VALU_DEP_3) | instskip(NEXT) | instid1(VALU_DEP_3)
	v_cndmask_b32_e64 v9, v9, 0xffffff92, vcc_lo
	v_lshl_add_u32 v148, 0x200000, v68, -1
	s_delay_alu instid0(VALU_DEP_3) | instskip(SKIP_1) | instid1(VALU_DEP_4)
	v_lshrrev_b32_e32 v149, v68, v10
	v_lshlrev_b32_e64 v151, v68, 0x100000
	v_add_nc_u32_e32 v68, v68, v9
	s_delay_alu instid0(VALU_DEP_4) | instskip(NEXT) | instid1(VALU_DEP_4)
	v_and_b32_e32 v10, v148, v10
	v_bfe_u32 v150, v149, 21, 1
	s_delay_alu instid0(VALU_DEP_2) | instskip(NEXT) | instid1(VALU_DEP_2)
	v_cmp_eq_u32_e64 s13, v10, v151
	v_add_nc_u32_e32 v148, -1, v150
	s_delay_alu instid0(VALU_DEP_1) | instskip(SKIP_2) | instid1(VALU_DEP_2)
	v_cndmask_b32_e64 v10, 0, v148, s13
	v_lshrrev_b32_e32 v148, 23, v149
	s_mov_b32 s13, exec_lo
	v_add_nc_u32_e32 v10, v10, v149
	s_delay_alu instid0(VALU_DEP_2) | instskip(NEXT) | instid1(VALU_DEP_2)
	v_xor_b32_e32 v148, 1, v148
	v_and_b32_e32 v9, 0x1fffff, v10
	s_delay_alu instid0(VALU_DEP_1) | instskip(NEXT) | instid1(VALU_DEP_3)
	v_add_nc_u32_e32 v10, v9, v149
                                        ; implicit-def: $vgpr9
	v_cmpx_ne_u32_e64 v68, v148
	s_xor_b32 s13, exec_lo, s13
; %bb.292:                              ;   in Loop: Header=BB4_144 Depth=3
	s_delay_alu instid0(VALU_DEP_2) | instskip(SKIP_2) | instid1(VALU_DEP_2)
	v_cmp_lt_u32_e32 vcc_lo, 0xffffff, v10
	v_sub_nc_u32_e32 v9, v68, v148
	v_cndmask_b32_e64 v68, 0, 1, vcc_lo
	v_add_co_ci_u32_e32 v9, vcc_lo, 0, v9, vcc_lo
	s_delay_alu instid0(VALU_DEP_2)
	v_lshrrev_b32_e32 v10, v68, v10
; %bb.293:                              ;   in Loop: Header=BB4_144 Depth=3
	s_and_not1_saveexec_b32 s13, s13
; %bb.294:                              ;   in Loop: Header=BB4_144 Depth=3
	s_delay_alu instid0(VALU_DEP_1)
	v_bfe_u32 v9, v10, 23, 1
; %bb.295:                              ;   in Loop: Header=BB4_144 Depth=3
	s_or_b32 exec_lo, exec_lo, s13
	v_lshrrev_b32_e32 v10, 21, v10
	s_delay_alu instid0(VALU_DEP_2) | instskip(SKIP_2) | instid1(VALU_DEP_4)
	v_cmp_gt_i32_e32 vcc_lo, 32, v9
	v_lshrrev_b32_e32 v8, 24, v8
	v_min_i32_e32 v68, 31, v9
	v_cndmask_b32_e32 v10, 3, v10, vcc_lo
	s_delay_alu instid0(VALU_DEP_3) | instskip(NEXT) | instid1(VALU_DEP_3)
	v_and_b32_e32 v8, 0x80, v8
	v_lshlrev_b32_e32 v68, 2, v68
	s_delay_alu instid0(VALU_DEP_3) | instskip(SKIP_1) | instid1(VALU_DEP_2)
	v_and_b32_e32 v148, 3, v10
	v_or_b32_e32 v9, v9, v10
	v_or3_b32 v8, v68, v8, v148
	s_delay_alu instid0(VALU_DEP_2) | instskip(NEXT) | instid1(VALU_DEP_2)
	v_cmp_ne_u32_e32 vcc_lo, 0, v9
	v_cndmask_b32_e32 v148, 0, v8, vcc_lo
.LBB4_296:                              ;   in Loop: Header=BB4_144 Depth=3
	s_or_b32 exec_lo, exec_lo, s36
.LBB4_297:                              ;   in Loop: Header=BB4_144 Depth=3
	s_delay_alu instid0(SALU_CYCLE_1) | instskip(SKIP_3) | instid1(VALU_DEP_1)
	s_or_b32 exec_lo, exec_lo, s35
	v_and_b32_e32 v9, 0xff, v11
	s_mov_b32 s13, 0
	s_mov_b32 s36, exec_lo
                                        ; implicit-def: $sgpr35
	v_cmpx_lt_i16_e32 0x7f, v9
	s_xor_b32 s36, exec_lo, s36
	s_cbranch_execnz .LBB4_967
; %bb.298:                              ;   in Loop: Header=BB4_144 Depth=3
	s_or_saveexec_b32 s36, s36
	v_mov_b32_e32 v8, s35
	s_xor_b32 exec_lo, exec_lo, s36
	s_cbranch_execnz .LBB4_970
.LBB4_299:                              ;   in Loop: Header=BB4_144 Depth=3
	s_or_b32 exec_lo, exec_lo, s36
	s_and_saveexec_b32 s35, s13
	s_cbranch_execz .LBB4_301
.LBB4_300:                              ;   in Loop: Header=BB4_144 Depth=3
	v_bfe_u32 v68, v11, 2, 5
	s_delay_alu instid0(VALU_DEP_1) | instskip(SKIP_1) | instid1(VALU_DEP_1)
	v_cmp_eq_u32_e32 vcc_lo, 0, v68
	v_and_b32_e32 v8, 3, v11
	v_clz_i32_u32_e32 v9, v8
	s_delay_alu instid0(VALU_DEP_1) | instskip(NEXT) | instid1(VALU_DEP_1)
	v_min_u32_e32 v9, 32, v9
	v_subrev_nc_u32_e32 v10, 29, v9
	v_sub_nc_u32_e32 v9, 30, v9
	s_delay_alu instid0(VALU_DEP_1) | instskip(NEXT) | instid1(VALU_DEP_1)
	v_dual_cndmask_b32 v9, v68, v9 :: v_dual_lshlrev_b32 v10, v10, v11
	v_and_b32_e32 v10, 3, v10
	v_lshlrev_b32_e32 v149, 24, v11
	s_delay_alu instid0(VALU_DEP_3) | instskip(NEXT) | instid1(VALU_DEP_3)
	v_lshl_add_u32 v9, v9, 23, 0x37800000
	v_cndmask_b32_e32 v8, v8, v10, vcc_lo
	s_delay_alu instid0(VALU_DEP_3) | instskip(NEXT) | instid1(VALU_DEP_2)
	v_and_b32_e32 v10, 0x80000000, v149
	v_lshlrev_b32_e32 v8, 21, v8
	s_delay_alu instid0(VALU_DEP_1)
	v_or3_b32 v8, v10, v9, v8
.LBB4_301:                              ;   in Loop: Header=BB4_144 Depth=3
	s_or_b32 exec_lo, exec_lo, s35
	s_delay_alu instid0(VALU_DEP_1) | instskip(SKIP_1) | instid1(VALU_DEP_1)
	v_dual_mul_f32 v8, s34, v8 :: v_dual_mov_b32 v149, 0x80
	s_mov_b32 s35, exec_lo
	v_and_b32_e32 v9, 0x7f800000, v8
	s_delay_alu instid0(VALU_DEP_1)
	v_cmpx_ne_u32_e32 0x7f800000, v9
	s_cbranch_execz .LBB4_309
; %bb.302:                              ;   in Loop: Header=BB4_144 Depth=3
	v_mov_b32_e32 v149, 0
	s_mov_b32 s36, exec_lo
	v_cmpx_ne_u32_e32 0, v8
	s_cbranch_execz .LBB4_308
; %bb.303:                              ;   in Loop: Header=BB4_144 Depth=3
	v_bfe_u32 v9, v8, 23, 8
	v_and_b32_e32 v10, 0x7fffff, v8
	s_delay_alu instid0(VALU_DEP_2) | instskip(SKIP_1) | instid1(VALU_DEP_3)
	v_sub_nc_u32_e32 v68, 0x70, v9
	v_cmp_gt_u32_e32 vcc_lo, 0x71, v9
	v_or_b32_e32 v149, 0x800000, v10
	s_delay_alu instid0(VALU_DEP_3) | instskip(SKIP_2) | instid1(VALU_DEP_3)
	v_cndmask_b32_e32 v68, 0, v68, vcc_lo
	v_cmp_eq_u32_e32 vcc_lo, 0, v9
	v_add_nc_u32_e32 v9, 0xffffff91, v9
	v_cndmask_b32_e64 v68, v68, 0x6f, vcc_lo
	v_cndmask_b32_e32 v10, v149, v10, vcc_lo
	s_delay_alu instid0(VALU_DEP_3) | instskip(NEXT) | instid1(VALU_DEP_3)
	v_cndmask_b32_e64 v9, v9, 0xffffff92, vcc_lo
	v_lshl_add_u32 v149, 0x200000, v68, -1
	s_delay_alu instid0(VALU_DEP_3) | instskip(SKIP_1) | instid1(VALU_DEP_4)
	v_lshrrev_b32_e32 v150, v68, v10
	v_lshlrev_b32_e64 v160, v68, 0x100000
	v_add_nc_u32_e32 v68, v68, v9
	s_delay_alu instid0(VALU_DEP_4) | instskip(NEXT) | instid1(VALU_DEP_4)
	v_and_b32_e32 v10, v149, v10
	v_bfe_u32 v151, v150, 21, 1
	s_delay_alu instid0(VALU_DEP_2) | instskip(NEXT) | instid1(VALU_DEP_2)
	v_cmp_eq_u32_e64 s13, v10, v160
	v_add_nc_u32_e32 v149, -1, v151
	s_delay_alu instid0(VALU_DEP_1) | instskip(SKIP_2) | instid1(VALU_DEP_2)
	v_cndmask_b32_e64 v10, 0, v149, s13
	v_lshrrev_b32_e32 v149, 23, v150
	s_mov_b32 s13, exec_lo
	v_add_nc_u32_e32 v10, v10, v150
	s_delay_alu instid0(VALU_DEP_2) | instskip(NEXT) | instid1(VALU_DEP_2)
	v_xor_b32_e32 v149, 1, v149
	v_and_b32_e32 v9, 0x1fffff, v10
	s_delay_alu instid0(VALU_DEP_1) | instskip(NEXT) | instid1(VALU_DEP_3)
	v_add_nc_u32_e32 v10, v9, v150
                                        ; implicit-def: $vgpr9
	v_cmpx_ne_u32_e64 v68, v149
	s_xor_b32 s13, exec_lo, s13
; %bb.304:                              ;   in Loop: Header=BB4_144 Depth=3
	s_delay_alu instid0(VALU_DEP_2) | instskip(SKIP_2) | instid1(VALU_DEP_2)
	v_cmp_lt_u32_e32 vcc_lo, 0xffffff, v10
	v_sub_nc_u32_e32 v9, v68, v149
	v_cndmask_b32_e64 v68, 0, 1, vcc_lo
	v_add_co_ci_u32_e32 v9, vcc_lo, 0, v9, vcc_lo
	s_delay_alu instid0(VALU_DEP_2)
	v_lshrrev_b32_e32 v10, v68, v10
; %bb.305:                              ;   in Loop: Header=BB4_144 Depth=3
	s_and_not1_saveexec_b32 s13, s13
; %bb.306:                              ;   in Loop: Header=BB4_144 Depth=3
	s_delay_alu instid0(VALU_DEP_1)
	v_bfe_u32 v9, v10, 23, 1
; %bb.307:                              ;   in Loop: Header=BB4_144 Depth=3
	s_or_b32 exec_lo, exec_lo, s13
	v_lshrrev_b32_e32 v10, 21, v10
	s_delay_alu instid0(VALU_DEP_2) | instskip(SKIP_2) | instid1(VALU_DEP_3)
	v_min_i32_e32 v68, 31, v9
	v_cmp_gt_i32_e32 vcc_lo, 32, v9
	v_lshrrev_b32_e32 v8, 24, v8
	v_lshlrev_b32_e32 v68, 2, v68
	v_cndmask_b32_e32 v10, 3, v10, vcc_lo
	s_delay_alu instid0(VALU_DEP_3) | instskip(NEXT) | instid1(VALU_DEP_3)
	v_and_b32_e32 v8, 0x80, v8
	v_and_b32_e32 v68, 0xfc, v68
	s_delay_alu instid0(VALU_DEP_3) | instskip(SKIP_1) | instid1(VALU_DEP_2)
	v_and_b32_e32 v149, 3, v10
	v_or_b32_e32 v9, v9, v10
	v_or3_b32 v8, v68, v8, v149
	s_delay_alu instid0(VALU_DEP_2) | instskip(NEXT) | instid1(VALU_DEP_2)
	v_cmp_ne_u32_e32 vcc_lo, 0, v9
	v_cndmask_b32_e32 v149, 0, v8, vcc_lo
.LBB4_308:                              ;   in Loop: Header=BB4_144 Depth=3
	s_or_b32 exec_lo, exec_lo, s36
.LBB4_309:                              ;   in Loop: Header=BB4_144 Depth=3
	s_delay_alu instid0(SALU_CYCLE_1) | instskip(SKIP_3) | instid1(VALU_DEP_1)
	s_or_b32 exec_lo, exec_lo, s35
	v_lshrrev_b16 v8, 8, v11
	s_mov_b32 s13, 0
	s_mov_b32 s36, exec_lo
                                        ; implicit-def: $sgpr35
	v_cmpx_lt_i16_e32 0x7f, v8
	s_xor_b32 s36, exec_lo, s36
	s_cbranch_execnz .LBB4_971
; %bb.310:                              ;   in Loop: Header=BB4_144 Depth=3
	s_or_saveexec_b32 s36, s36
	v_mov_b32_e32 v9, s35
	s_xor_b32 exec_lo, exec_lo, s36
	s_cbranch_execnz .LBB4_974
.LBB4_311:                              ;   in Loop: Header=BB4_144 Depth=3
	s_or_b32 exec_lo, exec_lo, s36
	s_and_saveexec_b32 s35, s13
	s_cbranch_execz .LBB4_313
.LBB4_312:                              ;   in Loop: Header=BB4_144 Depth=3
	v_and_b32_e32 v9, 0xffff, v8
	v_lshlrev_b32_e32 v8, 24, v8
	s_delay_alu instid0(VALU_DEP_2) | instskip(NEXT) | instid1(VALU_DEP_2)
	v_and_b32_e32 v10, 3, v9
	v_and_b32_e32 v8, 0x80000000, v8
	s_delay_alu instid0(VALU_DEP_2) | instskip(NEXT) | instid1(VALU_DEP_1)
	v_clz_i32_u32_e32 v68, v10
	v_min_u32_e32 v68, 32, v68
	s_delay_alu instid0(VALU_DEP_1) | instskip(SKIP_1) | instid1(VALU_DEP_2)
	v_subrev_nc_u32_e32 v150, 29, v68
	v_sub_nc_u32_e32 v68, 30, v68
	v_lshlrev_b32_e32 v150, v150, v9
	v_bfe_u32 v9, v9, 2, 5
	s_delay_alu instid0(VALU_DEP_2) | instskip(NEXT) | instid1(VALU_DEP_2)
	v_and_b32_e32 v150, 3, v150
	v_cmp_eq_u32_e32 vcc_lo, 0, v9
	s_delay_alu instid0(VALU_DEP_2) | instskip(NEXT) | instid1(VALU_DEP_1)
	v_dual_cndmask_b32 v9, v9, v68 :: v_dual_cndmask_b32 v10, v10, v150
	v_lshl_add_u32 v9, v9, 23, 0x37800000
	s_delay_alu instid0(VALU_DEP_2) | instskip(NEXT) | instid1(VALU_DEP_1)
	v_lshlrev_b32_e32 v10, 21, v10
	v_or3_b32 v9, v8, v9, v10
.LBB4_313:                              ;   in Loop: Header=BB4_144 Depth=3
	s_or_b32 exec_lo, exec_lo, s35
	s_delay_alu instid0(VALU_DEP_1) | instskip(SKIP_2) | instid1(VALU_DEP_2)
	v_mul_f32_e32 v8, s34, v9
	v_mov_b32_e32 v150, 0x8000
	s_mov_b32 s35, exec_lo
	v_and_b32_e32 v9, 0x7f800000, v8
	s_delay_alu instid0(VALU_DEP_1)
	v_cmpx_ne_u32_e32 0x7f800000, v9
	s_cbranch_execz .LBB4_321
; %bb.314:                              ;   in Loop: Header=BB4_144 Depth=3
	v_mov_b32_e32 v150, 0
	s_mov_b32 s36, exec_lo
	v_cmpx_ne_u32_e32 0, v8
	s_cbranch_execz .LBB4_320
; %bb.315:                              ;   in Loop: Header=BB4_144 Depth=3
	v_bfe_u32 v9, v8, 23, 8
	v_and_b32_e32 v10, 0x7fffff, v8
	s_delay_alu instid0(VALU_DEP_2) | instskip(SKIP_1) | instid1(VALU_DEP_3)
	v_sub_nc_u32_e32 v68, 0x70, v9
	v_cmp_gt_u32_e32 vcc_lo, 0x71, v9
	v_or_b32_e32 v150, 0x800000, v10
	s_delay_alu instid0(VALU_DEP_3) | instskip(SKIP_2) | instid1(VALU_DEP_3)
	v_cndmask_b32_e32 v68, 0, v68, vcc_lo
	v_cmp_eq_u32_e32 vcc_lo, 0, v9
	v_add_nc_u32_e32 v9, 0xffffff91, v9
	v_cndmask_b32_e64 v68, v68, 0x6f, vcc_lo
	v_cndmask_b32_e32 v10, v150, v10, vcc_lo
	s_delay_alu instid0(VALU_DEP_3) | instskip(NEXT) | instid1(VALU_DEP_3)
	v_cndmask_b32_e64 v9, v9, 0xffffff92, vcc_lo
	v_lshl_add_u32 v150, 0x200000, v68, -1
	s_delay_alu instid0(VALU_DEP_3) | instskip(SKIP_1) | instid1(VALU_DEP_4)
	v_lshrrev_b32_e32 v151, v68, v10
	v_lshlrev_b32_e64 v161, v68, 0x100000
	v_add_nc_u32_e32 v68, v68, v9
	s_delay_alu instid0(VALU_DEP_4) | instskip(NEXT) | instid1(VALU_DEP_4)
	v_and_b32_e32 v10, v150, v10
	v_bfe_u32 v160, v151, 21, 1
	s_delay_alu instid0(VALU_DEP_2) | instskip(NEXT) | instid1(VALU_DEP_2)
	v_cmp_eq_u32_e64 s13, v10, v161
	v_add_nc_u32_e32 v150, -1, v160
	s_delay_alu instid0(VALU_DEP_1) | instskip(SKIP_2) | instid1(VALU_DEP_2)
	v_cndmask_b32_e64 v10, 0, v150, s13
	v_lshrrev_b32_e32 v150, 23, v151
	s_mov_b32 s13, exec_lo
	v_add_nc_u32_e32 v10, v10, v151
	s_delay_alu instid0(VALU_DEP_2) | instskip(NEXT) | instid1(VALU_DEP_2)
	v_xor_b32_e32 v150, 1, v150
	v_and_b32_e32 v9, 0x1fffff, v10
	s_delay_alu instid0(VALU_DEP_1) | instskip(NEXT) | instid1(VALU_DEP_3)
	v_add_nc_u32_e32 v10, v9, v151
                                        ; implicit-def: $vgpr9
	v_cmpx_ne_u32_e64 v68, v150
	s_xor_b32 s13, exec_lo, s13
; %bb.316:                              ;   in Loop: Header=BB4_144 Depth=3
	s_delay_alu instid0(VALU_DEP_2) | instskip(SKIP_2) | instid1(VALU_DEP_2)
	v_cmp_lt_u32_e32 vcc_lo, 0xffffff, v10
	v_sub_nc_u32_e32 v9, v68, v150
	v_cndmask_b32_e64 v68, 0, 1, vcc_lo
	v_add_co_ci_u32_e32 v9, vcc_lo, 0, v9, vcc_lo
	s_delay_alu instid0(VALU_DEP_2)
	v_lshrrev_b32_e32 v10, v68, v10
; %bb.317:                              ;   in Loop: Header=BB4_144 Depth=3
	s_and_not1_saveexec_b32 s13, s13
; %bb.318:                              ;   in Loop: Header=BB4_144 Depth=3
	s_delay_alu instid0(VALU_DEP_1)
	v_bfe_u32 v9, v10, 23, 1
; %bb.319:                              ;   in Loop: Header=BB4_144 Depth=3
	s_or_b32 exec_lo, exec_lo, s13
	v_lshrrev_b32_e32 v10, 21, v10
	s_delay_alu instid0(VALU_DEP_2) | instskip(SKIP_2) | instid1(VALU_DEP_3)
	v_min_i32_e32 v68, 31, v9
	v_cmp_gt_i32_e32 vcc_lo, 32, v9
	v_lshrrev_b32_e32 v8, 24, v8
	v_lshlrev_b32_e32 v68, 2, v68
	v_cndmask_b32_e32 v10, 3, v10, vcc_lo
	s_delay_alu instid0(VALU_DEP_3) | instskip(NEXT) | instid1(VALU_DEP_3)
	v_and_b32_e32 v8, 0x80, v8
	v_and_b32_e32 v68, 0xfc, v68
	s_delay_alu instid0(VALU_DEP_3) | instskip(SKIP_1) | instid1(VALU_DEP_2)
	v_and_b32_e32 v150, 3, v10
	v_or_b32_e32 v9, v9, v10
	v_or3_b32 v8, v8, v68, v150
	s_delay_alu instid0(VALU_DEP_2) | instskip(NEXT) | instid1(VALU_DEP_2)
	v_cmp_ne_u32_e32 vcc_lo, 0, v9
	v_lshlrev_b32_e32 v8, 8, v8
	s_delay_alu instid0(VALU_DEP_1)
	v_cndmask_b32_e32 v150, 0, v8, vcc_lo
.LBB4_320:                              ;   in Loop: Header=BB4_144 Depth=3
	s_or_b32 exec_lo, exec_lo, s36
.LBB4_321:                              ;   in Loop: Header=BB4_144 Depth=3
	s_delay_alu instid0(SALU_CYCLE_1) | instskip(SKIP_3) | instid1(VALU_DEP_1)
	s_or_b32 exec_lo, exec_lo, s35
	v_lshrrev_b32_e32 v8, 16, v11
	s_mov_b32 s13, 0
	s_mov_b32 s36, exec_lo
                                        ; implicit-def: $sgpr35
	v_and_b32_e32 v10, 0xff, v8
	s_delay_alu instid0(VALU_DEP_1)
	v_cmpx_lt_i16_e32 0x7f, v10
	s_xor_b32 s36, exec_lo, s36
	s_cbranch_execnz .LBB4_975
; %bb.322:                              ;   in Loop: Header=BB4_144 Depth=3
	s_or_saveexec_b32 s36, s36
	v_mov_b32_e32 v9, s35
	s_xor_b32 exec_lo, exec_lo, s36
	s_cbranch_execnz .LBB4_978
.LBB4_323:                              ;   in Loop: Header=BB4_144 Depth=3
	s_or_b32 exec_lo, exec_lo, s36
	s_and_saveexec_b32 s35, s13
	s_cbranch_execz .LBB4_325
.LBB4_324:                              ;   in Loop: Header=BB4_144 Depth=3
	v_bfe_u32 v9, v11, 16, 2
	s_delay_alu instid0(VALU_DEP_1) | instskip(NEXT) | instid1(VALU_DEP_1)
	v_clz_i32_u32_e32 v10, v9
	v_min_u32_e32 v10, 32, v10
	s_delay_alu instid0(VALU_DEP_1) | instskip(SKIP_1) | instid1(VALU_DEP_2)
	v_subrev_nc_u32_e32 v68, 29, v10
	v_sub_nc_u32_e32 v10, 30, v10
	v_lshlrev_b32_e32 v8, v68, v8
	v_bfe_u32 v68, v11, 18, 5
	s_delay_alu instid0(VALU_DEP_2) | instskip(NEXT) | instid1(VALU_DEP_2)
	v_and_b32_e32 v8, 3, v8
	v_cmp_eq_u32_e32 vcc_lo, 0, v68
	v_dual_cndmask_b32 v10, v68, v10 :: v_dual_lshlrev_b32 v151, 8, v11
	s_delay_alu instid0(VALU_DEP_1) | instskip(NEXT) | instid1(VALU_DEP_2)
	v_dual_cndmask_b32 v8, v9, v8 :: v_dual_and_b32 v9, 0x80000000, v151
	v_lshl_add_u32 v10, v10, 23, 0x37800000
	s_delay_alu instid0(VALU_DEP_2) | instskip(NEXT) | instid1(VALU_DEP_1)
	v_lshlrev_b32_e32 v8, 21, v8
	v_or3_b32 v9, v9, v10, v8
.LBB4_325:                              ;   in Loop: Header=BB4_144 Depth=3
	s_or_b32 exec_lo, exec_lo, s35
	s_delay_alu instid0(VALU_DEP_1) | instskip(SKIP_1) | instid1(VALU_DEP_1)
	v_dual_mul_f32 v8, s34, v9 :: v_dual_mov_b32 v151, 0x80
	s_mov_b32 s35, exec_lo
	v_and_b32_e32 v9, 0x7f800000, v8
	s_delay_alu instid0(VALU_DEP_1)
	v_cmpx_ne_u32_e32 0x7f800000, v9
	s_cbranch_execz .LBB4_333
; %bb.326:                              ;   in Loop: Header=BB4_144 Depth=3
	v_mov_b32_e32 v151, 0
	s_mov_b32 s36, exec_lo
	v_cmpx_ne_u32_e32 0, v8
	s_cbranch_execz .LBB4_332
; %bb.327:                              ;   in Loop: Header=BB4_144 Depth=3
	v_bfe_u32 v9, v8, 23, 8
	v_and_b32_e32 v10, 0x7fffff, v8
	s_delay_alu instid0(VALU_DEP_2) | instskip(SKIP_1) | instid1(VALU_DEP_3)
	v_sub_nc_u32_e32 v68, 0x70, v9
	v_cmp_gt_u32_e32 vcc_lo, 0x71, v9
	v_or_b32_e32 v151, 0x800000, v10
	s_delay_alu instid0(VALU_DEP_3) | instskip(SKIP_2) | instid1(VALU_DEP_3)
	v_cndmask_b32_e32 v68, 0, v68, vcc_lo
	v_cmp_eq_u32_e32 vcc_lo, 0, v9
	v_add_nc_u32_e32 v9, 0xffffff91, v9
	v_cndmask_b32_e64 v68, v68, 0x6f, vcc_lo
	v_cndmask_b32_e32 v10, v151, v10, vcc_lo
	s_delay_alu instid0(VALU_DEP_3) | instskip(NEXT) | instid1(VALU_DEP_3)
	v_cndmask_b32_e64 v9, v9, 0xffffff92, vcc_lo
	v_lshl_add_u32 v151, 0x200000, v68, -1
	s_delay_alu instid0(VALU_DEP_3) | instskip(SKIP_1) | instid1(VALU_DEP_4)
	v_lshrrev_b32_e32 v160, v68, v10
	v_lshlrev_b32_e64 v162, v68, 0x100000
	v_add_nc_u32_e32 v68, v68, v9
	s_delay_alu instid0(VALU_DEP_4) | instskip(NEXT) | instid1(VALU_DEP_4)
	v_and_b32_e32 v10, v151, v10
	v_bfe_u32 v161, v160, 21, 1
	s_delay_alu instid0(VALU_DEP_2) | instskip(NEXT) | instid1(VALU_DEP_2)
	v_cmp_eq_u32_e64 s13, v10, v162
	v_add_nc_u32_e32 v151, -1, v161
	s_delay_alu instid0(VALU_DEP_1) | instskip(SKIP_2) | instid1(VALU_DEP_2)
	v_cndmask_b32_e64 v10, 0, v151, s13
	v_lshrrev_b32_e32 v151, 23, v160
	s_mov_b32 s13, exec_lo
	v_add_nc_u32_e32 v10, v10, v160
	s_delay_alu instid0(VALU_DEP_2) | instskip(NEXT) | instid1(VALU_DEP_2)
	v_xor_b32_e32 v151, 1, v151
	v_and_b32_e32 v9, 0x1fffff, v10
	s_delay_alu instid0(VALU_DEP_1) | instskip(NEXT) | instid1(VALU_DEP_3)
	v_add_nc_u32_e32 v10, v9, v160
                                        ; implicit-def: $vgpr9
	v_cmpx_ne_u32_e64 v68, v151
	s_xor_b32 s13, exec_lo, s13
; %bb.328:                              ;   in Loop: Header=BB4_144 Depth=3
	s_delay_alu instid0(VALU_DEP_2) | instskip(SKIP_2) | instid1(VALU_DEP_2)
	v_cmp_lt_u32_e32 vcc_lo, 0xffffff, v10
	v_sub_nc_u32_e32 v9, v68, v151
	v_cndmask_b32_e64 v68, 0, 1, vcc_lo
	v_add_co_ci_u32_e32 v9, vcc_lo, 0, v9, vcc_lo
	s_delay_alu instid0(VALU_DEP_2)
	v_lshrrev_b32_e32 v10, v68, v10
; %bb.329:                              ;   in Loop: Header=BB4_144 Depth=3
	s_and_not1_saveexec_b32 s13, s13
; %bb.330:                              ;   in Loop: Header=BB4_144 Depth=3
	s_delay_alu instid0(VALU_DEP_1)
	v_bfe_u32 v9, v10, 23, 1
; %bb.331:                              ;   in Loop: Header=BB4_144 Depth=3
	s_or_b32 exec_lo, exec_lo, s13
	v_lshrrev_b32_e32 v10, 21, v10
	s_delay_alu instid0(VALU_DEP_2) | instskip(SKIP_2) | instid1(VALU_DEP_3)
	v_min_i32_e32 v68, 31, v9
	v_cmp_gt_i32_e32 vcc_lo, 32, v9
	v_lshrrev_b32_e32 v8, 24, v8
	v_lshlrev_b32_e32 v68, 2, v68
	v_cndmask_b32_e32 v10, 3, v10, vcc_lo
	s_delay_alu instid0(VALU_DEP_3) | instskip(NEXT) | instid1(VALU_DEP_3)
	v_and_b32_e32 v8, 0x80, v8
	v_and_b32_e32 v68, 0xfc, v68
	s_delay_alu instid0(VALU_DEP_3) | instskip(SKIP_1) | instid1(VALU_DEP_2)
	v_and_b32_e32 v151, 3, v10
	v_or_b32_e32 v9, v9, v10
	v_or3_b32 v8, v68, v8, v151
	s_delay_alu instid0(VALU_DEP_2) | instskip(NEXT) | instid1(VALU_DEP_2)
	v_cmp_ne_u32_e32 vcc_lo, 0, v9
	v_cndmask_b32_e32 v151, 0, v8, vcc_lo
.LBB4_332:                              ;   in Loop: Header=BB4_144 Depth=3
	s_or_b32 exec_lo, exec_lo, s36
.LBB4_333:                              ;   in Loop: Header=BB4_144 Depth=3
	s_delay_alu instid0(SALU_CYCLE_1) | instskip(SKIP_3) | instid1(VALU_DEP_1)
	s_or_b32 exec_lo, exec_lo, s35
	v_lshrrev_b32_e32 v8, 24, v11
	s_mov_b32 s13, 0
	s_mov_b32 s36, exec_lo
                                        ; implicit-def: $sgpr35
	v_cmpx_lt_i16_e32 0x7f, v8
	s_xor_b32 s36, exec_lo, s36
	s_cbranch_execnz .LBB4_979
; %bb.334:                              ;   in Loop: Header=BB4_144 Depth=3
	s_or_saveexec_b32 s36, s36
	v_mov_b32_e32 v9, s35
	s_xor_b32 exec_lo, exec_lo, s36
	s_cbranch_execnz .LBB4_982
.LBB4_335:                              ;   in Loop: Header=BB4_144 Depth=3
	s_or_b32 exec_lo, exec_lo, s36
	s_and_saveexec_b32 s35, s13
	s_cbranch_execz .LBB4_337
.LBB4_336:                              ;   in Loop: Header=BB4_144 Depth=3
	v_bfe_u32 v9, v11, 24, 2
	s_delay_alu instid0(VALU_DEP_1) | instskip(NEXT) | instid1(VALU_DEP_1)
	v_clz_i32_u32_e32 v10, v9
	v_min_u32_e32 v10, 32, v10
	s_delay_alu instid0(VALU_DEP_1) | instskip(SKIP_1) | instid1(VALU_DEP_2)
	v_subrev_nc_u32_e32 v68, 29, v10
	v_sub_nc_u32_e32 v10, 30, v10
	v_lshlrev_b32_e32 v8, v68, v8
	v_bfe_u32 v68, v11, 26, 5
	s_delay_alu instid0(VALU_DEP_2) | instskip(NEXT) | instid1(VALU_DEP_2)
	v_and_b32_e32 v8, 3, v8
	v_cmp_eq_u32_e32 vcc_lo, 0, v68
	v_cndmask_b32_e32 v10, v68, v10, vcc_lo
	s_delay_alu instid0(VALU_DEP_3) | instskip(NEXT) | instid1(VALU_DEP_2)
	v_dual_cndmask_b32 v8, v9, v8 :: v_dual_and_b32 v9, 0x80000000, v11
	v_lshl_add_u32 v10, v10, 23, 0x37800000
	s_delay_alu instid0(VALU_DEP_2) | instskip(NEXT) | instid1(VALU_DEP_1)
	v_lshlrev_b32_e32 v8, 21, v8
	v_or3_b32 v9, v9, v10, v8
.LBB4_337:                              ;   in Loop: Header=BB4_144 Depth=3
	s_or_b32 exec_lo, exec_lo, s35
	s_delay_alu instid0(VALU_DEP_1) | instskip(SKIP_2) | instid1(VALU_DEP_2)
	v_mul_f32_e32 v8, s34, v9
	v_mov_b32_e32 v160, 0x8000
	s_mov_b32 s35, exec_lo
	v_and_b32_e32 v9, 0x7f800000, v8
	s_delay_alu instid0(VALU_DEP_1)
	v_cmpx_ne_u32_e32 0x7f800000, v9
	s_cbranch_execz .LBB4_345
; %bb.338:                              ;   in Loop: Header=BB4_144 Depth=3
	v_mov_b32_e32 v160, 0
	s_mov_b32 s36, exec_lo
	v_cmpx_ne_u32_e32 0, v8
	s_cbranch_execz .LBB4_344
; %bb.339:                              ;   in Loop: Header=BB4_144 Depth=3
	v_bfe_u32 v9, v8, 23, 8
	s_delay_alu instid0(VALU_DEP_1) | instskip(SKIP_1) | instid1(VALU_DEP_2)
	v_sub_nc_u32_e32 v11, 0x70, v9
	v_cmp_gt_u32_e32 vcc_lo, 0x71, v9
	v_dual_cndmask_b32 v11, 0, v11 :: v_dual_and_b32 v10, 0x7fffff, v8
	s_delay_alu instid0(VALU_DEP_1) | instskip(SKIP_2) | instid1(VALU_DEP_4)
	v_or_b32_e32 v68, 0x800000, v10
	v_cmp_eq_u32_e32 vcc_lo, 0, v9
	v_add_nc_u32_e32 v9, 0xffffff91, v9
	v_cndmask_b32_e64 v11, v11, 0x6f, vcc_lo
	s_delay_alu instid0(VALU_DEP_4) | instskip(NEXT) | instid1(VALU_DEP_3)
	v_cndmask_b32_e32 v10, v68, v10, vcc_lo
	v_cndmask_b32_e64 v9, v9, 0xffffff92, vcc_lo
	s_delay_alu instid0(VALU_DEP_3) | instskip(NEXT) | instid1(VALU_DEP_3)
	v_lshl_add_u32 v68, 0x200000, v11, -1
	v_lshrrev_b32_e32 v160, v11, v10
	v_lshlrev_b32_e64 v162, v11, 0x100000
	s_delay_alu instid0(VALU_DEP_4) | instskip(NEXT) | instid1(VALU_DEP_4)
	v_add_nc_u32_e32 v11, v11, v9
	v_and_b32_e32 v10, v68, v10
	s_delay_alu instid0(VALU_DEP_4) | instskip(NEXT) | instid1(VALU_DEP_2)
	v_bfe_u32 v161, v160, 21, 1
	v_cmp_eq_u32_e64 s13, v10, v162
	s_delay_alu instid0(VALU_DEP_2) | instskip(NEXT) | instid1(VALU_DEP_1)
	v_add_nc_u32_e32 v68, -1, v161
	v_cndmask_b32_e64 v10, 0, v68, s13
	v_lshrrev_b32_e32 v68, 23, v160
	s_mov_b32 s13, exec_lo
	s_delay_alu instid0(VALU_DEP_2) | instskip(NEXT) | instid1(VALU_DEP_2)
	v_add_nc_u32_e32 v10, v10, v160
	v_xor_b32_e32 v68, 1, v68
	s_delay_alu instid0(VALU_DEP_2) | instskip(NEXT) | instid1(VALU_DEP_1)
	v_and_b32_e32 v9, 0x1fffff, v10
	v_add_nc_u32_e32 v10, v9, v160
                                        ; implicit-def: $vgpr9
	s_delay_alu instid0(VALU_DEP_3)
	v_cmpx_ne_u32_e64 v11, v68
	s_xor_b32 s13, exec_lo, s13
; %bb.340:                              ;   in Loop: Header=BB4_144 Depth=3
	s_delay_alu instid0(VALU_DEP_2) | instskip(SKIP_2) | instid1(VALU_DEP_2)
	v_cmp_lt_u32_e32 vcc_lo, 0xffffff, v10
	v_sub_nc_u32_e32 v9, v11, v68
	v_cndmask_b32_e64 v11, 0, 1, vcc_lo
	v_add_co_ci_u32_e32 v9, vcc_lo, 0, v9, vcc_lo
	s_delay_alu instid0(VALU_DEP_2)
	v_lshrrev_b32_e32 v10, v11, v10
; %bb.341:                              ;   in Loop: Header=BB4_144 Depth=3
	s_and_not1_saveexec_b32 s13, s13
; %bb.342:                              ;   in Loop: Header=BB4_144 Depth=3
	s_delay_alu instid0(VALU_DEP_1)
	v_bfe_u32 v9, v10, 23, 1
; %bb.343:                              ;   in Loop: Header=BB4_144 Depth=3
	s_or_b32 exec_lo, exec_lo, s13
	v_lshrrev_b32_e32 v10, 21, v10
	s_delay_alu instid0(VALU_DEP_2) | instskip(SKIP_2) | instid1(VALU_DEP_2)
	v_cmp_gt_i32_e32 vcc_lo, 32, v9
	v_min_i32_e32 v11, 31, v9
	v_lshrrev_b32_e32 v8, 24, v8
	v_dual_cndmask_b32 v10, 3, v10 :: v_dual_lshlrev_b32 v11, 2, v11
	s_delay_alu instid0(VALU_DEP_2) | instskip(NEXT) | instid1(VALU_DEP_2)
	v_and_b32_e32 v8, 0x80, v8
	v_or_b32_e32 v9, v9, v10
	v_and_b32_e32 v68, 3, v10
	s_delay_alu instid0(VALU_DEP_2) | instskip(SKIP_1) | instid1(VALU_DEP_1)
	v_cmp_ne_u32_e32 vcc_lo, 0, v9
	v_and_b32_e32 v11, 0xfc, v11
	v_or3_b32 v8, v8, v11, v68
	s_delay_alu instid0(VALU_DEP_1) | instskip(NEXT) | instid1(VALU_DEP_1)
	v_lshlrev_b32_e32 v8, 8, v8
	v_cndmask_b32_e32 v160, 0, v8, vcc_lo
.LBB4_344:                              ;   in Loop: Header=BB4_144 Depth=3
	s_or_b32 exec_lo, exec_lo, s36
.LBB4_345:                              ;   in Loop: Header=BB4_144 Depth=3
	s_delay_alu instid0(SALU_CYCLE_1)
	s_or_b32 exec_lo, exec_lo, s35
	global_load_b128 v[8:11], v[64:65], off offset:512 slc dlc
	s_mov_b32 s13, 0
	s_mov_b32 s36, exec_lo
                                        ; implicit-def: $sgpr35
	s_waitcnt vmcnt(0)
	v_and_b32_e32 v161, 0xff, v8
	s_delay_alu instid0(VALU_DEP_1)
	v_cmpx_lt_i16_e64 0x7f, v161
	s_xor_b32 s36, exec_lo, s36
	s_cbranch_execnz .LBB4_983
; %bb.346:                              ;   in Loop: Header=BB4_144 Depth=3
	s_or_saveexec_b32 s36, s36
	v_mov_b32_e32 v68, s35
	s_xor_b32 exec_lo, exec_lo, s36
	s_cbranch_execnz .LBB4_986
.LBB4_347:                              ;   in Loop: Header=BB4_144 Depth=3
	s_or_b32 exec_lo, exec_lo, s36
	s_and_saveexec_b32 s35, s13
	s_cbranch_execz .LBB4_349
.LBB4_348:                              ;   in Loop: Header=BB4_144 Depth=3
	v_bfe_u32 v163, v8, 2, 5
	v_lshlrev_b32_e32 v164, 24, v8
	s_delay_alu instid0(VALU_DEP_2) | instskip(SKIP_1) | instid1(VALU_DEP_1)
	v_cmp_eq_u32_e32 vcc_lo, 0, v163
	v_and_b32_e32 v68, 3, v8
	v_clz_i32_u32_e32 v161, v68
	s_delay_alu instid0(VALU_DEP_1) | instskip(NEXT) | instid1(VALU_DEP_1)
	v_min_u32_e32 v161, 32, v161
	v_subrev_nc_u32_e32 v162, 29, v161
	v_sub_nc_u32_e32 v161, 30, v161
	s_delay_alu instid0(VALU_DEP_1) | instskip(NEXT) | instid1(VALU_DEP_1)
	v_dual_cndmask_b32 v161, v163, v161 :: v_dual_lshlrev_b32 v162, v162, v8
	v_and_b32_e32 v162, 3, v162
	s_delay_alu instid0(VALU_DEP_2) | instskip(NEXT) | instid1(VALU_DEP_2)
	v_lshl_add_u32 v161, v161, 23, 0x37800000
	v_cndmask_b32_e32 v68, v68, v162, vcc_lo
	v_and_b32_e32 v162, 0x80000000, v164
	s_delay_alu instid0(VALU_DEP_2) | instskip(NEXT) | instid1(VALU_DEP_1)
	v_lshlrev_b32_e32 v68, 21, v68
	v_or3_b32 v68, v162, v161, v68
.LBB4_349:                              ;   in Loop: Header=BB4_144 Depth=3
	s_or_b32 exec_lo, exec_lo, s35
	s_delay_alu instid0(VALU_DEP_1) | instskip(NEXT) | instid1(VALU_DEP_1)
	v_mul_f32_e32 v68, s34, v68
	v_and_b32_e32 v161, 0x7f800000, v68
	s_delay_alu instid0(VALU_DEP_1)
	v_cmp_ne_u32_e32 vcc_lo, 0x7f800000, v161
	v_mov_b32_e32 v161, 0x80
	s_and_saveexec_b32 s35, vcc_lo
	s_cbranch_execz .LBB4_357
; %bb.350:                              ;   in Loop: Header=BB4_144 Depth=3
	v_mov_b32_e32 v161, 0
	s_mov_b32 s36, exec_lo
	v_cmpx_ne_u32_e32 0, v68
	s_cbranch_execz .LBB4_356
; %bb.351:                              ;   in Loop: Header=BB4_144 Depth=3
	v_bfe_u32 v161, v68, 23, 8
	s_delay_alu instid0(VALU_DEP_1) | instskip(SKIP_1) | instid1(VALU_DEP_2)
	v_sub_nc_u32_e32 v163, 0x70, v161
	v_cmp_gt_u32_e32 vcc_lo, 0x71, v161
	v_dual_cndmask_b32 v163, 0, v163 :: v_dual_and_b32 v162, 0x7fffff, v68
	s_delay_alu instid0(VALU_DEP_1) | instskip(SKIP_2) | instid1(VALU_DEP_4)
	v_or_b32_e32 v164, 0x800000, v162
	v_cmp_eq_u32_e32 vcc_lo, 0, v161
	v_add_nc_u32_e32 v161, 0xffffff91, v161
	v_cndmask_b32_e64 v163, v163, 0x6f, vcc_lo
	s_delay_alu instid0(VALU_DEP_4) | instskip(NEXT) | instid1(VALU_DEP_3)
	v_cndmask_b32_e32 v162, v164, v162, vcc_lo
	v_cndmask_b32_e64 v161, v161, 0xffffff92, vcc_lo
	s_delay_alu instid0(VALU_DEP_3) | instskip(NEXT) | instid1(VALU_DEP_3)
	v_lshl_add_u32 v164, 0x200000, v163, -1
	v_lshrrev_b32_e32 v165, v163, v162
	v_lshlrev_b32_e64 v167, v163, 0x100000
	s_delay_alu instid0(VALU_DEP_4) | instskip(NEXT) | instid1(VALU_DEP_4)
	v_add_nc_u32_e32 v163, v163, v161
	v_and_b32_e32 v162, v164, v162
	s_delay_alu instid0(VALU_DEP_4) | instskip(NEXT) | instid1(VALU_DEP_2)
	v_bfe_u32 v166, v165, 21, 1
	v_cmp_eq_u32_e64 s13, v162, v167
	s_delay_alu instid0(VALU_DEP_2) | instskip(NEXT) | instid1(VALU_DEP_1)
	v_add_nc_u32_e32 v164, -1, v166
	v_cndmask_b32_e64 v162, 0, v164, s13
	v_lshrrev_b32_e32 v164, 23, v165
	s_mov_b32 s13, exec_lo
	s_delay_alu instid0(VALU_DEP_2) | instskip(NEXT) | instid1(VALU_DEP_2)
	v_add_nc_u32_e32 v162, v162, v165
	v_xor_b32_e32 v164, 1, v164
	s_delay_alu instid0(VALU_DEP_2) | instskip(NEXT) | instid1(VALU_DEP_1)
	v_and_b32_e32 v161, 0x1fffff, v162
	v_add_nc_u32_e32 v162, v161, v165
                                        ; implicit-def: $vgpr161
	s_delay_alu instid0(VALU_DEP_3)
	v_cmpx_ne_u32_e64 v163, v164
	s_xor_b32 s13, exec_lo, s13
; %bb.352:                              ;   in Loop: Header=BB4_144 Depth=3
	s_delay_alu instid0(VALU_DEP_2) | instskip(SKIP_2) | instid1(VALU_DEP_2)
	v_cmp_lt_u32_e32 vcc_lo, 0xffffff, v162
	v_sub_nc_u32_e32 v161, v163, v164
	v_cndmask_b32_e64 v163, 0, 1, vcc_lo
	v_add_co_ci_u32_e32 v161, vcc_lo, 0, v161, vcc_lo
	s_delay_alu instid0(VALU_DEP_2)
	v_lshrrev_b32_e32 v162, v163, v162
; %bb.353:                              ;   in Loop: Header=BB4_144 Depth=3
	s_and_not1_saveexec_b32 s13, s13
; %bb.354:                              ;   in Loop: Header=BB4_144 Depth=3
	s_delay_alu instid0(VALU_DEP_1)
	v_bfe_u32 v161, v162, 23, 1
; %bb.355:                              ;   in Loop: Header=BB4_144 Depth=3
	s_or_b32 exec_lo, exec_lo, s13
	v_lshrrev_b32_e32 v162, 21, v162
	s_delay_alu instid0(VALU_DEP_2) | instskip(SKIP_2) | instid1(VALU_DEP_2)
	v_cmp_gt_i32_e32 vcc_lo, 32, v161
	v_min_i32_e32 v163, 31, v161
	v_lshrrev_b32_e32 v68, 24, v68
	v_dual_cndmask_b32 v162, 3, v162 :: v_dual_lshlrev_b32 v163, 2, v163
	s_delay_alu instid0(VALU_DEP_2) | instskip(NEXT) | instid1(VALU_DEP_2)
	v_and_b32_e32 v68, 0x80, v68
	v_or_b32_e32 v161, v161, v162
	s_delay_alu instid0(VALU_DEP_1) | instskip(SKIP_1) | instid1(VALU_DEP_1)
	v_cmp_ne_u32_e32 vcc_lo, 0, v161
	v_and_b32_e32 v164, 3, v162
	v_or3_b32 v68, v163, v68, v164
	s_delay_alu instid0(VALU_DEP_1)
	v_cndmask_b32_e32 v161, 0, v68, vcc_lo
.LBB4_356:                              ;   in Loop: Header=BB4_144 Depth=3
	s_or_b32 exec_lo, exec_lo, s36
.LBB4_357:                              ;   in Loop: Header=BB4_144 Depth=3
	s_delay_alu instid0(SALU_CYCLE_1) | instskip(SKIP_3) | instid1(VALU_DEP_1)
	s_or_b32 exec_lo, exec_lo, s35
	v_lshrrev_b16 v68, 8, v8
	s_mov_b32 s13, 0
	s_mov_b32 s36, exec_lo
                                        ; implicit-def: $sgpr35
	v_cmpx_lt_i16_e32 0x7f, v68
	s_xor_b32 s36, exec_lo, s36
	s_cbranch_execnz .LBB4_987
; %bb.358:                              ;   in Loop: Header=BB4_144 Depth=3
	s_or_saveexec_b32 s36, s36
	v_mov_b32_e32 v162, s35
	s_xor_b32 exec_lo, exec_lo, s36
	s_cbranch_execnz .LBB4_990
.LBB4_359:                              ;   in Loop: Header=BB4_144 Depth=3
	s_or_b32 exec_lo, exec_lo, s36
	s_and_saveexec_b32 s35, s13
	s_cbranch_execz .LBB4_361
.LBB4_360:                              ;   in Loop: Header=BB4_144 Depth=3
	v_and_b32_e32 v162, 0xffff, v68
	v_lshlrev_b32_e32 v68, 24, v68
	s_delay_alu instid0(VALU_DEP_2) | instskip(NEXT) | instid1(VALU_DEP_2)
	v_and_b32_e32 v163, 3, v162
	v_and_b32_e32 v68, 0x80000000, v68
	s_delay_alu instid0(VALU_DEP_2) | instskip(NEXT) | instid1(VALU_DEP_1)
	v_clz_i32_u32_e32 v164, v163
	v_min_u32_e32 v164, 32, v164
	s_delay_alu instid0(VALU_DEP_1) | instskip(SKIP_1) | instid1(VALU_DEP_2)
	v_subrev_nc_u32_e32 v165, 29, v164
	v_sub_nc_u32_e32 v164, 30, v164
	v_lshlrev_b32_e32 v165, v165, v162
	v_bfe_u32 v162, v162, 2, 5
	s_delay_alu instid0(VALU_DEP_2) | instskip(NEXT) | instid1(VALU_DEP_2)
	v_and_b32_e32 v165, 3, v165
	v_cmp_eq_u32_e32 vcc_lo, 0, v162
	s_delay_alu instid0(VALU_DEP_2) | instskip(NEXT) | instid1(VALU_DEP_1)
	v_dual_cndmask_b32 v162, v162, v164 :: v_dual_cndmask_b32 v163, v163, v165
	v_lshl_add_u32 v162, v162, 23, 0x37800000
	s_delay_alu instid0(VALU_DEP_2) | instskip(NEXT) | instid1(VALU_DEP_1)
	v_lshlrev_b32_e32 v163, 21, v163
	v_or3_b32 v162, v68, v162, v163
.LBB4_361:                              ;   in Loop: Header=BB4_144 Depth=3
	s_or_b32 exec_lo, exec_lo, s35
	s_delay_alu instid0(VALU_DEP_1) | instskip(NEXT) | instid1(VALU_DEP_1)
	v_mul_f32_e32 v68, s34, v162
	v_and_b32_e32 v162, 0x7f800000, v68
	s_delay_alu instid0(VALU_DEP_1)
	v_cmp_ne_u32_e32 vcc_lo, 0x7f800000, v162
	v_mov_b32_e32 v162, 0x80
	s_and_saveexec_b32 s35, vcc_lo
	s_cbranch_execz .LBB4_369
; %bb.362:                              ;   in Loop: Header=BB4_144 Depth=3
	v_mov_b32_e32 v162, 0
	s_mov_b32 s36, exec_lo
	v_cmpx_ne_u32_e32 0, v68
	s_cbranch_execz .LBB4_368
; %bb.363:                              ;   in Loop: Header=BB4_144 Depth=3
	v_bfe_u32 v162, v68, 23, 8
	v_and_b32_e32 v163, 0x7fffff, v68
	s_delay_alu instid0(VALU_DEP_2) | instskip(SKIP_1) | instid1(VALU_DEP_3)
	v_sub_nc_u32_e32 v164, 0x70, v162
	v_cmp_gt_u32_e32 vcc_lo, 0x71, v162
	v_or_b32_e32 v165, 0x800000, v163
	s_delay_alu instid0(VALU_DEP_3) | instskip(SKIP_1) | instid1(VALU_DEP_3)
	v_cndmask_b32_e32 v164, 0, v164, vcc_lo
	v_cmp_eq_u32_e32 vcc_lo, 0, v162
	v_dual_cndmask_b32 v163, v165, v163 :: v_dual_add_nc_u32 v162, 0xffffff91, v162
	s_delay_alu instid0(VALU_DEP_3) | instskip(NEXT) | instid1(VALU_DEP_2)
	v_cndmask_b32_e64 v164, v164, 0x6f, vcc_lo
	v_cndmask_b32_e64 v162, v162, 0xffffff92, vcc_lo
	s_delay_alu instid0(VALU_DEP_2) | instskip(SKIP_2) | instid1(VALU_DEP_4)
	v_lshrrev_b32_e32 v166, v164, v163
	v_lshl_add_u32 v165, 0x200000, v164, -1
	v_lshlrev_b32_e64 v176, v164, 0x100000
	v_add_nc_u32_e32 v164, v164, v162
	s_delay_alu instid0(VALU_DEP_4) | instskip(NEXT) | instid1(VALU_DEP_4)
	v_bfe_u32 v167, v166, 21, 1
	v_and_b32_e32 v163, v165, v163
	s_delay_alu instid0(VALU_DEP_2) | instskip(NEXT) | instid1(VALU_DEP_2)
	v_add_nc_u32_e32 v165, -1, v167
	v_cmp_eq_u32_e64 s13, v163, v176
	s_delay_alu instid0(VALU_DEP_1) | instskip(SKIP_2) | instid1(VALU_DEP_2)
	v_cndmask_b32_e64 v163, 0, v165, s13
	v_lshrrev_b32_e32 v165, 23, v166
	s_mov_b32 s13, exec_lo
	v_add_nc_u32_e32 v163, v163, v166
	s_delay_alu instid0(VALU_DEP_2) | instskip(NEXT) | instid1(VALU_DEP_2)
	v_xor_b32_e32 v165, 1, v165
	v_and_b32_e32 v162, 0x1fffff, v163
	s_delay_alu instid0(VALU_DEP_1) | instskip(NEXT) | instid1(VALU_DEP_3)
	v_add_nc_u32_e32 v163, v162, v166
                                        ; implicit-def: $vgpr162
	v_cmpx_ne_u32_e64 v164, v165
	s_xor_b32 s13, exec_lo, s13
; %bb.364:                              ;   in Loop: Header=BB4_144 Depth=3
	s_delay_alu instid0(VALU_DEP_2) | instskip(SKIP_2) | instid1(VALU_DEP_2)
	v_cmp_lt_u32_e32 vcc_lo, 0xffffff, v163
	v_sub_nc_u32_e32 v162, v164, v165
	v_cndmask_b32_e64 v164, 0, 1, vcc_lo
	v_add_co_ci_u32_e32 v162, vcc_lo, 0, v162, vcc_lo
	s_delay_alu instid0(VALU_DEP_2)
	v_lshrrev_b32_e32 v163, v164, v163
; %bb.365:                              ;   in Loop: Header=BB4_144 Depth=3
	s_and_not1_saveexec_b32 s13, s13
; %bb.366:                              ;   in Loop: Header=BB4_144 Depth=3
	s_delay_alu instid0(VALU_DEP_1)
	v_bfe_u32 v162, v163, 23, 1
; %bb.367:                              ;   in Loop: Header=BB4_144 Depth=3
	s_or_b32 exec_lo, exec_lo, s13
	v_lshrrev_b32_e32 v163, 21, v163
	s_delay_alu instid0(VALU_DEP_2) | instskip(SKIP_2) | instid1(VALU_DEP_2)
	v_cmp_gt_i32_e32 vcc_lo, 32, v162
	v_lshrrev_b32_e32 v68, 24, v68
	v_min_i32_e32 v164, 31, v162
	v_dual_cndmask_b32 v163, 3, v163 :: v_dual_and_b32 v68, 0x80, v68
	s_delay_alu instid0(VALU_DEP_2) | instskip(NEXT) | instid1(VALU_DEP_2)
	v_lshlrev_b32_e32 v164, 2, v164
	v_or_b32_e32 v162, v162, v163
	s_delay_alu instid0(VALU_DEP_1) | instskip(SKIP_1) | instid1(VALU_DEP_1)
	v_cmp_ne_u32_e32 vcc_lo, 0, v162
	v_and_b32_e32 v165, 3, v163
	v_or3_b32 v68, v164, v68, v165
	s_delay_alu instid0(VALU_DEP_1)
	v_cndmask_b32_e32 v162, 0, v68, vcc_lo
.LBB4_368:                              ;   in Loop: Header=BB4_144 Depth=3
	s_or_b32 exec_lo, exec_lo, s36
.LBB4_369:                              ;   in Loop: Header=BB4_144 Depth=3
	s_delay_alu instid0(SALU_CYCLE_1) | instskip(SKIP_3) | instid1(VALU_DEP_1)
	s_or_b32 exec_lo, exec_lo, s35
	v_lshrrev_b32_e32 v68, 16, v8
	s_mov_b32 s13, 0
	s_mov_b32 s36, exec_lo
                                        ; implicit-def: $sgpr35
	v_and_b32_e32 v164, 0xff, v68
	s_delay_alu instid0(VALU_DEP_1)
	v_cmpx_lt_i16_e64 0x7f, v164
	s_xor_b32 s36, exec_lo, s36
	s_cbranch_execnz .LBB4_991
; %bb.370:                              ;   in Loop: Header=BB4_144 Depth=3
	s_or_saveexec_b32 s36, s36
	v_mov_b32_e32 v163, s35
	s_xor_b32 exec_lo, exec_lo, s36
	s_cbranch_execnz .LBB4_994
.LBB4_371:                              ;   in Loop: Header=BB4_144 Depth=3
	s_or_b32 exec_lo, exec_lo, s36
	s_and_saveexec_b32 s35, s13
	s_cbranch_execz .LBB4_373
.LBB4_372:                              ;   in Loop: Header=BB4_144 Depth=3
	v_bfe_u32 v163, v8, 16, 2
	v_lshlrev_b32_e32 v166, 8, v8
	s_delay_alu instid0(VALU_DEP_2) | instskip(NEXT) | instid1(VALU_DEP_1)
	v_clz_i32_u32_e32 v164, v163
	v_min_u32_e32 v164, 32, v164
	s_delay_alu instid0(VALU_DEP_1) | instskip(SKIP_1) | instid1(VALU_DEP_2)
	v_subrev_nc_u32_e32 v165, 29, v164
	v_sub_nc_u32_e32 v164, 30, v164
	v_lshlrev_b32_e32 v68, v165, v68
	v_bfe_u32 v165, v8, 18, 5
	s_delay_alu instid0(VALU_DEP_2) | instskip(NEXT) | instid1(VALU_DEP_2)
	v_and_b32_e32 v68, 3, v68
	v_cmp_eq_u32_e32 vcc_lo, 0, v165
	v_cndmask_b32_e32 v164, v165, v164, vcc_lo
	s_delay_alu instid0(VALU_DEP_3) | instskip(NEXT) | instid1(VALU_DEP_2)
	v_dual_cndmask_b32 v68, v163, v68 :: v_dual_and_b32 v163, 0x80000000, v166
	v_lshl_add_u32 v164, v164, 23, 0x37800000
	s_delay_alu instid0(VALU_DEP_2) | instskip(NEXT) | instid1(VALU_DEP_1)
	v_lshlrev_b32_e32 v68, 21, v68
	v_or3_b32 v163, v163, v164, v68
.LBB4_373:                              ;   in Loop: Header=BB4_144 Depth=3
	s_or_b32 exec_lo, exec_lo, s35
	s_delay_alu instid0(VALU_DEP_1) | instskip(NEXT) | instid1(VALU_DEP_1)
	v_mul_f32_e32 v68, s34, v163
	v_and_b32_e32 v163, 0x7f800000, v68
	s_delay_alu instid0(VALU_DEP_1)
	v_cmp_ne_u32_e32 vcc_lo, 0x7f800000, v163
	v_mov_b32_e32 v163, 0x80
	s_and_saveexec_b32 s35, vcc_lo
	s_cbranch_execz .LBB4_381
; %bb.374:                              ;   in Loop: Header=BB4_144 Depth=3
	v_mov_b32_e32 v163, 0
	s_mov_b32 s36, exec_lo
	v_cmpx_ne_u32_e32 0, v68
	s_cbranch_execz .LBB4_380
; %bb.375:                              ;   in Loop: Header=BB4_144 Depth=3
	v_bfe_u32 v163, v68, 23, 8
	s_delay_alu instid0(VALU_DEP_1) | instskip(SKIP_1) | instid1(VALU_DEP_2)
	v_sub_nc_u32_e32 v165, 0x70, v163
	v_cmp_gt_u32_e32 vcc_lo, 0x71, v163
	v_dual_cndmask_b32 v165, 0, v165 :: v_dual_and_b32 v164, 0x7fffff, v68
	s_delay_alu instid0(VALU_DEP_1) | instskip(SKIP_2) | instid1(VALU_DEP_4)
	v_or_b32_e32 v166, 0x800000, v164
	v_cmp_eq_u32_e32 vcc_lo, 0, v163
	v_add_nc_u32_e32 v163, 0xffffff91, v163
	v_cndmask_b32_e64 v165, v165, 0x6f, vcc_lo
	s_delay_alu instid0(VALU_DEP_4) | instskip(NEXT) | instid1(VALU_DEP_3)
	v_cndmask_b32_e32 v164, v166, v164, vcc_lo
	v_cndmask_b32_e64 v163, v163, 0xffffff92, vcc_lo
	s_delay_alu instid0(VALU_DEP_3) | instskip(NEXT) | instid1(VALU_DEP_3)
	v_lshl_add_u32 v166, 0x200000, v165, -1
	v_lshrrev_b32_e32 v167, v165, v164
	v_lshlrev_b32_e64 v177, v165, 0x100000
	s_delay_alu instid0(VALU_DEP_4) | instskip(NEXT) | instid1(VALU_DEP_4)
	v_add_nc_u32_e32 v165, v165, v163
	v_and_b32_e32 v164, v166, v164
	s_delay_alu instid0(VALU_DEP_4) | instskip(NEXT) | instid1(VALU_DEP_2)
	v_bfe_u32 v176, v167, 21, 1
	v_cmp_eq_u32_e64 s13, v164, v177
	s_delay_alu instid0(VALU_DEP_2) | instskip(NEXT) | instid1(VALU_DEP_1)
	v_add_nc_u32_e32 v166, -1, v176
	v_cndmask_b32_e64 v164, 0, v166, s13
	v_lshrrev_b32_e32 v166, 23, v167
	s_mov_b32 s13, exec_lo
	s_delay_alu instid0(VALU_DEP_2) | instskip(NEXT) | instid1(VALU_DEP_2)
	v_add_nc_u32_e32 v164, v164, v167
	v_xor_b32_e32 v166, 1, v166
	s_delay_alu instid0(VALU_DEP_2) | instskip(NEXT) | instid1(VALU_DEP_1)
	v_and_b32_e32 v163, 0x1fffff, v164
	v_add_nc_u32_e32 v164, v163, v167
                                        ; implicit-def: $vgpr163
	s_delay_alu instid0(VALU_DEP_3)
	v_cmpx_ne_u32_e64 v165, v166
	s_xor_b32 s13, exec_lo, s13
; %bb.376:                              ;   in Loop: Header=BB4_144 Depth=3
	s_delay_alu instid0(VALU_DEP_2) | instskip(SKIP_2) | instid1(VALU_DEP_2)
	v_cmp_lt_u32_e32 vcc_lo, 0xffffff, v164
	v_sub_nc_u32_e32 v163, v165, v166
	v_cndmask_b32_e64 v165, 0, 1, vcc_lo
	v_add_co_ci_u32_e32 v163, vcc_lo, 0, v163, vcc_lo
	s_delay_alu instid0(VALU_DEP_2)
	v_lshrrev_b32_e32 v164, v165, v164
; %bb.377:                              ;   in Loop: Header=BB4_144 Depth=3
	s_and_not1_saveexec_b32 s13, s13
; %bb.378:                              ;   in Loop: Header=BB4_144 Depth=3
	s_delay_alu instid0(VALU_DEP_1)
	v_bfe_u32 v163, v164, 23, 1
; %bb.379:                              ;   in Loop: Header=BB4_144 Depth=3
	s_or_b32 exec_lo, exec_lo, s13
	v_lshrrev_b32_e32 v164, 21, v164
	s_delay_alu instid0(VALU_DEP_2) | instskip(SKIP_2) | instid1(VALU_DEP_4)
	v_cmp_gt_i32_e32 vcc_lo, 32, v163
	v_lshrrev_b32_e32 v68, 24, v68
	v_min_i32_e32 v165, 31, v163
	v_cndmask_b32_e32 v164, 3, v164, vcc_lo
	s_delay_alu instid0(VALU_DEP_3) | instskip(NEXT) | instid1(VALU_DEP_3)
	v_and_b32_e32 v68, 0x80, v68
	v_lshlrev_b32_e32 v165, 2, v165
	s_delay_alu instid0(VALU_DEP_3) | instskip(SKIP_1) | instid1(VALU_DEP_2)
	v_and_b32_e32 v166, 3, v164
	v_or_b32_e32 v163, v163, v164
	v_or3_b32 v68, v165, v68, v166
	s_delay_alu instid0(VALU_DEP_2) | instskip(NEXT) | instid1(VALU_DEP_2)
	v_cmp_ne_u32_e32 vcc_lo, 0, v163
	v_cndmask_b32_e32 v163, 0, v68, vcc_lo
.LBB4_380:                              ;   in Loop: Header=BB4_144 Depth=3
	s_or_b32 exec_lo, exec_lo, s36
.LBB4_381:                              ;   in Loop: Header=BB4_144 Depth=3
	s_delay_alu instid0(SALU_CYCLE_1) | instskip(SKIP_3) | instid1(VALU_DEP_1)
	s_or_b32 exec_lo, exec_lo, s35
	v_lshrrev_b32_e32 v68, 24, v8
	s_mov_b32 s13, 0
	s_mov_b32 s36, exec_lo
                                        ; implicit-def: $sgpr35
	v_cmpx_lt_i16_e32 0x7f, v68
	s_xor_b32 s36, exec_lo, s36
	s_cbranch_execnz .LBB4_995
; %bb.382:                              ;   in Loop: Header=BB4_144 Depth=3
	s_or_saveexec_b32 s36, s36
	v_mov_b32_e32 v164, s35
	s_xor_b32 exec_lo, exec_lo, s36
	s_cbranch_execnz .LBB4_998
.LBB4_383:                              ;   in Loop: Header=BB4_144 Depth=3
	s_or_b32 exec_lo, exec_lo, s36
	s_and_saveexec_b32 s35, s13
	s_cbranch_execz .LBB4_385
.LBB4_384:                              ;   in Loop: Header=BB4_144 Depth=3
	v_bfe_u32 v164, v8, 24, 2
	s_delay_alu instid0(VALU_DEP_1) | instskip(NEXT) | instid1(VALU_DEP_1)
	v_clz_i32_u32_e32 v165, v164
	v_min_u32_e32 v165, 32, v165
	s_delay_alu instid0(VALU_DEP_1) | instskip(SKIP_1) | instid1(VALU_DEP_2)
	v_subrev_nc_u32_e32 v166, 29, v165
	v_sub_nc_u32_e32 v165, 30, v165
	v_lshlrev_b32_e32 v68, v166, v68
	v_bfe_u32 v166, v8, 26, 5
	v_and_b32_e32 v8, 0x80000000, v8
	s_delay_alu instid0(VALU_DEP_2) | instskip(NEXT) | instid1(VALU_DEP_4)
	v_cmp_eq_u32_e32 vcc_lo, 0, v166
	v_dual_cndmask_b32 v165, v166, v165 :: v_dual_and_b32 v68, 3, v68
	s_delay_alu instid0(VALU_DEP_1) | instskip(NEXT) | instid1(VALU_DEP_2)
	v_cndmask_b32_e32 v68, v164, v68, vcc_lo
	v_lshl_add_u32 v164, v165, 23, 0x37800000
	s_delay_alu instid0(VALU_DEP_2) | instskip(NEXT) | instid1(VALU_DEP_1)
	v_lshlrev_b32_e32 v68, 21, v68
	v_or3_b32 v164, v8, v164, v68
.LBB4_385:                              ;   in Loop: Header=BB4_144 Depth=3
	s_or_b32 exec_lo, exec_lo, s35
	s_delay_alu instid0(VALU_DEP_1) | instskip(SKIP_2) | instid1(VALU_DEP_2)
	v_mul_f32_e32 v8, s34, v164
	v_mov_b32_e32 v164, 0x80
	s_mov_b32 s35, exec_lo
	v_and_b32_e32 v68, 0x7f800000, v8
	s_delay_alu instid0(VALU_DEP_1)
	v_cmpx_ne_u32_e32 0x7f800000, v68
	s_cbranch_execz .LBB4_393
; %bb.386:                              ;   in Loop: Header=BB4_144 Depth=3
	v_mov_b32_e32 v164, 0
	s_mov_b32 s36, exec_lo
	v_cmpx_ne_u32_e32 0, v8
	s_cbranch_execz .LBB4_392
; %bb.387:                              ;   in Loop: Header=BB4_144 Depth=3
	v_bfe_u32 v68, v8, 23, 8
	s_delay_alu instid0(VALU_DEP_1) | instskip(SKIP_1) | instid1(VALU_DEP_2)
	v_sub_nc_u32_e32 v165, 0x70, v68
	v_cmp_gt_u32_e32 vcc_lo, 0x71, v68
	v_dual_cndmask_b32 v165, 0, v165 :: v_dual_and_b32 v164, 0x7fffff, v8
	s_delay_alu instid0(VALU_DEP_1) | instskip(SKIP_2) | instid1(VALU_DEP_4)
	v_or_b32_e32 v166, 0x800000, v164
	v_cmp_eq_u32_e32 vcc_lo, 0, v68
	v_add_nc_u32_e32 v68, 0xffffff91, v68
	v_cndmask_b32_e64 v165, v165, 0x6f, vcc_lo
	s_delay_alu instid0(VALU_DEP_4) | instskip(NEXT) | instid1(VALU_DEP_3)
	v_cndmask_b32_e32 v164, v166, v164, vcc_lo
	v_cndmask_b32_e64 v68, v68, 0xffffff92, vcc_lo
	s_delay_alu instid0(VALU_DEP_3) | instskip(NEXT) | instid1(VALU_DEP_3)
	v_lshl_add_u32 v166, 0x200000, v165, -1
	v_lshrrev_b32_e32 v167, v165, v164
	v_lshlrev_b32_e64 v177, v165, 0x100000
	s_delay_alu instid0(VALU_DEP_4) | instskip(NEXT) | instid1(VALU_DEP_4)
	v_add_nc_u32_e32 v165, v165, v68
	v_and_b32_e32 v164, v166, v164
	s_delay_alu instid0(VALU_DEP_4) | instskip(NEXT) | instid1(VALU_DEP_2)
	v_bfe_u32 v176, v167, 21, 1
	v_cmp_eq_u32_e64 s13, v164, v177
	s_delay_alu instid0(VALU_DEP_2) | instskip(NEXT) | instid1(VALU_DEP_1)
	v_add_nc_u32_e32 v166, -1, v176
	v_cndmask_b32_e64 v164, 0, v166, s13
	v_lshrrev_b32_e32 v166, 23, v167
	s_mov_b32 s13, exec_lo
	s_delay_alu instid0(VALU_DEP_2) | instskip(NEXT) | instid1(VALU_DEP_2)
	v_add_nc_u32_e32 v164, v164, v167
	v_xor_b32_e32 v166, 1, v166
	s_delay_alu instid0(VALU_DEP_2) | instskip(NEXT) | instid1(VALU_DEP_1)
	v_and_b32_e32 v68, 0x1fffff, v164
	v_add_nc_u32_e32 v164, v68, v167
                                        ; implicit-def: $vgpr68
	s_delay_alu instid0(VALU_DEP_3)
	v_cmpx_ne_u32_e64 v165, v166
	s_xor_b32 s13, exec_lo, s13
; %bb.388:                              ;   in Loop: Header=BB4_144 Depth=3
	s_delay_alu instid0(VALU_DEP_2) | instskip(SKIP_2) | instid1(VALU_DEP_2)
	v_cmp_lt_u32_e32 vcc_lo, 0xffffff, v164
	v_sub_nc_u32_e32 v68, v165, v166
	v_cndmask_b32_e64 v165, 0, 1, vcc_lo
	v_add_co_ci_u32_e32 v68, vcc_lo, 0, v68, vcc_lo
	s_delay_alu instid0(VALU_DEP_2)
	v_lshrrev_b32_e32 v164, v165, v164
; %bb.389:                              ;   in Loop: Header=BB4_144 Depth=3
	s_and_not1_saveexec_b32 s13, s13
; %bb.390:                              ;   in Loop: Header=BB4_144 Depth=3
	s_delay_alu instid0(VALU_DEP_1)
	v_bfe_u32 v68, v164, 23, 1
; %bb.391:                              ;   in Loop: Header=BB4_144 Depth=3
	s_or_b32 exec_lo, exec_lo, s13
	v_lshrrev_b32_e32 v164, 21, v164
	s_delay_alu instid0(VALU_DEP_2) | instskip(SKIP_2) | instid1(VALU_DEP_4)
	v_cmp_gt_i32_e32 vcc_lo, 32, v68
	v_lshrrev_b32_e32 v8, 24, v8
	v_min_i32_e32 v165, 31, v68
	v_cndmask_b32_e32 v164, 3, v164, vcc_lo
	s_delay_alu instid0(VALU_DEP_3) | instskip(NEXT) | instid1(VALU_DEP_3)
	v_and_b32_e32 v8, 0x80, v8
	v_lshlrev_b32_e32 v165, 2, v165
	s_delay_alu instid0(VALU_DEP_3) | instskip(SKIP_1) | instid1(VALU_DEP_2)
	v_and_b32_e32 v166, 3, v164
	v_or_b32_e32 v68, v68, v164
	v_or3_b32 v8, v165, v8, v166
	s_delay_alu instid0(VALU_DEP_2) | instskip(NEXT) | instid1(VALU_DEP_2)
	v_cmp_ne_u32_e32 vcc_lo, 0, v68
	v_cndmask_b32_e32 v164, 0, v8, vcc_lo
.LBB4_392:                              ;   in Loop: Header=BB4_144 Depth=3
	s_or_b32 exec_lo, exec_lo, s36
.LBB4_393:                              ;   in Loop: Header=BB4_144 Depth=3
	s_delay_alu instid0(SALU_CYCLE_1) | instskip(SKIP_3) | instid1(VALU_DEP_1)
	s_or_b32 exec_lo, exec_lo, s35
	v_and_b32_e32 v68, 0xff, v9
	s_mov_b32 s13, 0
	s_mov_b32 s36, exec_lo
                                        ; implicit-def: $sgpr35
	v_cmpx_lt_i16_e32 0x7f, v68
	s_xor_b32 s36, exec_lo, s36
	s_cbranch_execnz .LBB4_999
; %bb.394:                              ;   in Loop: Header=BB4_144 Depth=3
	s_or_saveexec_b32 s36, s36
	v_mov_b32_e32 v8, s35
	s_xor_b32 exec_lo, exec_lo, s36
	s_cbranch_execnz .LBB4_1002
.LBB4_395:                              ;   in Loop: Header=BB4_144 Depth=3
	s_or_b32 exec_lo, exec_lo, s36
	s_and_saveexec_b32 s35, s13
	s_cbranch_execz .LBB4_397
.LBB4_396:                              ;   in Loop: Header=BB4_144 Depth=3
	v_and_b32_e32 v8, 3, v9
	v_bfe_u32 v166, v9, 2, 5
	v_lshlrev_b32_e32 v167, 24, v9
	s_delay_alu instid0(VALU_DEP_3) | instskip(NEXT) | instid1(VALU_DEP_3)
	v_clz_i32_u32_e32 v68, v8
	v_cmp_eq_u32_e32 vcc_lo, 0, v166
	s_delay_alu instid0(VALU_DEP_2) | instskip(NEXT) | instid1(VALU_DEP_1)
	v_min_u32_e32 v68, 32, v68
	v_subrev_nc_u32_e32 v165, 29, v68
	v_sub_nc_u32_e32 v68, 30, v68
	s_delay_alu instid0(VALU_DEP_1) | instskip(NEXT) | instid1(VALU_DEP_1)
	v_dual_cndmask_b32 v68, v166, v68 :: v_dual_lshlrev_b32 v165, v165, v9
	v_and_b32_e32 v165, 3, v165
	s_delay_alu instid0(VALU_DEP_2) | instskip(NEXT) | instid1(VALU_DEP_2)
	v_lshl_add_u32 v68, v68, 23, 0x37800000
	v_dual_cndmask_b32 v8, v8, v165 :: v_dual_and_b32 v165, 0x80000000, v167
	s_delay_alu instid0(VALU_DEP_1) | instskip(NEXT) | instid1(VALU_DEP_1)
	v_lshlrev_b32_e32 v8, 21, v8
	v_or3_b32 v8, v165, v68, v8
.LBB4_397:                              ;   in Loop: Header=BB4_144 Depth=3
	s_or_b32 exec_lo, exec_lo, s35
	s_delay_alu instid0(VALU_DEP_1) | instskip(SKIP_1) | instid1(VALU_DEP_1)
	v_dual_mul_f32 v8, s34, v8 :: v_dual_mov_b32 v165, 0x80
	s_mov_b32 s35, exec_lo
	v_and_b32_e32 v68, 0x7f800000, v8
	s_delay_alu instid0(VALU_DEP_1)
	v_cmpx_ne_u32_e32 0x7f800000, v68
	s_cbranch_execz .LBB4_405
; %bb.398:                              ;   in Loop: Header=BB4_144 Depth=3
	v_mov_b32_e32 v165, 0
	s_mov_b32 s36, exec_lo
	v_cmpx_ne_u32_e32 0, v8
	s_cbranch_execz .LBB4_404
; %bb.399:                              ;   in Loop: Header=BB4_144 Depth=3
	v_bfe_u32 v68, v8, 23, 8
	s_delay_alu instid0(VALU_DEP_1) | instskip(SKIP_1) | instid1(VALU_DEP_2)
	v_sub_nc_u32_e32 v166, 0x70, v68
	v_cmp_gt_u32_e32 vcc_lo, 0x71, v68
	v_dual_cndmask_b32 v166, 0, v166 :: v_dual_and_b32 v165, 0x7fffff, v8
	s_delay_alu instid0(VALU_DEP_1) | instskip(SKIP_2) | instid1(VALU_DEP_4)
	v_or_b32_e32 v167, 0x800000, v165
	v_cmp_eq_u32_e32 vcc_lo, 0, v68
	v_add_nc_u32_e32 v68, 0xffffff91, v68
	v_cndmask_b32_e64 v166, v166, 0x6f, vcc_lo
	s_delay_alu instid0(VALU_DEP_4) | instskip(NEXT) | instid1(VALU_DEP_3)
	v_cndmask_b32_e32 v165, v167, v165, vcc_lo
	v_cndmask_b32_e64 v68, v68, 0xffffff92, vcc_lo
	s_delay_alu instid0(VALU_DEP_3) | instskip(NEXT) | instid1(VALU_DEP_3)
	v_lshl_add_u32 v167, 0x200000, v166, -1
	v_lshrrev_b32_e32 v176, v166, v165
	v_lshlrev_b32_e64 v178, v166, 0x100000
	s_delay_alu instid0(VALU_DEP_4) | instskip(NEXT) | instid1(VALU_DEP_4)
	v_add_nc_u32_e32 v166, v166, v68
	v_and_b32_e32 v165, v167, v165
	s_delay_alu instid0(VALU_DEP_4) | instskip(NEXT) | instid1(VALU_DEP_2)
	v_bfe_u32 v177, v176, 21, 1
	v_cmp_eq_u32_e64 s13, v165, v178
	s_delay_alu instid0(VALU_DEP_2) | instskip(NEXT) | instid1(VALU_DEP_1)
	v_add_nc_u32_e32 v167, -1, v177
	v_cndmask_b32_e64 v165, 0, v167, s13
	v_lshrrev_b32_e32 v167, 23, v176
	s_mov_b32 s13, exec_lo
	s_delay_alu instid0(VALU_DEP_2) | instskip(NEXT) | instid1(VALU_DEP_2)
	v_add_nc_u32_e32 v165, v165, v176
	v_xor_b32_e32 v167, 1, v167
	s_delay_alu instid0(VALU_DEP_2) | instskip(NEXT) | instid1(VALU_DEP_1)
	v_and_b32_e32 v68, 0x1fffff, v165
	v_add_nc_u32_e32 v165, v68, v176
                                        ; implicit-def: $vgpr68
	s_delay_alu instid0(VALU_DEP_3)
	v_cmpx_ne_u32_e64 v166, v167
	s_xor_b32 s13, exec_lo, s13
; %bb.400:                              ;   in Loop: Header=BB4_144 Depth=3
	s_delay_alu instid0(VALU_DEP_2) | instskip(SKIP_2) | instid1(VALU_DEP_2)
	v_cmp_lt_u32_e32 vcc_lo, 0xffffff, v165
	v_sub_nc_u32_e32 v68, v166, v167
	v_cndmask_b32_e64 v166, 0, 1, vcc_lo
	v_add_co_ci_u32_e32 v68, vcc_lo, 0, v68, vcc_lo
	s_delay_alu instid0(VALU_DEP_2)
	v_lshrrev_b32_e32 v165, v166, v165
; %bb.401:                              ;   in Loop: Header=BB4_144 Depth=3
	s_and_not1_saveexec_b32 s13, s13
; %bb.402:                              ;   in Loop: Header=BB4_144 Depth=3
	s_delay_alu instid0(VALU_DEP_1)
	v_bfe_u32 v68, v165, 23, 1
; %bb.403:                              ;   in Loop: Header=BB4_144 Depth=3
	s_or_b32 exec_lo, exec_lo, s13
	v_lshrrev_b32_e32 v165, 21, v165
	s_delay_alu instid0(VALU_DEP_2) | instskip(SKIP_2) | instid1(VALU_DEP_2)
	v_cmp_gt_i32_e32 vcc_lo, 32, v68
	v_min_i32_e32 v166, 31, v68
	v_lshrrev_b32_e32 v8, 24, v8
	v_dual_cndmask_b32 v165, 3, v165 :: v_dual_lshlrev_b32 v166, 2, v166
	s_delay_alu instid0(VALU_DEP_2) | instskip(NEXT) | instid1(VALU_DEP_2)
	v_and_b32_e32 v8, 0x80, v8
	v_or_b32_e32 v68, v68, v165
	v_and_b32_e32 v167, 3, v165
	s_delay_alu instid0(VALU_DEP_2) | instskip(SKIP_1) | instid1(VALU_DEP_1)
	v_cmp_ne_u32_e32 vcc_lo, 0, v68
	v_and_b32_e32 v166, 0xfc, v166
	v_or3_b32 v8, v166, v8, v167
	s_delay_alu instid0(VALU_DEP_1)
	v_cndmask_b32_e32 v165, 0, v8, vcc_lo
.LBB4_404:                              ;   in Loop: Header=BB4_144 Depth=3
	s_or_b32 exec_lo, exec_lo, s36
.LBB4_405:                              ;   in Loop: Header=BB4_144 Depth=3
	s_delay_alu instid0(SALU_CYCLE_1) | instskip(SKIP_3) | instid1(VALU_DEP_1)
	s_or_b32 exec_lo, exec_lo, s35
	v_lshrrev_b16 v8, 8, v9
	s_mov_b32 s13, 0
	s_mov_b32 s36, exec_lo
                                        ; implicit-def: $sgpr35
	v_cmpx_lt_i16_e32 0x7f, v8
	s_xor_b32 s36, exec_lo, s36
	s_cbranch_execnz .LBB4_1003
; %bb.406:                              ;   in Loop: Header=BB4_144 Depth=3
	s_or_saveexec_b32 s36, s36
	v_mov_b32_e32 v68, s35
	s_xor_b32 exec_lo, exec_lo, s36
	s_cbranch_execnz .LBB4_1006
.LBB4_407:                              ;   in Loop: Header=BB4_144 Depth=3
	s_or_b32 exec_lo, exec_lo, s36
	s_and_saveexec_b32 s35, s13
	s_cbranch_execz .LBB4_409
.LBB4_408:                              ;   in Loop: Header=BB4_144 Depth=3
	v_and_b32_e32 v68, 0xffff, v8
	v_lshlrev_b32_e32 v8, 24, v8
	s_delay_alu instid0(VALU_DEP_2) | instskip(NEXT) | instid1(VALU_DEP_2)
	v_and_b32_e32 v166, 3, v68
	v_and_b32_e32 v8, 0x80000000, v8
	s_delay_alu instid0(VALU_DEP_2) | instskip(NEXT) | instid1(VALU_DEP_1)
	v_clz_i32_u32_e32 v167, v166
	v_min_u32_e32 v167, 32, v167
	s_delay_alu instid0(VALU_DEP_1) | instskip(SKIP_1) | instid1(VALU_DEP_2)
	v_subrev_nc_u32_e32 v176, 29, v167
	v_sub_nc_u32_e32 v167, 30, v167
	v_lshlrev_b32_e32 v176, v176, v68
	v_bfe_u32 v68, v68, 2, 5
	s_delay_alu instid0(VALU_DEP_2) | instskip(NEXT) | instid1(VALU_DEP_2)
	v_and_b32_e32 v176, 3, v176
	v_cmp_eq_u32_e32 vcc_lo, 0, v68
	v_cndmask_b32_e32 v68, v68, v167, vcc_lo
	s_delay_alu instid0(VALU_DEP_3) | instskip(NEXT) | instid1(VALU_DEP_2)
	v_cndmask_b32_e32 v166, v166, v176, vcc_lo
	v_lshl_add_u32 v68, v68, 23, 0x37800000
	s_delay_alu instid0(VALU_DEP_2) | instskip(NEXT) | instid1(VALU_DEP_1)
	v_lshlrev_b32_e32 v166, 21, v166
	v_or3_b32 v68, v8, v68, v166
.LBB4_409:                              ;   in Loop: Header=BB4_144 Depth=3
	s_or_b32 exec_lo, exec_lo, s35
	s_delay_alu instid0(VALU_DEP_1) | instskip(SKIP_2) | instid1(VALU_DEP_2)
	v_mul_f32_e32 v8, s34, v68
	v_mov_b32_e32 v166, 0x8000
	s_mov_b32 s35, exec_lo
	v_and_b32_e32 v68, 0x7f800000, v8
	s_delay_alu instid0(VALU_DEP_1)
	v_cmpx_ne_u32_e32 0x7f800000, v68
	s_cbranch_execz .LBB4_417
; %bb.410:                              ;   in Loop: Header=BB4_144 Depth=3
	v_mov_b32_e32 v166, 0
	s_mov_b32 s36, exec_lo
	v_cmpx_ne_u32_e32 0, v8
	s_cbranch_execz .LBB4_416
; %bb.411:                              ;   in Loop: Header=BB4_144 Depth=3
	v_bfe_u32 v68, v8, 23, 8
	s_delay_alu instid0(VALU_DEP_1) | instskip(SKIP_1) | instid1(VALU_DEP_2)
	v_sub_nc_u32_e32 v167, 0x70, v68
	v_cmp_gt_u32_e32 vcc_lo, 0x71, v68
	v_dual_cndmask_b32 v167, 0, v167 :: v_dual_and_b32 v166, 0x7fffff, v8
	s_delay_alu instid0(VALU_DEP_1) | instskip(SKIP_2) | instid1(VALU_DEP_4)
	v_or_b32_e32 v176, 0x800000, v166
	v_cmp_eq_u32_e32 vcc_lo, 0, v68
	v_add_nc_u32_e32 v68, 0xffffff91, v68
	v_cndmask_b32_e64 v167, v167, 0x6f, vcc_lo
	s_delay_alu instid0(VALU_DEP_2) | instskip(SKIP_1) | instid1(VALU_DEP_3)
	v_cndmask_b32_e64 v68, v68, 0xffffff92, vcc_lo
	v_cndmask_b32_e32 v166, v176, v166, vcc_lo
	v_lshl_add_u32 v176, 0x200000, v167, -1
	v_lshlrev_b32_e64 v179, v167, 0x100000
	s_delay_alu instid0(VALU_DEP_3) | instskip(SKIP_1) | instid1(VALU_DEP_4)
	v_lshrrev_b32_e32 v177, v167, v166
	v_add_nc_u32_e32 v167, v167, v68
	v_and_b32_e32 v166, v176, v166
	s_delay_alu instid0(VALU_DEP_3) | instskip(NEXT) | instid1(VALU_DEP_2)
	v_bfe_u32 v178, v177, 21, 1
	v_cmp_eq_u32_e64 s13, v166, v179
	s_delay_alu instid0(VALU_DEP_2) | instskip(NEXT) | instid1(VALU_DEP_1)
	v_add_nc_u32_e32 v176, -1, v178
	v_cndmask_b32_e64 v166, 0, v176, s13
	v_lshrrev_b32_e32 v176, 23, v177
	s_mov_b32 s13, exec_lo
	s_delay_alu instid0(VALU_DEP_2) | instskip(NEXT) | instid1(VALU_DEP_2)
	v_add_nc_u32_e32 v166, v166, v177
	v_xor_b32_e32 v176, 1, v176
	s_delay_alu instid0(VALU_DEP_2) | instskip(NEXT) | instid1(VALU_DEP_1)
	v_and_b32_e32 v68, 0x1fffff, v166
	v_add_nc_u32_e32 v166, v68, v177
                                        ; implicit-def: $vgpr68
	s_delay_alu instid0(VALU_DEP_3)
	v_cmpx_ne_u32_e64 v167, v176
	s_xor_b32 s13, exec_lo, s13
; %bb.412:                              ;   in Loop: Header=BB4_144 Depth=3
	s_delay_alu instid0(VALU_DEP_2) | instskip(SKIP_2) | instid1(VALU_DEP_2)
	v_cmp_lt_u32_e32 vcc_lo, 0xffffff, v166
	v_sub_nc_u32_e32 v68, v167, v176
	v_cndmask_b32_e64 v167, 0, 1, vcc_lo
	v_add_co_ci_u32_e32 v68, vcc_lo, 0, v68, vcc_lo
	s_delay_alu instid0(VALU_DEP_2)
	v_lshrrev_b32_e32 v166, v167, v166
; %bb.413:                              ;   in Loop: Header=BB4_144 Depth=3
	s_and_not1_saveexec_b32 s13, s13
; %bb.414:                              ;   in Loop: Header=BB4_144 Depth=3
	s_delay_alu instid0(VALU_DEP_1)
	v_bfe_u32 v68, v166, 23, 1
; %bb.415:                              ;   in Loop: Header=BB4_144 Depth=3
	s_or_b32 exec_lo, exec_lo, s13
	v_lshrrev_b32_e32 v166, 21, v166
	s_delay_alu instid0(VALU_DEP_2) | instskip(SKIP_2) | instid1(VALU_DEP_2)
	v_cmp_gt_i32_e32 vcc_lo, 32, v68
	v_min_i32_e32 v167, 31, v68
	v_lshrrev_b32_e32 v8, 24, v8
	v_dual_cndmask_b32 v166, 3, v166 :: v_dual_lshlrev_b32 v167, 2, v167
	s_delay_alu instid0(VALU_DEP_2) | instskip(NEXT) | instid1(VALU_DEP_2)
	v_and_b32_e32 v8, 0x80, v8
	v_or_b32_e32 v68, v68, v166
	v_and_b32_e32 v176, 3, v166
	s_delay_alu instid0(VALU_DEP_2) | instskip(SKIP_1) | instid1(VALU_DEP_1)
	v_cmp_ne_u32_e32 vcc_lo, 0, v68
	v_and_b32_e32 v167, 0xfc, v167
	v_or3_b32 v8, v8, v167, v176
	s_delay_alu instid0(VALU_DEP_1) | instskip(NEXT) | instid1(VALU_DEP_1)
	v_lshlrev_b32_e32 v8, 8, v8
	v_cndmask_b32_e32 v166, 0, v8, vcc_lo
.LBB4_416:                              ;   in Loop: Header=BB4_144 Depth=3
	s_or_b32 exec_lo, exec_lo, s36
.LBB4_417:                              ;   in Loop: Header=BB4_144 Depth=3
	s_delay_alu instid0(SALU_CYCLE_1) | instskip(SKIP_3) | instid1(VALU_DEP_1)
	s_or_b32 exec_lo, exec_lo, s35
	v_lshrrev_b32_e32 v8, 16, v9
	s_mov_b32 s13, 0
	s_mov_b32 s36, exec_lo
                                        ; implicit-def: $sgpr35
	v_and_b32_e32 v167, 0xff, v8
	s_delay_alu instid0(VALU_DEP_1)
	v_cmpx_lt_i16_e64 0x7f, v167
	s_xor_b32 s36, exec_lo, s36
	s_cbranch_execnz .LBB4_1007
; %bb.418:                              ;   in Loop: Header=BB4_144 Depth=3
	s_or_saveexec_b32 s36, s36
	v_mov_b32_e32 v68, s35
	s_xor_b32 exec_lo, exec_lo, s36
	s_cbranch_execnz .LBB4_1010
.LBB4_419:                              ;   in Loop: Header=BB4_144 Depth=3
	s_or_b32 exec_lo, exec_lo, s36
	s_and_saveexec_b32 s35, s13
	s_cbranch_execz .LBB4_421
.LBB4_420:                              ;   in Loop: Header=BB4_144 Depth=3
	v_bfe_u32 v68, v9, 16, 2
	s_delay_alu instid0(VALU_DEP_1) | instskip(NEXT) | instid1(VALU_DEP_1)
	v_clz_i32_u32_e32 v167, v68
	v_min_u32_e32 v167, 32, v167
	s_delay_alu instid0(VALU_DEP_1) | instskip(SKIP_1) | instid1(VALU_DEP_2)
	v_subrev_nc_u32_e32 v176, 29, v167
	v_sub_nc_u32_e32 v167, 30, v167
	v_lshlrev_b32_e32 v8, v176, v8
	v_bfe_u32 v176, v9, 18, 5
	s_delay_alu instid0(VALU_DEP_1) | instskip(NEXT) | instid1(VALU_DEP_3)
	v_cmp_eq_u32_e32 vcc_lo, 0, v176
	v_dual_cndmask_b32 v167, v176, v167 :: v_dual_and_b32 v8, 3, v8
	s_delay_alu instid0(VALU_DEP_1) | instskip(NEXT) | instid1(VALU_DEP_2)
	v_dual_cndmask_b32 v8, v68, v8 :: v_dual_lshlrev_b32 v177, 8, v9
	v_lshl_add_u32 v167, v167, 23, 0x37800000
	s_delay_alu instid0(VALU_DEP_2) | instskip(NEXT) | instid1(VALU_DEP_3)
	v_and_b32_e32 v68, 0x80000000, v177
	v_lshlrev_b32_e32 v8, 21, v8
	s_delay_alu instid0(VALU_DEP_1)
	v_or3_b32 v68, v68, v167, v8
.LBB4_421:                              ;   in Loop: Header=BB4_144 Depth=3
	s_or_b32 exec_lo, exec_lo, s35
	s_delay_alu instid0(VALU_DEP_1) | instskip(SKIP_1) | instid1(VALU_DEP_1)
	v_dual_mul_f32 v8, s34, v68 :: v_dual_mov_b32 v167, 0x80
	s_mov_b32 s35, exec_lo
	v_and_b32_e32 v68, 0x7f800000, v8
	s_delay_alu instid0(VALU_DEP_1)
	v_cmpx_ne_u32_e32 0x7f800000, v68
	s_cbranch_execz .LBB4_429
; %bb.422:                              ;   in Loop: Header=BB4_144 Depth=3
	v_mov_b32_e32 v167, 0
	s_mov_b32 s36, exec_lo
	v_cmpx_ne_u32_e32 0, v8
	s_cbranch_execz .LBB4_428
; %bb.423:                              ;   in Loop: Header=BB4_144 Depth=3
	v_bfe_u32 v68, v8, 23, 8
	v_and_b32_e32 v167, 0x7fffff, v8
	s_delay_alu instid0(VALU_DEP_2) | instskip(SKIP_1) | instid1(VALU_DEP_3)
	v_sub_nc_u32_e32 v176, 0x70, v68
	v_cmp_gt_u32_e32 vcc_lo, 0x71, v68
	v_or_b32_e32 v177, 0x800000, v167
	s_delay_alu instid0(VALU_DEP_3) | instskip(SKIP_1) | instid1(VALU_DEP_3)
	v_cndmask_b32_e32 v176, 0, v176, vcc_lo
	v_cmp_eq_u32_e32 vcc_lo, 0, v68
	v_dual_cndmask_b32 v167, v177, v167 :: v_dual_add_nc_u32 v68, 0xffffff91, v68
	s_delay_alu instid0(VALU_DEP_3) | instskip(NEXT) | instid1(VALU_DEP_2)
	v_cndmask_b32_e64 v176, v176, 0x6f, vcc_lo
	v_cndmask_b32_e64 v68, v68, 0xffffff92, vcc_lo
	s_delay_alu instid0(VALU_DEP_2) | instskip(SKIP_2) | instid1(VALU_DEP_4)
	v_lshrrev_b32_e32 v178, v176, v167
	v_lshl_add_u32 v177, 0x200000, v176, -1
	v_lshlrev_b32_e64 v180, v176, 0x100000
	v_add_nc_u32_e32 v176, v176, v68
	s_delay_alu instid0(VALU_DEP_4) | instskip(NEXT) | instid1(VALU_DEP_4)
	v_bfe_u32 v179, v178, 21, 1
	v_and_b32_e32 v167, v177, v167
	s_delay_alu instid0(VALU_DEP_2) | instskip(NEXT) | instid1(VALU_DEP_2)
	v_add_nc_u32_e32 v177, -1, v179
	v_cmp_eq_u32_e64 s13, v167, v180
	s_delay_alu instid0(VALU_DEP_1) | instskip(SKIP_2) | instid1(VALU_DEP_2)
	v_cndmask_b32_e64 v167, 0, v177, s13
	v_lshrrev_b32_e32 v177, 23, v178
	s_mov_b32 s13, exec_lo
	v_add_nc_u32_e32 v167, v167, v178
	s_delay_alu instid0(VALU_DEP_2) | instskip(NEXT) | instid1(VALU_DEP_2)
	v_xor_b32_e32 v177, 1, v177
	v_and_b32_e32 v68, 0x1fffff, v167
	s_delay_alu instid0(VALU_DEP_1) | instskip(NEXT) | instid1(VALU_DEP_3)
	v_add_nc_u32_e32 v167, v68, v178
                                        ; implicit-def: $vgpr68
	v_cmpx_ne_u32_e64 v176, v177
	s_xor_b32 s13, exec_lo, s13
; %bb.424:                              ;   in Loop: Header=BB4_144 Depth=3
	s_delay_alu instid0(VALU_DEP_2) | instskip(SKIP_2) | instid1(VALU_DEP_2)
	v_cmp_lt_u32_e32 vcc_lo, 0xffffff, v167
	v_sub_nc_u32_e32 v68, v176, v177
	v_cndmask_b32_e64 v176, 0, 1, vcc_lo
	v_add_co_ci_u32_e32 v68, vcc_lo, 0, v68, vcc_lo
	s_delay_alu instid0(VALU_DEP_2)
	v_lshrrev_b32_e32 v167, v176, v167
; %bb.425:                              ;   in Loop: Header=BB4_144 Depth=3
	s_and_not1_saveexec_b32 s13, s13
; %bb.426:                              ;   in Loop: Header=BB4_144 Depth=3
	s_delay_alu instid0(VALU_DEP_1)
	v_bfe_u32 v68, v167, 23, 1
; %bb.427:                              ;   in Loop: Header=BB4_144 Depth=3
	s_or_b32 exec_lo, exec_lo, s13
	v_lshrrev_b32_e32 v167, 21, v167
	s_delay_alu instid0(VALU_DEP_2) | instskip(SKIP_2) | instid1(VALU_DEP_3)
	v_min_i32_e32 v176, 31, v68
	v_cmp_gt_i32_e32 vcc_lo, 32, v68
	v_lshrrev_b32_e32 v8, 24, v8
	v_dual_cndmask_b32 v167, 3, v167 :: v_dual_lshlrev_b32 v176, 2, v176
	s_delay_alu instid0(VALU_DEP_2) | instskip(NEXT) | instid1(VALU_DEP_2)
	v_and_b32_e32 v8, 0x80, v8
	v_and_b32_e32 v176, 0xfc, v176
	s_delay_alu instid0(VALU_DEP_3) | instskip(SKIP_1) | instid1(VALU_DEP_2)
	v_and_b32_e32 v177, 3, v167
	v_or_b32_e32 v68, v68, v167
	v_or3_b32 v8, v176, v8, v177
	s_delay_alu instid0(VALU_DEP_2) | instskip(NEXT) | instid1(VALU_DEP_2)
	v_cmp_ne_u32_e32 vcc_lo, 0, v68
	v_cndmask_b32_e32 v167, 0, v8, vcc_lo
.LBB4_428:                              ;   in Loop: Header=BB4_144 Depth=3
	s_or_b32 exec_lo, exec_lo, s36
.LBB4_429:                              ;   in Loop: Header=BB4_144 Depth=3
	s_delay_alu instid0(SALU_CYCLE_1) | instskip(SKIP_3) | instid1(VALU_DEP_1)
	s_or_b32 exec_lo, exec_lo, s35
	v_lshrrev_b32_e32 v8, 24, v9
	s_mov_b32 s13, 0
	s_mov_b32 s36, exec_lo
                                        ; implicit-def: $sgpr35
	v_cmpx_lt_i16_e32 0x7f, v8
	s_xor_b32 s36, exec_lo, s36
	s_cbranch_execnz .LBB4_1011
; %bb.430:                              ;   in Loop: Header=BB4_144 Depth=3
	s_or_saveexec_b32 s36, s36
	v_mov_b32_e32 v68, s35
	s_xor_b32 exec_lo, exec_lo, s36
	s_cbranch_execnz .LBB4_1014
.LBB4_431:                              ;   in Loop: Header=BB4_144 Depth=3
	s_or_b32 exec_lo, exec_lo, s36
	s_and_saveexec_b32 s35, s13
	s_cbranch_execz .LBB4_433
.LBB4_432:                              ;   in Loop: Header=BB4_144 Depth=3
	v_bfe_u32 v68, v9, 24, 2
	s_delay_alu instid0(VALU_DEP_1) | instskip(NEXT) | instid1(VALU_DEP_1)
	v_clz_i32_u32_e32 v176, v68
	v_min_u32_e32 v176, 32, v176
	s_delay_alu instid0(VALU_DEP_1) | instskip(SKIP_1) | instid1(VALU_DEP_2)
	v_subrev_nc_u32_e32 v177, 29, v176
	v_sub_nc_u32_e32 v176, 30, v176
	v_lshlrev_b32_e32 v8, v177, v8
	v_bfe_u32 v177, v9, 26, 5
	v_and_b32_e32 v9, 0x80000000, v9
	s_delay_alu instid0(VALU_DEP_3) | instskip(NEXT) | instid1(VALU_DEP_3)
	v_and_b32_e32 v8, 3, v8
	v_cmp_eq_u32_e32 vcc_lo, 0, v177
	v_cndmask_b32_e32 v176, v177, v176, vcc_lo
	s_delay_alu instid0(VALU_DEP_3) | instskip(NEXT) | instid1(VALU_DEP_2)
	v_cndmask_b32_e32 v8, v68, v8, vcc_lo
	v_lshl_add_u32 v68, v176, 23, 0x37800000
	s_delay_alu instid0(VALU_DEP_2) | instskip(NEXT) | instid1(VALU_DEP_1)
	v_lshlrev_b32_e32 v8, 21, v8
	v_or3_b32 v68, v9, v68, v8
.LBB4_433:                              ;   in Loop: Header=BB4_144 Depth=3
	s_or_b32 exec_lo, exec_lo, s35
	s_delay_alu instid0(VALU_DEP_1) | instskip(SKIP_2) | instid1(VALU_DEP_2)
	v_mul_f32_e32 v8, s34, v68
	v_mov_b32_e32 v176, 0x8000
	s_mov_b32 s35, exec_lo
	v_and_b32_e32 v9, 0x7f800000, v8
	s_delay_alu instid0(VALU_DEP_1)
	v_cmpx_ne_u32_e32 0x7f800000, v9
	s_cbranch_execz .LBB4_441
; %bb.434:                              ;   in Loop: Header=BB4_144 Depth=3
	v_mov_b32_e32 v176, 0
	s_mov_b32 s36, exec_lo
	v_cmpx_ne_u32_e32 0, v8
	s_cbranch_execz .LBB4_440
; %bb.435:                              ;   in Loop: Header=BB4_144 Depth=3
	v_bfe_u32 v9, v8, 23, 8
	v_and_b32_e32 v68, 0x7fffff, v8
	s_delay_alu instid0(VALU_DEP_2) | instskip(SKIP_1) | instid1(VALU_DEP_3)
	v_sub_nc_u32_e32 v176, 0x70, v9
	v_cmp_gt_u32_e32 vcc_lo, 0x71, v9
	v_or_b32_e32 v177, 0x800000, v68
	s_delay_alu instid0(VALU_DEP_3) | instskip(SKIP_2) | instid1(VALU_DEP_3)
	v_cndmask_b32_e32 v176, 0, v176, vcc_lo
	v_cmp_eq_u32_e32 vcc_lo, 0, v9
	v_add_nc_u32_e32 v9, 0xffffff91, v9
	v_cndmask_b32_e64 v176, v176, 0x6f, vcc_lo
	v_cndmask_b32_e32 v68, v177, v68, vcc_lo
	s_delay_alu instid0(VALU_DEP_3) | instskip(NEXT) | instid1(VALU_DEP_3)
	v_cndmask_b32_e64 v9, v9, 0xffffff92, vcc_lo
	v_lshl_add_u32 v177, 0x200000, v176, -1
	s_delay_alu instid0(VALU_DEP_3) | instskip(SKIP_1) | instid1(VALU_DEP_4)
	v_lshrrev_b32_e32 v178, v176, v68
	v_lshlrev_b32_e64 v180, v176, 0x100000
	v_add_nc_u32_e32 v176, v176, v9
	s_delay_alu instid0(VALU_DEP_4) | instskip(NEXT) | instid1(VALU_DEP_4)
	v_and_b32_e32 v68, v177, v68
	v_bfe_u32 v179, v178, 21, 1
	s_delay_alu instid0(VALU_DEP_2) | instskip(NEXT) | instid1(VALU_DEP_2)
	v_cmp_eq_u32_e64 s13, v68, v180
	v_add_nc_u32_e32 v177, -1, v179
	s_delay_alu instid0(VALU_DEP_1) | instskip(SKIP_2) | instid1(VALU_DEP_2)
	v_cndmask_b32_e64 v68, 0, v177, s13
	v_lshrrev_b32_e32 v177, 23, v178
	s_mov_b32 s13, exec_lo
	v_add_nc_u32_e32 v68, v68, v178
	s_delay_alu instid0(VALU_DEP_2) | instskip(NEXT) | instid1(VALU_DEP_2)
	v_xor_b32_e32 v177, 1, v177
	v_and_b32_e32 v9, 0x1fffff, v68
	s_delay_alu instid0(VALU_DEP_1) | instskip(NEXT) | instid1(VALU_DEP_3)
	v_add_nc_u32_e32 v68, v9, v178
                                        ; implicit-def: $vgpr9
	v_cmpx_ne_u32_e64 v176, v177
	s_xor_b32 s13, exec_lo, s13
; %bb.436:                              ;   in Loop: Header=BB4_144 Depth=3
	s_delay_alu instid0(VALU_DEP_2) | instskip(SKIP_2) | instid1(VALU_DEP_2)
	v_cmp_lt_u32_e32 vcc_lo, 0xffffff, v68
	v_sub_nc_u32_e32 v9, v176, v177
	v_cndmask_b32_e64 v176, 0, 1, vcc_lo
	v_add_co_ci_u32_e32 v9, vcc_lo, 0, v9, vcc_lo
	s_delay_alu instid0(VALU_DEP_2)
	v_lshrrev_b32_e32 v68, v176, v68
; %bb.437:                              ;   in Loop: Header=BB4_144 Depth=3
	s_and_not1_saveexec_b32 s13, s13
; %bb.438:                              ;   in Loop: Header=BB4_144 Depth=3
	s_delay_alu instid0(VALU_DEP_1)
	v_bfe_u32 v9, v68, 23, 1
; %bb.439:                              ;   in Loop: Header=BB4_144 Depth=3
	s_or_b32 exec_lo, exec_lo, s13
	v_lshrrev_b32_e32 v68, 21, v68
	s_delay_alu instid0(VALU_DEP_2) | instskip(SKIP_2) | instid1(VALU_DEP_3)
	v_min_i32_e32 v176, 31, v9
	v_cmp_gt_i32_e32 vcc_lo, 32, v9
	v_lshrrev_b32_e32 v8, 24, v8
	v_lshlrev_b32_e32 v176, 2, v176
	v_cndmask_b32_e32 v68, 3, v68, vcc_lo
	s_delay_alu instid0(VALU_DEP_3) | instskip(NEXT) | instid1(VALU_DEP_3)
	v_and_b32_e32 v8, 0x80, v8
	v_and_b32_e32 v176, 0xfc, v176
	s_delay_alu instid0(VALU_DEP_3) | instskip(SKIP_1) | instid1(VALU_DEP_2)
	v_and_b32_e32 v177, 3, v68
	v_or_b32_e32 v9, v9, v68
	v_or3_b32 v8, v8, v176, v177
	s_delay_alu instid0(VALU_DEP_2) | instskip(NEXT) | instid1(VALU_DEP_2)
	v_cmp_ne_u32_e32 vcc_lo, 0, v9
	v_lshlrev_b32_e32 v8, 8, v8
	s_delay_alu instid0(VALU_DEP_1)
	v_cndmask_b32_e32 v176, 0, v8, vcc_lo
.LBB4_440:                              ;   in Loop: Header=BB4_144 Depth=3
	s_or_b32 exec_lo, exec_lo, s36
.LBB4_441:                              ;   in Loop: Header=BB4_144 Depth=3
	s_delay_alu instid0(SALU_CYCLE_1) | instskip(SKIP_3) | instid1(VALU_DEP_1)
	s_or_b32 exec_lo, exec_lo, s35
	v_and_b32_e32 v9, 0xff, v10
	s_mov_b32 s13, 0
	s_mov_b32 s36, exec_lo
                                        ; implicit-def: $sgpr35
	v_cmpx_lt_i16_e32 0x7f, v9
	s_xor_b32 s36, exec_lo, s36
	s_cbranch_execnz .LBB4_1015
; %bb.442:                              ;   in Loop: Header=BB4_144 Depth=3
	s_or_saveexec_b32 s36, s36
	v_mov_b32_e32 v8, s35
	s_xor_b32 exec_lo, exec_lo, s36
	s_cbranch_execnz .LBB4_1018
.LBB4_443:                              ;   in Loop: Header=BB4_144 Depth=3
	s_or_b32 exec_lo, exec_lo, s36
	s_and_saveexec_b32 s35, s13
	s_cbranch_execz .LBB4_445
.LBB4_444:                              ;   in Loop: Header=BB4_144 Depth=3
	v_bfe_u32 v177, v10, 2, 5
	v_lshlrev_b32_e32 v178, 24, v10
	s_delay_alu instid0(VALU_DEP_2) | instskip(SKIP_1) | instid1(VALU_DEP_1)
	v_cmp_eq_u32_e32 vcc_lo, 0, v177
	v_and_b32_e32 v8, 3, v10
	v_clz_i32_u32_e32 v9, v8
	s_delay_alu instid0(VALU_DEP_1) | instskip(NEXT) | instid1(VALU_DEP_1)
	v_min_u32_e32 v9, 32, v9
	v_subrev_nc_u32_e32 v68, 29, v9
	v_sub_nc_u32_e32 v9, 30, v9
	s_delay_alu instid0(VALU_DEP_1) | instskip(NEXT) | instid1(VALU_DEP_1)
	v_dual_cndmask_b32 v9, v177, v9 :: v_dual_lshlrev_b32 v68, v68, v10
	v_and_b32_e32 v68, 3, v68
	s_delay_alu instid0(VALU_DEP_2) | instskip(NEXT) | instid1(VALU_DEP_2)
	v_lshl_add_u32 v9, v9, 23, 0x37800000
	v_cndmask_b32_e32 v8, v8, v68, vcc_lo
	v_and_b32_e32 v68, 0x80000000, v178
	s_delay_alu instid0(VALU_DEP_2) | instskip(NEXT) | instid1(VALU_DEP_1)
	v_lshlrev_b32_e32 v8, 21, v8
	v_or3_b32 v8, v68, v9, v8
.LBB4_445:                              ;   in Loop: Header=BB4_144 Depth=3
	s_or_b32 exec_lo, exec_lo, s35
	s_delay_alu instid0(VALU_DEP_1) | instskip(SKIP_1) | instid1(VALU_DEP_1)
	v_dual_mul_f32 v8, s34, v8 :: v_dual_mov_b32 v177, 0x80
	s_mov_b32 s35, exec_lo
	v_and_b32_e32 v9, 0x7f800000, v8
	s_delay_alu instid0(VALU_DEP_1)
	v_cmpx_ne_u32_e32 0x7f800000, v9
	s_cbranch_execz .LBB4_453
; %bb.446:                              ;   in Loop: Header=BB4_144 Depth=3
	v_mov_b32_e32 v177, 0
	s_mov_b32 s36, exec_lo
	v_cmpx_ne_u32_e32 0, v8
	s_cbranch_execz .LBB4_452
; %bb.447:                              ;   in Loop: Header=BB4_144 Depth=3
	v_bfe_u32 v9, v8, 23, 8
	s_delay_alu instid0(VALU_DEP_1) | instskip(SKIP_1) | instid1(VALU_DEP_2)
	v_sub_nc_u32_e32 v177, 0x70, v9
	v_cmp_gt_u32_e32 vcc_lo, 0x71, v9
	v_dual_cndmask_b32 v177, 0, v177 :: v_dual_and_b32 v68, 0x7fffff, v8
	s_delay_alu instid0(VALU_DEP_1) | instskip(SKIP_2) | instid1(VALU_DEP_4)
	v_or_b32_e32 v178, 0x800000, v68
	v_cmp_eq_u32_e32 vcc_lo, 0, v9
	v_add_nc_u32_e32 v9, 0xffffff91, v9
	v_cndmask_b32_e64 v177, v177, 0x6f, vcc_lo
	s_delay_alu instid0(VALU_DEP_4) | instskip(NEXT) | instid1(VALU_DEP_3)
	v_cndmask_b32_e32 v68, v178, v68, vcc_lo
	v_cndmask_b32_e64 v9, v9, 0xffffff92, vcc_lo
	s_delay_alu instid0(VALU_DEP_3) | instskip(NEXT) | instid1(VALU_DEP_3)
	v_lshl_add_u32 v178, 0x200000, v177, -1
	v_lshrrev_b32_e32 v179, v177, v68
	v_lshlrev_b32_e64 v181, v177, 0x100000
	s_delay_alu instid0(VALU_DEP_4) | instskip(NEXT) | instid1(VALU_DEP_4)
	v_add_nc_u32_e32 v177, v177, v9
	v_and_b32_e32 v68, v178, v68
	s_delay_alu instid0(VALU_DEP_4) | instskip(NEXT) | instid1(VALU_DEP_2)
	v_bfe_u32 v180, v179, 21, 1
	v_cmp_eq_u32_e64 s13, v68, v181
	s_delay_alu instid0(VALU_DEP_2) | instskip(NEXT) | instid1(VALU_DEP_1)
	v_add_nc_u32_e32 v178, -1, v180
	v_cndmask_b32_e64 v68, 0, v178, s13
	v_lshrrev_b32_e32 v178, 23, v179
	s_mov_b32 s13, exec_lo
	s_delay_alu instid0(VALU_DEP_2) | instskip(NEXT) | instid1(VALU_DEP_2)
	v_add_nc_u32_e32 v68, v68, v179
	v_xor_b32_e32 v178, 1, v178
	s_delay_alu instid0(VALU_DEP_2) | instskip(NEXT) | instid1(VALU_DEP_1)
	v_and_b32_e32 v9, 0x1fffff, v68
	v_add_nc_u32_e32 v68, v9, v179
                                        ; implicit-def: $vgpr9
	s_delay_alu instid0(VALU_DEP_3)
	v_cmpx_ne_u32_e64 v177, v178
	s_xor_b32 s13, exec_lo, s13
; %bb.448:                              ;   in Loop: Header=BB4_144 Depth=3
	s_delay_alu instid0(VALU_DEP_2) | instskip(SKIP_2) | instid1(VALU_DEP_2)
	v_cmp_lt_u32_e32 vcc_lo, 0xffffff, v68
	v_sub_nc_u32_e32 v9, v177, v178
	v_cndmask_b32_e64 v177, 0, 1, vcc_lo
	v_add_co_ci_u32_e32 v9, vcc_lo, 0, v9, vcc_lo
	s_delay_alu instid0(VALU_DEP_2)
	v_lshrrev_b32_e32 v68, v177, v68
; %bb.449:                              ;   in Loop: Header=BB4_144 Depth=3
	s_and_not1_saveexec_b32 s13, s13
; %bb.450:                              ;   in Loop: Header=BB4_144 Depth=3
	s_delay_alu instid0(VALU_DEP_1)
	v_bfe_u32 v9, v68, 23, 1
; %bb.451:                              ;   in Loop: Header=BB4_144 Depth=3
	s_or_b32 exec_lo, exec_lo, s13
	v_lshrrev_b32_e32 v68, 21, v68
	s_delay_alu instid0(VALU_DEP_2) | instskip(SKIP_2) | instid1(VALU_DEP_4)
	v_cmp_gt_i32_e32 vcc_lo, 32, v9
	v_lshrrev_b32_e32 v8, 24, v8
	v_min_i32_e32 v177, 31, v9
	v_cndmask_b32_e32 v68, 3, v68, vcc_lo
	s_delay_alu instid0(VALU_DEP_3) | instskip(NEXT) | instid1(VALU_DEP_3)
	v_and_b32_e32 v8, 0x80, v8
	v_lshlrev_b32_e32 v177, 2, v177
	s_delay_alu instid0(VALU_DEP_3) | instskip(SKIP_1) | instid1(VALU_DEP_2)
	v_and_b32_e32 v178, 3, v68
	v_or_b32_e32 v9, v9, v68
	v_or3_b32 v8, v177, v8, v178
	s_delay_alu instid0(VALU_DEP_2) | instskip(NEXT) | instid1(VALU_DEP_2)
	v_cmp_ne_u32_e32 vcc_lo, 0, v9
	v_cndmask_b32_e32 v177, 0, v8, vcc_lo
.LBB4_452:                              ;   in Loop: Header=BB4_144 Depth=3
	s_or_b32 exec_lo, exec_lo, s36
.LBB4_453:                              ;   in Loop: Header=BB4_144 Depth=3
	s_delay_alu instid0(SALU_CYCLE_1) | instskip(SKIP_3) | instid1(VALU_DEP_1)
	s_or_b32 exec_lo, exec_lo, s35
	v_lshrrev_b16 v8, 8, v10
	s_mov_b32 s13, 0
	s_mov_b32 s36, exec_lo
                                        ; implicit-def: $sgpr35
	v_cmpx_lt_i16_e32 0x7f, v8
	s_xor_b32 s36, exec_lo, s36
	s_cbranch_execnz .LBB4_1019
; %bb.454:                              ;   in Loop: Header=BB4_144 Depth=3
	s_or_saveexec_b32 s36, s36
	v_mov_b32_e32 v9, s35
	s_xor_b32 exec_lo, exec_lo, s36
	s_cbranch_execnz .LBB4_1022
.LBB4_455:                              ;   in Loop: Header=BB4_144 Depth=3
	s_or_b32 exec_lo, exec_lo, s36
	s_and_saveexec_b32 s35, s13
	s_cbranch_execz .LBB4_457
.LBB4_456:                              ;   in Loop: Header=BB4_144 Depth=3
	v_and_b32_e32 v9, 0xffff, v8
	v_lshlrev_b32_e32 v8, 24, v8
	s_delay_alu instid0(VALU_DEP_2) | instskip(NEXT) | instid1(VALU_DEP_2)
	v_and_b32_e32 v68, 3, v9
	v_and_b32_e32 v8, 0x80000000, v8
	s_delay_alu instid0(VALU_DEP_2) | instskip(NEXT) | instid1(VALU_DEP_1)
	v_clz_i32_u32_e32 v178, v68
	v_min_u32_e32 v178, 32, v178
	s_delay_alu instid0(VALU_DEP_1) | instskip(SKIP_1) | instid1(VALU_DEP_2)
	v_subrev_nc_u32_e32 v179, 29, v178
	v_sub_nc_u32_e32 v178, 30, v178
	v_lshlrev_b32_e32 v179, v179, v9
	v_bfe_u32 v9, v9, 2, 5
	s_delay_alu instid0(VALU_DEP_2) | instskip(NEXT) | instid1(VALU_DEP_2)
	v_and_b32_e32 v179, 3, v179
	v_cmp_eq_u32_e32 vcc_lo, 0, v9
	s_delay_alu instid0(VALU_DEP_2) | instskip(NEXT) | instid1(VALU_DEP_1)
	v_dual_cndmask_b32 v9, v9, v178 :: v_dual_cndmask_b32 v68, v68, v179
	v_lshl_add_u32 v9, v9, 23, 0x37800000
	s_delay_alu instid0(VALU_DEP_2) | instskip(NEXT) | instid1(VALU_DEP_1)
	v_lshlrev_b32_e32 v68, 21, v68
	v_or3_b32 v9, v8, v9, v68
.LBB4_457:                              ;   in Loop: Header=BB4_144 Depth=3
	s_or_b32 exec_lo, exec_lo, s35
	s_delay_alu instid0(VALU_DEP_1) | instskip(SKIP_2) | instid1(VALU_DEP_2)
	v_mul_f32_e32 v8, s34, v9
	v_mov_b32_e32 v178, 0x80
	s_mov_b32 s35, exec_lo
	v_and_b32_e32 v9, 0x7f800000, v8
	s_delay_alu instid0(VALU_DEP_1)
	v_cmpx_ne_u32_e32 0x7f800000, v9
	s_cbranch_execz .LBB4_465
; %bb.458:                              ;   in Loop: Header=BB4_144 Depth=3
	v_mov_b32_e32 v178, 0
	s_mov_b32 s36, exec_lo
	v_cmpx_ne_u32_e32 0, v8
	s_cbranch_execz .LBB4_464
; %bb.459:                              ;   in Loop: Header=BB4_144 Depth=3
	v_bfe_u32 v9, v8, 23, 8
	v_and_b32_e32 v68, 0x7fffff, v8
	s_delay_alu instid0(VALU_DEP_2) | instskip(SKIP_1) | instid1(VALU_DEP_3)
	v_sub_nc_u32_e32 v178, 0x70, v9
	v_cmp_gt_u32_e32 vcc_lo, 0x71, v9
	v_or_b32_e32 v179, 0x800000, v68
	s_delay_alu instid0(VALU_DEP_3) | instskip(SKIP_2) | instid1(VALU_DEP_3)
	v_cndmask_b32_e32 v178, 0, v178, vcc_lo
	v_cmp_eq_u32_e32 vcc_lo, 0, v9
	v_add_nc_u32_e32 v9, 0xffffff91, v9
	v_cndmask_b32_e64 v178, v178, 0x6f, vcc_lo
	v_cndmask_b32_e32 v68, v179, v68, vcc_lo
	s_delay_alu instid0(VALU_DEP_3) | instskip(NEXT) | instid1(VALU_DEP_3)
	v_cndmask_b32_e64 v9, v9, 0xffffff92, vcc_lo
	v_lshl_add_u32 v179, 0x200000, v178, -1
	s_delay_alu instid0(VALU_DEP_3) | instskip(SKIP_1) | instid1(VALU_DEP_4)
	v_lshrrev_b32_e32 v180, v178, v68
	v_lshlrev_b32_e64 v182, v178, 0x100000
	v_add_nc_u32_e32 v178, v178, v9
	s_delay_alu instid0(VALU_DEP_4) | instskip(NEXT) | instid1(VALU_DEP_4)
	v_and_b32_e32 v68, v179, v68
	v_bfe_u32 v181, v180, 21, 1
	s_delay_alu instid0(VALU_DEP_2) | instskip(NEXT) | instid1(VALU_DEP_2)
	v_cmp_eq_u32_e64 s13, v68, v182
	v_add_nc_u32_e32 v179, -1, v181
	s_delay_alu instid0(VALU_DEP_1) | instskip(SKIP_2) | instid1(VALU_DEP_2)
	v_cndmask_b32_e64 v68, 0, v179, s13
	v_lshrrev_b32_e32 v179, 23, v180
	s_mov_b32 s13, exec_lo
	v_add_nc_u32_e32 v68, v68, v180
	s_delay_alu instid0(VALU_DEP_2) | instskip(NEXT) | instid1(VALU_DEP_2)
	v_xor_b32_e32 v179, 1, v179
	v_and_b32_e32 v9, 0x1fffff, v68
	s_delay_alu instid0(VALU_DEP_1) | instskip(NEXT) | instid1(VALU_DEP_3)
	v_add_nc_u32_e32 v68, v9, v180
                                        ; implicit-def: $vgpr9
	v_cmpx_ne_u32_e64 v178, v179
	s_xor_b32 s13, exec_lo, s13
; %bb.460:                              ;   in Loop: Header=BB4_144 Depth=3
	s_delay_alu instid0(VALU_DEP_2) | instskip(SKIP_2) | instid1(VALU_DEP_2)
	v_cmp_lt_u32_e32 vcc_lo, 0xffffff, v68
	v_sub_nc_u32_e32 v9, v178, v179
	v_cndmask_b32_e64 v178, 0, 1, vcc_lo
	v_add_co_ci_u32_e32 v9, vcc_lo, 0, v9, vcc_lo
	s_delay_alu instid0(VALU_DEP_2)
	v_lshrrev_b32_e32 v68, v178, v68
; %bb.461:                              ;   in Loop: Header=BB4_144 Depth=3
	s_and_not1_saveexec_b32 s13, s13
; %bb.462:                              ;   in Loop: Header=BB4_144 Depth=3
	s_delay_alu instid0(VALU_DEP_1)
	v_bfe_u32 v9, v68, 23, 1
; %bb.463:                              ;   in Loop: Header=BB4_144 Depth=3
	s_or_b32 exec_lo, exec_lo, s13
	v_lshrrev_b32_e32 v68, 21, v68
	s_delay_alu instid0(VALU_DEP_2) | instskip(SKIP_2) | instid1(VALU_DEP_4)
	v_cmp_gt_i32_e32 vcc_lo, 32, v9
	v_lshrrev_b32_e32 v8, 24, v8
	v_min_i32_e32 v178, 31, v9
	v_cndmask_b32_e32 v68, 3, v68, vcc_lo
	s_delay_alu instid0(VALU_DEP_3) | instskip(NEXT) | instid1(VALU_DEP_3)
	v_and_b32_e32 v8, 0x80, v8
	v_lshlrev_b32_e32 v178, 2, v178
	s_delay_alu instid0(VALU_DEP_3) | instskip(SKIP_1) | instid1(VALU_DEP_2)
	v_and_b32_e32 v179, 3, v68
	v_or_b32_e32 v9, v9, v68
	v_or3_b32 v8, v178, v8, v179
	s_delay_alu instid0(VALU_DEP_2) | instskip(NEXT) | instid1(VALU_DEP_2)
	v_cmp_ne_u32_e32 vcc_lo, 0, v9
	v_cndmask_b32_e32 v178, 0, v8, vcc_lo
.LBB4_464:                              ;   in Loop: Header=BB4_144 Depth=3
	s_or_b32 exec_lo, exec_lo, s36
.LBB4_465:                              ;   in Loop: Header=BB4_144 Depth=3
	s_delay_alu instid0(SALU_CYCLE_1) | instskip(SKIP_3) | instid1(VALU_DEP_1)
	s_or_b32 exec_lo, exec_lo, s35
	v_lshrrev_b32_e32 v8, 16, v10
	s_mov_b32 s13, 0
	s_mov_b32 s36, exec_lo
                                        ; implicit-def: $sgpr35
	v_and_b32_e32 v68, 0xff, v8
	s_delay_alu instid0(VALU_DEP_1)
	v_cmpx_lt_i16_e32 0x7f, v68
	s_xor_b32 s36, exec_lo, s36
	s_cbranch_execnz .LBB4_1023
; %bb.466:                              ;   in Loop: Header=BB4_144 Depth=3
	s_or_saveexec_b32 s36, s36
	v_mov_b32_e32 v9, s35
	s_xor_b32 exec_lo, exec_lo, s36
	s_cbranch_execnz .LBB4_1026
.LBB4_467:                              ;   in Loop: Header=BB4_144 Depth=3
	s_or_b32 exec_lo, exec_lo, s36
	s_and_saveexec_b32 s35, s13
	s_cbranch_execz .LBB4_469
.LBB4_468:                              ;   in Loop: Header=BB4_144 Depth=3
	v_bfe_u32 v9, v10, 16, 2
	v_lshlrev_b32_e32 v180, 8, v10
	s_delay_alu instid0(VALU_DEP_2) | instskip(NEXT) | instid1(VALU_DEP_1)
	v_clz_i32_u32_e32 v68, v9
	v_min_u32_e32 v68, 32, v68
	s_delay_alu instid0(VALU_DEP_1) | instskip(SKIP_1) | instid1(VALU_DEP_2)
	v_subrev_nc_u32_e32 v179, 29, v68
	v_sub_nc_u32_e32 v68, 30, v68
	v_lshlrev_b32_e32 v8, v179, v8
	v_bfe_u32 v179, v10, 18, 5
	s_delay_alu instid0(VALU_DEP_2) | instskip(NEXT) | instid1(VALU_DEP_2)
	v_and_b32_e32 v8, 3, v8
	v_cmp_eq_u32_e32 vcc_lo, 0, v179
	v_cndmask_b32_e32 v68, v179, v68, vcc_lo
	s_delay_alu instid0(VALU_DEP_3) | instskip(SKIP_1) | instid1(VALU_DEP_3)
	v_cndmask_b32_e32 v8, v9, v8, vcc_lo
	v_and_b32_e32 v9, 0x80000000, v180
	v_lshl_add_u32 v68, v68, 23, 0x37800000
	s_delay_alu instid0(VALU_DEP_3) | instskip(NEXT) | instid1(VALU_DEP_1)
	v_lshlrev_b32_e32 v8, 21, v8
	v_or3_b32 v9, v9, v68, v8
.LBB4_469:                              ;   in Loop: Header=BB4_144 Depth=3
	s_or_b32 exec_lo, exec_lo, s35
	s_delay_alu instid0(VALU_DEP_1) | instskip(SKIP_1) | instid1(VALU_DEP_1)
	v_dual_mul_f32 v8, s34, v9 :: v_dual_mov_b32 v179, 0x80
	s_mov_b32 s35, exec_lo
	v_and_b32_e32 v9, 0x7f800000, v8
	s_delay_alu instid0(VALU_DEP_1)
	v_cmpx_ne_u32_e32 0x7f800000, v9
	s_cbranch_execz .LBB4_477
; %bb.470:                              ;   in Loop: Header=BB4_144 Depth=3
	v_mov_b32_e32 v179, 0
	s_mov_b32 s36, exec_lo
	v_cmpx_ne_u32_e32 0, v8
	s_cbranch_execz .LBB4_476
; %bb.471:                              ;   in Loop: Header=BB4_144 Depth=3
	v_bfe_u32 v9, v8, 23, 8
	s_delay_alu instid0(VALU_DEP_1) | instskip(SKIP_1) | instid1(VALU_DEP_2)
	v_sub_nc_u32_e32 v179, 0x70, v9
	v_cmp_gt_u32_e32 vcc_lo, 0x71, v9
	v_dual_cndmask_b32 v179, 0, v179 :: v_dual_and_b32 v68, 0x7fffff, v8
	s_delay_alu instid0(VALU_DEP_1) | instskip(SKIP_2) | instid1(VALU_DEP_4)
	v_or_b32_e32 v180, 0x800000, v68
	v_cmp_eq_u32_e32 vcc_lo, 0, v9
	v_add_nc_u32_e32 v9, 0xffffff91, v9
	v_cndmask_b32_e64 v179, v179, 0x6f, vcc_lo
	s_delay_alu instid0(VALU_DEP_4) | instskip(NEXT) | instid1(VALU_DEP_3)
	v_cndmask_b32_e32 v68, v180, v68, vcc_lo
	v_cndmask_b32_e64 v9, v9, 0xffffff92, vcc_lo
	s_delay_alu instid0(VALU_DEP_3) | instskip(NEXT) | instid1(VALU_DEP_3)
	v_lshl_add_u32 v180, 0x200000, v179, -1
	v_lshrrev_b32_e32 v181, v179, v68
	v_lshlrev_b32_e64 v183, v179, 0x100000
	s_delay_alu instid0(VALU_DEP_4) | instskip(NEXT) | instid1(VALU_DEP_4)
	v_add_nc_u32_e32 v179, v179, v9
	v_and_b32_e32 v68, v180, v68
	s_delay_alu instid0(VALU_DEP_4) | instskip(NEXT) | instid1(VALU_DEP_2)
	v_bfe_u32 v182, v181, 21, 1
	v_cmp_eq_u32_e64 s13, v68, v183
	s_delay_alu instid0(VALU_DEP_2) | instskip(NEXT) | instid1(VALU_DEP_1)
	v_add_nc_u32_e32 v180, -1, v182
	v_cndmask_b32_e64 v68, 0, v180, s13
	v_lshrrev_b32_e32 v180, 23, v181
	s_mov_b32 s13, exec_lo
	s_delay_alu instid0(VALU_DEP_2) | instskip(NEXT) | instid1(VALU_DEP_2)
	v_add_nc_u32_e32 v68, v68, v181
	v_xor_b32_e32 v180, 1, v180
	s_delay_alu instid0(VALU_DEP_2) | instskip(NEXT) | instid1(VALU_DEP_1)
	v_and_b32_e32 v9, 0x1fffff, v68
	v_add_nc_u32_e32 v68, v9, v181
                                        ; implicit-def: $vgpr9
	s_delay_alu instid0(VALU_DEP_3)
	v_cmpx_ne_u32_e64 v179, v180
	s_xor_b32 s13, exec_lo, s13
; %bb.472:                              ;   in Loop: Header=BB4_144 Depth=3
	s_delay_alu instid0(VALU_DEP_2) | instskip(SKIP_2) | instid1(VALU_DEP_2)
	v_cmp_lt_u32_e32 vcc_lo, 0xffffff, v68
	v_sub_nc_u32_e32 v9, v179, v180
	v_cndmask_b32_e64 v179, 0, 1, vcc_lo
	v_add_co_ci_u32_e32 v9, vcc_lo, 0, v9, vcc_lo
	s_delay_alu instid0(VALU_DEP_2)
	v_lshrrev_b32_e32 v68, v179, v68
; %bb.473:                              ;   in Loop: Header=BB4_144 Depth=3
	s_and_not1_saveexec_b32 s13, s13
; %bb.474:                              ;   in Loop: Header=BB4_144 Depth=3
	s_delay_alu instid0(VALU_DEP_1)
	v_bfe_u32 v9, v68, 23, 1
; %bb.475:                              ;   in Loop: Header=BB4_144 Depth=3
	s_or_b32 exec_lo, exec_lo, s13
	v_lshrrev_b32_e32 v68, 21, v68
	s_delay_alu instid0(VALU_DEP_2) | instskip(SKIP_2) | instid1(VALU_DEP_4)
	v_cmp_gt_i32_e32 vcc_lo, 32, v9
	v_lshrrev_b32_e32 v8, 24, v8
	v_min_i32_e32 v179, 31, v9
	v_cndmask_b32_e32 v68, 3, v68, vcc_lo
	s_delay_alu instid0(VALU_DEP_3) | instskip(NEXT) | instid1(VALU_DEP_3)
	v_and_b32_e32 v8, 0x80, v8
	v_lshlrev_b32_e32 v179, 2, v179
	s_delay_alu instid0(VALU_DEP_3) | instskip(SKIP_1) | instid1(VALU_DEP_2)
	v_and_b32_e32 v180, 3, v68
	v_or_b32_e32 v9, v9, v68
	v_or3_b32 v8, v179, v8, v180
	s_delay_alu instid0(VALU_DEP_2) | instskip(NEXT) | instid1(VALU_DEP_2)
	v_cmp_ne_u32_e32 vcc_lo, 0, v9
	v_cndmask_b32_e32 v179, 0, v8, vcc_lo
.LBB4_476:                              ;   in Loop: Header=BB4_144 Depth=3
	s_or_b32 exec_lo, exec_lo, s36
.LBB4_477:                              ;   in Loop: Header=BB4_144 Depth=3
	s_delay_alu instid0(SALU_CYCLE_1) | instskip(SKIP_3) | instid1(VALU_DEP_1)
	s_or_b32 exec_lo, exec_lo, s35
	v_lshrrev_b32_e32 v8, 24, v10
	s_mov_b32 s13, 0
	s_mov_b32 s36, exec_lo
                                        ; implicit-def: $sgpr35
	v_cmpx_lt_i16_e32 0x7f, v8
	s_xor_b32 s36, exec_lo, s36
	s_cbranch_execnz .LBB4_1027
; %bb.478:                              ;   in Loop: Header=BB4_144 Depth=3
	s_or_saveexec_b32 s36, s36
	v_mov_b32_e32 v9, s35
	s_xor_b32 exec_lo, exec_lo, s36
	s_cbranch_execnz .LBB4_1030
.LBB4_479:                              ;   in Loop: Header=BB4_144 Depth=3
	s_or_b32 exec_lo, exec_lo, s36
	s_and_saveexec_b32 s35, s13
	s_cbranch_execz .LBB4_481
.LBB4_480:                              ;   in Loop: Header=BB4_144 Depth=3
	v_bfe_u32 v9, v10, 24, 2
	s_delay_alu instid0(VALU_DEP_1) | instskip(NEXT) | instid1(VALU_DEP_1)
	v_clz_i32_u32_e32 v68, v9
	v_min_u32_e32 v68, 32, v68
	s_delay_alu instid0(VALU_DEP_1) | instskip(SKIP_1) | instid1(VALU_DEP_2)
	v_subrev_nc_u32_e32 v180, 29, v68
	v_sub_nc_u32_e32 v68, 30, v68
	v_lshlrev_b32_e32 v8, v180, v8
	v_bfe_u32 v180, v10, 26, 5
	s_delay_alu instid0(VALU_DEP_2) | instskip(NEXT) | instid1(VALU_DEP_2)
	v_and_b32_e32 v8, 3, v8
	v_cmp_eq_u32_e32 vcc_lo, 0, v180
	v_cndmask_b32_e32 v68, v180, v68, vcc_lo
	s_delay_alu instid0(VALU_DEP_3) | instskip(NEXT) | instid1(VALU_DEP_2)
	v_dual_cndmask_b32 v8, v9, v8 :: v_dual_and_b32 v9, 0x80000000, v10
	v_lshl_add_u32 v10, v68, 23, 0x37800000
	s_delay_alu instid0(VALU_DEP_2) | instskip(NEXT) | instid1(VALU_DEP_1)
	v_lshlrev_b32_e32 v8, 21, v8
	v_or3_b32 v9, v9, v10, v8
.LBB4_481:                              ;   in Loop: Header=BB4_144 Depth=3
	s_or_b32 exec_lo, exec_lo, s35
	s_delay_alu instid0(VALU_DEP_1) | instskip(SKIP_2) | instid1(VALU_DEP_2)
	v_mul_f32_e32 v8, s34, v9
	v_mov_b32_e32 v180, 0x80
	s_mov_b32 s35, exec_lo
	v_and_b32_e32 v9, 0x7f800000, v8
	s_delay_alu instid0(VALU_DEP_1)
	v_cmpx_ne_u32_e32 0x7f800000, v9
	s_cbranch_execz .LBB4_489
; %bb.482:                              ;   in Loop: Header=BB4_144 Depth=3
	v_mov_b32_e32 v180, 0
	s_mov_b32 s36, exec_lo
	v_cmpx_ne_u32_e32 0, v8
	s_cbranch_execz .LBB4_488
; %bb.483:                              ;   in Loop: Header=BB4_144 Depth=3
	v_bfe_u32 v9, v8, 23, 8
	v_and_b32_e32 v10, 0x7fffff, v8
	s_delay_alu instid0(VALU_DEP_2) | instskip(SKIP_1) | instid1(VALU_DEP_3)
	v_sub_nc_u32_e32 v68, 0x70, v9
	v_cmp_gt_u32_e32 vcc_lo, 0x71, v9
	v_or_b32_e32 v180, 0x800000, v10
	s_delay_alu instid0(VALU_DEP_3) | instskip(SKIP_2) | instid1(VALU_DEP_3)
	v_cndmask_b32_e32 v68, 0, v68, vcc_lo
	v_cmp_eq_u32_e32 vcc_lo, 0, v9
	v_add_nc_u32_e32 v9, 0xffffff91, v9
	v_cndmask_b32_e64 v68, v68, 0x6f, vcc_lo
	v_cndmask_b32_e32 v10, v180, v10, vcc_lo
	s_delay_alu instid0(VALU_DEP_3) | instskip(NEXT) | instid1(VALU_DEP_3)
	v_cndmask_b32_e64 v9, v9, 0xffffff92, vcc_lo
	v_lshl_add_u32 v180, 0x200000, v68, -1
	s_delay_alu instid0(VALU_DEP_3) | instskip(SKIP_1) | instid1(VALU_DEP_4)
	v_lshrrev_b32_e32 v181, v68, v10
	v_lshlrev_b32_e64 v183, v68, 0x100000
	v_add_nc_u32_e32 v68, v68, v9
	s_delay_alu instid0(VALU_DEP_4) | instskip(NEXT) | instid1(VALU_DEP_4)
	v_and_b32_e32 v10, v180, v10
	v_bfe_u32 v182, v181, 21, 1
	s_delay_alu instid0(VALU_DEP_2) | instskip(NEXT) | instid1(VALU_DEP_2)
	v_cmp_eq_u32_e64 s13, v10, v183
	v_add_nc_u32_e32 v180, -1, v182
	s_delay_alu instid0(VALU_DEP_1) | instskip(SKIP_2) | instid1(VALU_DEP_2)
	v_cndmask_b32_e64 v10, 0, v180, s13
	v_lshrrev_b32_e32 v180, 23, v181
	s_mov_b32 s13, exec_lo
	v_add_nc_u32_e32 v10, v10, v181
	s_delay_alu instid0(VALU_DEP_2) | instskip(NEXT) | instid1(VALU_DEP_2)
	v_xor_b32_e32 v180, 1, v180
	v_and_b32_e32 v9, 0x1fffff, v10
	s_delay_alu instid0(VALU_DEP_1) | instskip(NEXT) | instid1(VALU_DEP_3)
	v_add_nc_u32_e32 v10, v9, v181
                                        ; implicit-def: $vgpr9
	v_cmpx_ne_u32_e64 v68, v180
	s_xor_b32 s13, exec_lo, s13
; %bb.484:                              ;   in Loop: Header=BB4_144 Depth=3
	s_delay_alu instid0(VALU_DEP_2) | instskip(SKIP_2) | instid1(VALU_DEP_2)
	v_cmp_lt_u32_e32 vcc_lo, 0xffffff, v10
	v_sub_nc_u32_e32 v9, v68, v180
	v_cndmask_b32_e64 v68, 0, 1, vcc_lo
	v_add_co_ci_u32_e32 v9, vcc_lo, 0, v9, vcc_lo
	s_delay_alu instid0(VALU_DEP_2)
	v_lshrrev_b32_e32 v10, v68, v10
; %bb.485:                              ;   in Loop: Header=BB4_144 Depth=3
	s_and_not1_saveexec_b32 s13, s13
; %bb.486:                              ;   in Loop: Header=BB4_144 Depth=3
	s_delay_alu instid0(VALU_DEP_1)
	v_bfe_u32 v9, v10, 23, 1
; %bb.487:                              ;   in Loop: Header=BB4_144 Depth=3
	s_or_b32 exec_lo, exec_lo, s13
	v_lshrrev_b32_e32 v10, 21, v10
	s_delay_alu instid0(VALU_DEP_2) | instskip(SKIP_2) | instid1(VALU_DEP_4)
	v_cmp_gt_i32_e32 vcc_lo, 32, v9
	v_lshrrev_b32_e32 v8, 24, v8
	v_min_i32_e32 v68, 31, v9
	v_cndmask_b32_e32 v10, 3, v10, vcc_lo
	s_delay_alu instid0(VALU_DEP_3) | instskip(NEXT) | instid1(VALU_DEP_3)
	v_and_b32_e32 v8, 0x80, v8
	v_lshlrev_b32_e32 v68, 2, v68
	s_delay_alu instid0(VALU_DEP_3) | instskip(SKIP_1) | instid1(VALU_DEP_2)
	v_and_b32_e32 v180, 3, v10
	v_or_b32_e32 v9, v9, v10
	v_or3_b32 v8, v68, v8, v180
	s_delay_alu instid0(VALU_DEP_2) | instskip(NEXT) | instid1(VALU_DEP_2)
	v_cmp_ne_u32_e32 vcc_lo, 0, v9
	v_cndmask_b32_e32 v180, 0, v8, vcc_lo
.LBB4_488:                              ;   in Loop: Header=BB4_144 Depth=3
	s_or_b32 exec_lo, exec_lo, s36
.LBB4_489:                              ;   in Loop: Header=BB4_144 Depth=3
	s_delay_alu instid0(SALU_CYCLE_1) | instskip(SKIP_3) | instid1(VALU_DEP_1)
	s_or_b32 exec_lo, exec_lo, s35
	v_and_b32_e32 v9, 0xff, v11
	s_mov_b32 s13, 0
	s_mov_b32 s36, exec_lo
                                        ; implicit-def: $sgpr35
	v_cmpx_lt_i16_e32 0x7f, v9
	s_xor_b32 s36, exec_lo, s36
	s_cbranch_execnz .LBB4_1031
; %bb.490:                              ;   in Loop: Header=BB4_144 Depth=3
	s_or_saveexec_b32 s36, s36
	v_mov_b32_e32 v8, s35
	s_xor_b32 exec_lo, exec_lo, s36
	s_cbranch_execnz .LBB4_1034
.LBB4_491:                              ;   in Loop: Header=BB4_144 Depth=3
	s_or_b32 exec_lo, exec_lo, s36
	s_and_saveexec_b32 s35, s13
	s_cbranch_execz .LBB4_493
.LBB4_492:                              ;   in Loop: Header=BB4_144 Depth=3
	v_bfe_u32 v68, v11, 2, 5
	s_delay_alu instid0(VALU_DEP_1) | instskip(SKIP_1) | instid1(VALU_DEP_1)
	v_cmp_eq_u32_e32 vcc_lo, 0, v68
	v_and_b32_e32 v8, 3, v11
	v_clz_i32_u32_e32 v9, v8
	s_delay_alu instid0(VALU_DEP_1) | instskip(NEXT) | instid1(VALU_DEP_1)
	v_min_u32_e32 v9, 32, v9
	v_subrev_nc_u32_e32 v10, 29, v9
	v_sub_nc_u32_e32 v9, 30, v9
	s_delay_alu instid0(VALU_DEP_1) | instskip(NEXT) | instid1(VALU_DEP_1)
	v_dual_cndmask_b32 v9, v68, v9 :: v_dual_lshlrev_b32 v10, v10, v11
	v_and_b32_e32 v10, 3, v10
	v_lshlrev_b32_e32 v181, 24, v11
	s_delay_alu instid0(VALU_DEP_3) | instskip(NEXT) | instid1(VALU_DEP_3)
	v_lshl_add_u32 v9, v9, 23, 0x37800000
	v_cndmask_b32_e32 v8, v8, v10, vcc_lo
	s_delay_alu instid0(VALU_DEP_3) | instskip(NEXT) | instid1(VALU_DEP_2)
	v_and_b32_e32 v10, 0x80000000, v181
	v_lshlrev_b32_e32 v8, 21, v8
	s_delay_alu instid0(VALU_DEP_1)
	v_or3_b32 v8, v10, v9, v8
.LBB4_493:                              ;   in Loop: Header=BB4_144 Depth=3
	s_or_b32 exec_lo, exec_lo, s35
	s_delay_alu instid0(VALU_DEP_1) | instskip(SKIP_1) | instid1(VALU_DEP_1)
	v_dual_mul_f32 v8, s34, v8 :: v_dual_mov_b32 v181, 0x80
	s_mov_b32 s35, exec_lo
	v_and_b32_e32 v9, 0x7f800000, v8
	s_delay_alu instid0(VALU_DEP_1)
	v_cmpx_ne_u32_e32 0x7f800000, v9
	s_cbranch_execz .LBB4_501
; %bb.494:                              ;   in Loop: Header=BB4_144 Depth=3
	v_mov_b32_e32 v181, 0
	s_mov_b32 s36, exec_lo
	v_cmpx_ne_u32_e32 0, v8
	s_cbranch_execz .LBB4_500
; %bb.495:                              ;   in Loop: Header=BB4_144 Depth=3
	v_bfe_u32 v9, v8, 23, 8
	v_and_b32_e32 v10, 0x7fffff, v8
	s_delay_alu instid0(VALU_DEP_2) | instskip(SKIP_1) | instid1(VALU_DEP_3)
	v_sub_nc_u32_e32 v68, 0x70, v9
	v_cmp_gt_u32_e32 vcc_lo, 0x71, v9
	v_or_b32_e32 v181, 0x800000, v10
	s_delay_alu instid0(VALU_DEP_3) | instskip(SKIP_2) | instid1(VALU_DEP_3)
	v_cndmask_b32_e32 v68, 0, v68, vcc_lo
	v_cmp_eq_u32_e32 vcc_lo, 0, v9
	v_add_nc_u32_e32 v9, 0xffffff91, v9
	v_cndmask_b32_e64 v68, v68, 0x6f, vcc_lo
	v_cndmask_b32_e32 v10, v181, v10, vcc_lo
	s_delay_alu instid0(VALU_DEP_3) | instskip(NEXT) | instid1(VALU_DEP_3)
	v_cndmask_b32_e64 v9, v9, 0xffffff92, vcc_lo
	v_lshl_add_u32 v181, 0x200000, v68, -1
	s_delay_alu instid0(VALU_DEP_3) | instskip(SKIP_1) | instid1(VALU_DEP_4)
	v_lshrrev_b32_e32 v182, v68, v10
	v_lshlrev_b32_e64 v40, v68, 0x100000
	v_add_nc_u32_e32 v68, v68, v9
	s_delay_alu instid0(VALU_DEP_4) | instskip(NEXT) | instid1(VALU_DEP_4)
	v_and_b32_e32 v10, v181, v10
	v_bfe_u32 v183, v182, 21, 1
	s_delay_alu instid0(VALU_DEP_2) | instskip(NEXT) | instid1(VALU_DEP_2)
	v_cmp_eq_u32_e64 s13, v10, v40
	v_add_nc_u32_e32 v181, -1, v183
	s_delay_alu instid0(VALU_DEP_1) | instskip(SKIP_2) | instid1(VALU_DEP_2)
	v_cndmask_b32_e64 v10, 0, v181, s13
	v_lshrrev_b32_e32 v181, 23, v182
	s_mov_b32 s13, exec_lo
	v_add_nc_u32_e32 v10, v10, v182
	s_delay_alu instid0(VALU_DEP_2) | instskip(NEXT) | instid1(VALU_DEP_2)
	v_xor_b32_e32 v181, 1, v181
	v_and_b32_e32 v9, 0x1fffff, v10
	s_delay_alu instid0(VALU_DEP_1) | instskip(NEXT) | instid1(VALU_DEP_3)
	v_add_nc_u32_e32 v10, v9, v182
                                        ; implicit-def: $vgpr9
	v_cmpx_ne_u32_e64 v68, v181
	s_xor_b32 s13, exec_lo, s13
; %bb.496:                              ;   in Loop: Header=BB4_144 Depth=3
	s_delay_alu instid0(VALU_DEP_2) | instskip(SKIP_2) | instid1(VALU_DEP_2)
	v_cmp_lt_u32_e32 vcc_lo, 0xffffff, v10
	v_sub_nc_u32_e32 v9, v68, v181
	v_cndmask_b32_e64 v68, 0, 1, vcc_lo
	v_add_co_ci_u32_e32 v9, vcc_lo, 0, v9, vcc_lo
	s_delay_alu instid0(VALU_DEP_2)
	v_lshrrev_b32_e32 v10, v68, v10
; %bb.497:                              ;   in Loop: Header=BB4_144 Depth=3
	s_and_not1_saveexec_b32 s13, s13
; %bb.498:                              ;   in Loop: Header=BB4_144 Depth=3
	s_delay_alu instid0(VALU_DEP_1)
	v_bfe_u32 v9, v10, 23, 1
; %bb.499:                              ;   in Loop: Header=BB4_144 Depth=3
	s_or_b32 exec_lo, exec_lo, s13
	v_lshrrev_b32_e32 v10, 21, v10
	s_delay_alu instid0(VALU_DEP_2) | instskip(SKIP_2) | instid1(VALU_DEP_3)
	v_min_i32_e32 v68, 31, v9
	v_cmp_gt_i32_e32 vcc_lo, 32, v9
	v_lshrrev_b32_e32 v8, 24, v8
	v_lshlrev_b32_e32 v68, 2, v68
	v_cndmask_b32_e32 v10, 3, v10, vcc_lo
	s_delay_alu instid0(VALU_DEP_3) | instskip(NEXT) | instid1(VALU_DEP_3)
	v_and_b32_e32 v8, 0x80, v8
	v_and_b32_e32 v68, 0xfc, v68
	s_delay_alu instid0(VALU_DEP_3) | instskip(SKIP_1) | instid1(VALU_DEP_2)
	v_and_b32_e32 v181, 3, v10
	v_or_b32_e32 v9, v9, v10
	v_or3_b32 v8, v68, v8, v181
	s_delay_alu instid0(VALU_DEP_2) | instskip(NEXT) | instid1(VALU_DEP_2)
	v_cmp_ne_u32_e32 vcc_lo, 0, v9
	v_cndmask_b32_e32 v181, 0, v8, vcc_lo
.LBB4_500:                              ;   in Loop: Header=BB4_144 Depth=3
	s_or_b32 exec_lo, exec_lo, s36
.LBB4_501:                              ;   in Loop: Header=BB4_144 Depth=3
	s_delay_alu instid0(SALU_CYCLE_1) | instskip(SKIP_3) | instid1(VALU_DEP_1)
	s_or_b32 exec_lo, exec_lo, s35
	v_lshrrev_b16 v8, 8, v11
	s_mov_b32 s13, 0
	s_mov_b32 s36, exec_lo
                                        ; implicit-def: $sgpr35
	v_cmpx_lt_i16_e32 0x7f, v8
	s_xor_b32 s36, exec_lo, s36
	s_cbranch_execnz .LBB4_1035
; %bb.502:                              ;   in Loop: Header=BB4_144 Depth=3
	s_or_saveexec_b32 s36, s36
	v_mov_b32_e32 v9, s35
	s_xor_b32 exec_lo, exec_lo, s36
	s_cbranch_execnz .LBB4_1038
.LBB4_503:                              ;   in Loop: Header=BB4_144 Depth=3
	s_or_b32 exec_lo, exec_lo, s36
	s_and_saveexec_b32 s35, s13
	s_cbranch_execz .LBB4_505
.LBB4_504:                              ;   in Loop: Header=BB4_144 Depth=3
	v_and_b32_e32 v9, 0xffff, v8
	v_lshlrev_b32_e32 v8, 24, v8
	s_delay_alu instid0(VALU_DEP_2) | instskip(NEXT) | instid1(VALU_DEP_2)
	v_and_b32_e32 v10, 3, v9
	v_and_b32_e32 v8, 0x80000000, v8
	s_delay_alu instid0(VALU_DEP_2) | instskip(NEXT) | instid1(VALU_DEP_1)
	v_clz_i32_u32_e32 v68, v10
	v_min_u32_e32 v68, 32, v68
	s_delay_alu instid0(VALU_DEP_1) | instskip(SKIP_1) | instid1(VALU_DEP_2)
	v_subrev_nc_u32_e32 v182, 29, v68
	v_sub_nc_u32_e32 v68, 30, v68
	v_lshlrev_b32_e32 v182, v182, v9
	v_bfe_u32 v9, v9, 2, 5
	s_delay_alu instid0(VALU_DEP_2) | instskip(NEXT) | instid1(VALU_DEP_2)
	v_and_b32_e32 v182, 3, v182
	v_cmp_eq_u32_e32 vcc_lo, 0, v9
	s_delay_alu instid0(VALU_DEP_2) | instskip(NEXT) | instid1(VALU_DEP_1)
	v_dual_cndmask_b32 v9, v9, v68 :: v_dual_cndmask_b32 v10, v10, v182
	v_lshl_add_u32 v9, v9, 23, 0x37800000
	s_delay_alu instid0(VALU_DEP_2) | instskip(NEXT) | instid1(VALU_DEP_1)
	v_lshlrev_b32_e32 v10, 21, v10
	v_or3_b32 v9, v8, v9, v10
.LBB4_505:                              ;   in Loop: Header=BB4_144 Depth=3
	s_or_b32 exec_lo, exec_lo, s35
	s_delay_alu instid0(VALU_DEP_1) | instskip(SKIP_2) | instid1(VALU_DEP_2)
	v_mul_f32_e32 v8, s34, v9
	v_mov_b32_e32 v182, 0x8000
	s_mov_b32 s35, exec_lo
	v_and_b32_e32 v9, 0x7f800000, v8
	s_delay_alu instid0(VALU_DEP_1)
	v_cmpx_ne_u32_e32 0x7f800000, v9
	s_cbranch_execz .LBB4_513
; %bb.506:                              ;   in Loop: Header=BB4_144 Depth=3
	v_mov_b32_e32 v182, 0
	s_mov_b32 s36, exec_lo
	v_cmpx_ne_u32_e32 0, v8
	s_cbranch_execz .LBB4_512
; %bb.507:                              ;   in Loop: Header=BB4_144 Depth=3
	v_bfe_u32 v9, v8, 23, 8
	v_and_b32_e32 v10, 0x7fffff, v8
	s_delay_alu instid0(VALU_DEP_2) | instskip(SKIP_1) | instid1(VALU_DEP_3)
	v_sub_nc_u32_e32 v68, 0x70, v9
	v_cmp_gt_u32_e32 vcc_lo, 0x71, v9
	v_or_b32_e32 v182, 0x800000, v10
	s_delay_alu instid0(VALU_DEP_3) | instskip(SKIP_2) | instid1(VALU_DEP_3)
	v_cndmask_b32_e32 v68, 0, v68, vcc_lo
	v_cmp_eq_u32_e32 vcc_lo, 0, v9
	v_add_nc_u32_e32 v9, 0xffffff91, v9
	v_cndmask_b32_e64 v68, v68, 0x6f, vcc_lo
	v_cndmask_b32_e32 v10, v182, v10, vcc_lo
	s_delay_alu instid0(VALU_DEP_3) | instskip(NEXT) | instid1(VALU_DEP_3)
	v_cndmask_b32_e64 v9, v9, 0xffffff92, vcc_lo
	v_lshl_add_u32 v182, 0x200000, v68, -1
	s_delay_alu instid0(VALU_DEP_3) | instskip(SKIP_1) | instid1(VALU_DEP_4)
	v_lshrrev_b32_e32 v183, v68, v10
	v_lshlrev_b32_e64 v41, v68, 0x100000
	v_add_nc_u32_e32 v68, v68, v9
	s_delay_alu instid0(VALU_DEP_4) | instskip(NEXT) | instid1(VALU_DEP_4)
	v_and_b32_e32 v10, v182, v10
	v_bfe_u32 v40, v183, 21, 1
	s_delay_alu instid0(VALU_DEP_2) | instskip(NEXT) | instid1(VALU_DEP_2)
	v_cmp_eq_u32_e64 s13, v10, v41
	v_add_nc_u32_e32 v182, -1, v40
	s_delay_alu instid0(VALU_DEP_1) | instskip(SKIP_2) | instid1(VALU_DEP_2)
	v_cndmask_b32_e64 v10, 0, v182, s13
	v_lshrrev_b32_e32 v182, 23, v183
	s_mov_b32 s13, exec_lo
	v_add_nc_u32_e32 v10, v10, v183
	s_delay_alu instid0(VALU_DEP_2) | instskip(NEXT) | instid1(VALU_DEP_2)
	v_xor_b32_e32 v182, 1, v182
	v_and_b32_e32 v9, 0x1fffff, v10
	s_delay_alu instid0(VALU_DEP_1) | instskip(NEXT) | instid1(VALU_DEP_3)
	v_add_nc_u32_e32 v10, v9, v183
                                        ; implicit-def: $vgpr9
	v_cmpx_ne_u32_e64 v68, v182
	s_xor_b32 s13, exec_lo, s13
; %bb.508:                              ;   in Loop: Header=BB4_144 Depth=3
	s_delay_alu instid0(VALU_DEP_2) | instskip(SKIP_2) | instid1(VALU_DEP_2)
	v_cmp_lt_u32_e32 vcc_lo, 0xffffff, v10
	v_sub_nc_u32_e32 v9, v68, v182
	v_cndmask_b32_e64 v68, 0, 1, vcc_lo
	v_add_co_ci_u32_e32 v9, vcc_lo, 0, v9, vcc_lo
	s_delay_alu instid0(VALU_DEP_2)
	v_lshrrev_b32_e32 v10, v68, v10
; %bb.509:                              ;   in Loop: Header=BB4_144 Depth=3
	s_and_not1_saveexec_b32 s13, s13
; %bb.510:                              ;   in Loop: Header=BB4_144 Depth=3
	s_delay_alu instid0(VALU_DEP_1)
	v_bfe_u32 v9, v10, 23, 1
; %bb.511:                              ;   in Loop: Header=BB4_144 Depth=3
	s_or_b32 exec_lo, exec_lo, s13
	v_lshrrev_b32_e32 v10, 21, v10
	s_delay_alu instid0(VALU_DEP_2) | instskip(SKIP_2) | instid1(VALU_DEP_3)
	v_min_i32_e32 v68, 31, v9
	v_cmp_gt_i32_e32 vcc_lo, 32, v9
	v_lshrrev_b32_e32 v8, 24, v8
	v_lshlrev_b32_e32 v68, 2, v68
	v_cndmask_b32_e32 v10, 3, v10, vcc_lo
	s_delay_alu instid0(VALU_DEP_3) | instskip(NEXT) | instid1(VALU_DEP_3)
	v_and_b32_e32 v8, 0x80, v8
	v_and_b32_e32 v68, 0xfc, v68
	s_delay_alu instid0(VALU_DEP_3) | instskip(SKIP_1) | instid1(VALU_DEP_2)
	v_and_b32_e32 v182, 3, v10
	v_or_b32_e32 v9, v9, v10
	v_or3_b32 v8, v8, v68, v182
	s_delay_alu instid0(VALU_DEP_2) | instskip(NEXT) | instid1(VALU_DEP_2)
	v_cmp_ne_u32_e32 vcc_lo, 0, v9
	v_lshlrev_b32_e32 v8, 8, v8
	s_delay_alu instid0(VALU_DEP_1)
	v_cndmask_b32_e32 v182, 0, v8, vcc_lo
.LBB4_512:                              ;   in Loop: Header=BB4_144 Depth=3
	s_or_b32 exec_lo, exec_lo, s36
.LBB4_513:                              ;   in Loop: Header=BB4_144 Depth=3
	s_delay_alu instid0(SALU_CYCLE_1) | instskip(SKIP_3) | instid1(VALU_DEP_1)
	s_or_b32 exec_lo, exec_lo, s35
	v_lshrrev_b32_e32 v8, 16, v11
	s_mov_b32 s13, 0
	s_mov_b32 s36, exec_lo
                                        ; implicit-def: $sgpr35
	v_and_b32_e32 v10, 0xff, v8
	s_delay_alu instid0(VALU_DEP_1)
	v_cmpx_lt_i16_e32 0x7f, v10
	s_xor_b32 s36, exec_lo, s36
	s_cbranch_execnz .LBB4_1039
; %bb.514:                              ;   in Loop: Header=BB4_144 Depth=3
	s_or_saveexec_b32 s36, s36
	v_mov_b32_e32 v9, s35
	s_xor_b32 exec_lo, exec_lo, s36
	s_cbranch_execnz .LBB4_1042
.LBB4_515:                              ;   in Loop: Header=BB4_144 Depth=3
	s_or_b32 exec_lo, exec_lo, s36
	s_and_saveexec_b32 s35, s13
	s_cbranch_execz .LBB4_517
.LBB4_516:                              ;   in Loop: Header=BB4_144 Depth=3
	v_bfe_u32 v9, v11, 16, 2
	s_delay_alu instid0(VALU_DEP_1) | instskip(NEXT) | instid1(VALU_DEP_1)
	v_clz_i32_u32_e32 v10, v9
	v_min_u32_e32 v10, 32, v10
	s_delay_alu instid0(VALU_DEP_1) | instskip(SKIP_1) | instid1(VALU_DEP_2)
	v_subrev_nc_u32_e32 v68, 29, v10
	v_sub_nc_u32_e32 v10, 30, v10
	v_lshlrev_b32_e32 v8, v68, v8
	v_bfe_u32 v68, v11, 18, 5
	s_delay_alu instid0(VALU_DEP_2) | instskip(NEXT) | instid1(VALU_DEP_2)
	v_and_b32_e32 v8, 3, v8
	v_cmp_eq_u32_e32 vcc_lo, 0, v68
	v_dual_cndmask_b32 v10, v68, v10 :: v_dual_lshlrev_b32 v183, 8, v11
	s_delay_alu instid0(VALU_DEP_1) | instskip(NEXT) | instid1(VALU_DEP_2)
	v_dual_cndmask_b32 v8, v9, v8 :: v_dual_and_b32 v9, 0x80000000, v183
	v_lshl_add_u32 v10, v10, 23, 0x37800000
	s_delay_alu instid0(VALU_DEP_2) | instskip(NEXT) | instid1(VALU_DEP_1)
	v_lshlrev_b32_e32 v8, 21, v8
	v_or3_b32 v9, v9, v10, v8
.LBB4_517:                              ;   in Loop: Header=BB4_144 Depth=3
	s_or_b32 exec_lo, exec_lo, s35
	s_delay_alu instid0(VALU_DEP_1) | instskip(SKIP_1) | instid1(VALU_DEP_1)
	v_dual_mul_f32 v8, s34, v9 :: v_dual_mov_b32 v183, 0x80
	s_mov_b32 s35, exec_lo
	v_and_b32_e32 v9, 0x7f800000, v8
	s_delay_alu instid0(VALU_DEP_1)
	v_cmpx_ne_u32_e32 0x7f800000, v9
	s_cbranch_execz .LBB4_525
; %bb.518:                              ;   in Loop: Header=BB4_144 Depth=3
	v_mov_b32_e32 v183, 0
	s_mov_b32 s36, exec_lo
	v_cmpx_ne_u32_e32 0, v8
	s_cbranch_execz .LBB4_524
; %bb.519:                              ;   in Loop: Header=BB4_144 Depth=3
	v_bfe_u32 v9, v8, 23, 8
	v_and_b32_e32 v10, 0x7fffff, v8
	s_delay_alu instid0(VALU_DEP_2) | instskip(SKIP_1) | instid1(VALU_DEP_3)
	v_sub_nc_u32_e32 v68, 0x70, v9
	v_cmp_gt_u32_e32 vcc_lo, 0x71, v9
	v_or_b32_e32 v183, 0x800000, v10
	s_delay_alu instid0(VALU_DEP_3) | instskip(SKIP_2) | instid1(VALU_DEP_3)
	v_cndmask_b32_e32 v68, 0, v68, vcc_lo
	v_cmp_eq_u32_e32 vcc_lo, 0, v9
	v_add_nc_u32_e32 v9, 0xffffff91, v9
	v_cndmask_b32_e64 v68, v68, 0x6f, vcc_lo
	v_cndmask_b32_e32 v10, v183, v10, vcc_lo
	s_delay_alu instid0(VALU_DEP_3) | instskip(NEXT) | instid1(VALU_DEP_3)
	v_cndmask_b32_e64 v9, v9, 0xffffff92, vcc_lo
	v_lshl_add_u32 v183, 0x200000, v68, -1
	s_delay_alu instid0(VALU_DEP_3) | instskip(SKIP_1) | instid1(VALU_DEP_4)
	v_lshrrev_b32_e32 v40, v68, v10
	v_lshlrev_b32_e64 v42, v68, 0x100000
	v_add_nc_u32_e32 v68, v68, v9
	s_delay_alu instid0(VALU_DEP_4) | instskip(NEXT) | instid1(VALU_DEP_4)
	v_and_b32_e32 v10, v183, v10
	v_bfe_u32 v41, v40, 21, 1
	s_delay_alu instid0(VALU_DEP_2) | instskip(NEXT) | instid1(VALU_DEP_2)
	v_cmp_eq_u32_e64 s13, v10, v42
	v_add_nc_u32_e32 v183, -1, v41
	s_delay_alu instid0(VALU_DEP_1) | instskip(SKIP_2) | instid1(VALU_DEP_2)
	v_cndmask_b32_e64 v10, 0, v183, s13
	v_lshrrev_b32_e32 v183, 23, v40
	s_mov_b32 s13, exec_lo
	v_add_nc_u32_e32 v10, v10, v40
	s_delay_alu instid0(VALU_DEP_2) | instskip(NEXT) | instid1(VALU_DEP_2)
	v_xor_b32_e32 v183, 1, v183
	v_and_b32_e32 v9, 0x1fffff, v10
	s_delay_alu instid0(VALU_DEP_1) | instskip(NEXT) | instid1(VALU_DEP_3)
	v_add_nc_u32_e32 v10, v9, v40
                                        ; implicit-def: $vgpr9
	v_cmpx_ne_u32_e64 v68, v183
	s_xor_b32 s13, exec_lo, s13
; %bb.520:                              ;   in Loop: Header=BB4_144 Depth=3
	s_delay_alu instid0(VALU_DEP_2) | instskip(SKIP_2) | instid1(VALU_DEP_2)
	v_cmp_lt_u32_e32 vcc_lo, 0xffffff, v10
	v_sub_nc_u32_e32 v9, v68, v183
	v_cndmask_b32_e64 v68, 0, 1, vcc_lo
	v_add_co_ci_u32_e32 v9, vcc_lo, 0, v9, vcc_lo
	s_delay_alu instid0(VALU_DEP_2)
	v_lshrrev_b32_e32 v10, v68, v10
; %bb.521:                              ;   in Loop: Header=BB4_144 Depth=3
	s_and_not1_saveexec_b32 s13, s13
; %bb.522:                              ;   in Loop: Header=BB4_144 Depth=3
	s_delay_alu instid0(VALU_DEP_1)
	v_bfe_u32 v9, v10, 23, 1
; %bb.523:                              ;   in Loop: Header=BB4_144 Depth=3
	s_or_b32 exec_lo, exec_lo, s13
	v_lshrrev_b32_e32 v10, 21, v10
	s_delay_alu instid0(VALU_DEP_2) | instskip(SKIP_2) | instid1(VALU_DEP_3)
	v_min_i32_e32 v68, 31, v9
	v_cmp_gt_i32_e32 vcc_lo, 32, v9
	v_lshrrev_b32_e32 v8, 24, v8
	v_lshlrev_b32_e32 v68, 2, v68
	v_cndmask_b32_e32 v10, 3, v10, vcc_lo
	s_delay_alu instid0(VALU_DEP_3) | instskip(NEXT) | instid1(VALU_DEP_3)
	v_and_b32_e32 v8, 0x80, v8
	v_and_b32_e32 v68, 0xfc, v68
	s_delay_alu instid0(VALU_DEP_3) | instskip(SKIP_1) | instid1(VALU_DEP_2)
	v_and_b32_e32 v183, 3, v10
	v_or_b32_e32 v9, v9, v10
	v_or3_b32 v8, v68, v8, v183
	s_delay_alu instid0(VALU_DEP_2) | instskip(NEXT) | instid1(VALU_DEP_2)
	v_cmp_ne_u32_e32 vcc_lo, 0, v9
	v_cndmask_b32_e32 v183, 0, v8, vcc_lo
.LBB4_524:                              ;   in Loop: Header=BB4_144 Depth=3
	s_or_b32 exec_lo, exec_lo, s36
.LBB4_525:                              ;   in Loop: Header=BB4_144 Depth=3
	s_delay_alu instid0(SALU_CYCLE_1) | instskip(SKIP_3) | instid1(VALU_DEP_1)
	s_or_b32 exec_lo, exec_lo, s35
	v_lshrrev_b32_e32 v8, 24, v11
	s_mov_b32 s13, 0
	s_mov_b32 s36, exec_lo
                                        ; implicit-def: $sgpr35
	v_cmpx_lt_i16_e32 0x7f, v8
	s_xor_b32 s36, exec_lo, s36
	s_cbranch_execnz .LBB4_1043
; %bb.526:                              ;   in Loop: Header=BB4_144 Depth=3
	s_or_saveexec_b32 s36, s36
	v_mov_b32_e32 v9, s35
	s_xor_b32 exec_lo, exec_lo, s36
	s_cbranch_execnz .LBB4_1046
.LBB4_527:                              ;   in Loop: Header=BB4_144 Depth=3
	s_or_b32 exec_lo, exec_lo, s36
	s_and_saveexec_b32 s35, s13
	s_cbranch_execz .LBB4_529
.LBB4_528:                              ;   in Loop: Header=BB4_144 Depth=3
	v_bfe_u32 v9, v11, 24, 2
	s_delay_alu instid0(VALU_DEP_1) | instskip(NEXT) | instid1(VALU_DEP_1)
	v_clz_i32_u32_e32 v10, v9
	v_min_u32_e32 v10, 32, v10
	s_delay_alu instid0(VALU_DEP_1) | instskip(SKIP_1) | instid1(VALU_DEP_2)
	v_subrev_nc_u32_e32 v68, 29, v10
	v_sub_nc_u32_e32 v10, 30, v10
	v_lshlrev_b32_e32 v8, v68, v8
	v_bfe_u32 v68, v11, 26, 5
	s_delay_alu instid0(VALU_DEP_2) | instskip(NEXT) | instid1(VALU_DEP_2)
	v_and_b32_e32 v8, 3, v8
	v_cmp_eq_u32_e32 vcc_lo, 0, v68
	v_cndmask_b32_e32 v10, v68, v10, vcc_lo
	s_delay_alu instid0(VALU_DEP_3) | instskip(NEXT) | instid1(VALU_DEP_2)
	v_dual_cndmask_b32 v8, v9, v8 :: v_dual_and_b32 v9, 0x80000000, v11
	v_lshl_add_u32 v10, v10, 23, 0x37800000
	s_delay_alu instid0(VALU_DEP_2) | instskip(NEXT) | instid1(VALU_DEP_1)
	v_lshlrev_b32_e32 v8, 21, v8
	v_or3_b32 v9, v9, v10, v8
.LBB4_529:                              ;   in Loop: Header=BB4_144 Depth=3
	s_or_b32 exec_lo, exec_lo, s35
	s_delay_alu instid0(VALU_DEP_1) | instskip(SKIP_2) | instid1(VALU_DEP_2)
	v_mul_f32_e32 v8, s34, v9
	v_mov_b32_e32 v40, 0x8000
	s_mov_b32 s35, exec_lo
	v_and_b32_e32 v9, 0x7f800000, v8
	s_delay_alu instid0(VALU_DEP_1)
	v_cmpx_ne_u32_e32 0x7f800000, v9
	s_cbranch_execz .LBB4_537
; %bb.530:                              ;   in Loop: Header=BB4_144 Depth=3
	v_mov_b32_e32 v40, 0
	s_mov_b32 s36, exec_lo
	v_cmpx_ne_u32_e32 0, v8
	s_cbranch_execz .LBB4_536
; %bb.531:                              ;   in Loop: Header=BB4_144 Depth=3
	v_bfe_u32 v9, v8, 23, 8
	s_delay_alu instid0(VALU_DEP_1) | instskip(SKIP_1) | instid1(VALU_DEP_2)
	v_sub_nc_u32_e32 v11, 0x70, v9
	v_cmp_gt_u32_e32 vcc_lo, 0x71, v9
	v_dual_cndmask_b32 v11, 0, v11 :: v_dual_and_b32 v10, 0x7fffff, v8
	s_delay_alu instid0(VALU_DEP_1) | instskip(SKIP_2) | instid1(VALU_DEP_4)
	v_or_b32_e32 v68, 0x800000, v10
	v_cmp_eq_u32_e32 vcc_lo, 0, v9
	v_add_nc_u32_e32 v9, 0xffffff91, v9
	v_cndmask_b32_e64 v11, v11, 0x6f, vcc_lo
	s_delay_alu instid0(VALU_DEP_4) | instskip(NEXT) | instid1(VALU_DEP_3)
	v_cndmask_b32_e32 v10, v68, v10, vcc_lo
	v_cndmask_b32_e64 v9, v9, 0xffffff92, vcc_lo
	s_delay_alu instid0(VALU_DEP_3) | instskip(NEXT) | instid1(VALU_DEP_3)
	v_lshl_add_u32 v68, 0x200000, v11, -1
	v_lshrrev_b32_e32 v40, v11, v10
	v_lshlrev_b32_e64 v42, v11, 0x100000
	s_delay_alu instid0(VALU_DEP_4) | instskip(NEXT) | instid1(VALU_DEP_4)
	v_add_nc_u32_e32 v11, v11, v9
	v_and_b32_e32 v10, v68, v10
	s_delay_alu instid0(VALU_DEP_4) | instskip(NEXT) | instid1(VALU_DEP_2)
	v_bfe_u32 v41, v40, 21, 1
	v_cmp_eq_u32_e64 s13, v10, v42
	s_delay_alu instid0(VALU_DEP_2) | instskip(NEXT) | instid1(VALU_DEP_1)
	v_add_nc_u32_e32 v68, -1, v41
	v_cndmask_b32_e64 v10, 0, v68, s13
	v_lshrrev_b32_e32 v68, 23, v40
	s_mov_b32 s13, exec_lo
	s_delay_alu instid0(VALU_DEP_2) | instskip(NEXT) | instid1(VALU_DEP_2)
	v_add_nc_u32_e32 v10, v10, v40
	v_xor_b32_e32 v68, 1, v68
	s_delay_alu instid0(VALU_DEP_2) | instskip(NEXT) | instid1(VALU_DEP_1)
	v_and_b32_e32 v9, 0x1fffff, v10
	v_add_nc_u32_e32 v10, v9, v40
                                        ; implicit-def: $vgpr9
	s_delay_alu instid0(VALU_DEP_3)
	v_cmpx_ne_u32_e64 v11, v68
	s_xor_b32 s13, exec_lo, s13
; %bb.532:                              ;   in Loop: Header=BB4_144 Depth=3
	s_delay_alu instid0(VALU_DEP_2) | instskip(SKIP_2) | instid1(VALU_DEP_2)
	v_cmp_lt_u32_e32 vcc_lo, 0xffffff, v10
	v_sub_nc_u32_e32 v9, v11, v68
	v_cndmask_b32_e64 v11, 0, 1, vcc_lo
	v_add_co_ci_u32_e32 v9, vcc_lo, 0, v9, vcc_lo
	s_delay_alu instid0(VALU_DEP_2)
	v_lshrrev_b32_e32 v10, v11, v10
; %bb.533:                              ;   in Loop: Header=BB4_144 Depth=3
	s_and_not1_saveexec_b32 s13, s13
; %bb.534:                              ;   in Loop: Header=BB4_144 Depth=3
	s_delay_alu instid0(VALU_DEP_1)
	v_bfe_u32 v9, v10, 23, 1
; %bb.535:                              ;   in Loop: Header=BB4_144 Depth=3
	s_or_b32 exec_lo, exec_lo, s13
	v_lshrrev_b32_e32 v10, 21, v10
	s_delay_alu instid0(VALU_DEP_2) | instskip(SKIP_2) | instid1(VALU_DEP_2)
	v_cmp_gt_i32_e32 vcc_lo, 32, v9
	v_min_i32_e32 v11, 31, v9
	v_lshrrev_b32_e32 v8, 24, v8
	v_dual_cndmask_b32 v10, 3, v10 :: v_dual_lshlrev_b32 v11, 2, v11
	s_delay_alu instid0(VALU_DEP_2) | instskip(NEXT) | instid1(VALU_DEP_2)
	v_and_b32_e32 v8, 0x80, v8
	v_or_b32_e32 v9, v9, v10
	v_and_b32_e32 v68, 3, v10
	s_delay_alu instid0(VALU_DEP_2) | instskip(SKIP_1) | instid1(VALU_DEP_1)
	v_cmp_ne_u32_e32 vcc_lo, 0, v9
	v_and_b32_e32 v11, 0xfc, v11
	v_or3_b32 v8, v8, v11, v68
	s_delay_alu instid0(VALU_DEP_1) | instskip(NEXT) | instid1(VALU_DEP_1)
	v_lshlrev_b32_e32 v8, 8, v8
	v_cndmask_b32_e32 v40, 0, v8, vcc_lo
.LBB4_536:                              ;   in Loop: Header=BB4_144 Depth=3
	s_or_b32 exec_lo, exec_lo, s36
.LBB4_537:                              ;   in Loop: Header=BB4_144 Depth=3
	s_delay_alu instid0(SALU_CYCLE_1)
	s_or_b32 exec_lo, exec_lo, s35
	global_load_b128 v[8:11], v[64:65], off offset:1024 slc dlc
	s_mov_b32 s13, 0
	s_mov_b32 s36, exec_lo
                                        ; implicit-def: $sgpr35
	s_waitcnt vmcnt(0)
	v_and_b32_e32 v41, 0xff, v8
	s_delay_alu instid0(VALU_DEP_1)
	v_cmpx_lt_i16_e32 0x7f, v41
	s_xor_b32 s36, exec_lo, s36
	s_cbranch_execnz .LBB4_1047
; %bb.538:                              ;   in Loop: Header=BB4_144 Depth=3
	s_or_saveexec_b32 s36, s36
	v_mov_b32_e32 v68, s35
	s_xor_b32 exec_lo, exec_lo, s36
	s_cbranch_execnz .LBB4_1050
.LBB4_539:                              ;   in Loop: Header=BB4_144 Depth=3
	s_or_b32 exec_lo, exec_lo, s36
	s_and_saveexec_b32 s35, s13
	s_cbranch_execz .LBB4_541
.LBB4_540:                              ;   in Loop: Header=BB4_144 Depth=3
	v_bfe_u32 v43, v8, 2, 5
	v_lshlrev_b32_e32 v44, 24, v8
	s_delay_alu instid0(VALU_DEP_2) | instskip(SKIP_1) | instid1(VALU_DEP_1)
	v_cmp_eq_u32_e32 vcc_lo, 0, v43
	v_and_b32_e32 v68, 3, v8
	v_clz_i32_u32_e32 v41, v68
	s_delay_alu instid0(VALU_DEP_1) | instskip(NEXT) | instid1(VALU_DEP_1)
	v_min_u32_e32 v41, 32, v41
	v_subrev_nc_u32_e32 v42, 29, v41
	v_sub_nc_u32_e32 v41, 30, v41
	s_delay_alu instid0(VALU_DEP_1) | instskip(NEXT) | instid1(VALU_DEP_1)
	v_dual_cndmask_b32 v41, v43, v41 :: v_dual_lshlrev_b32 v42, v42, v8
	v_and_b32_e32 v42, 3, v42
	s_delay_alu instid0(VALU_DEP_2) | instskip(NEXT) | instid1(VALU_DEP_2)
	v_lshl_add_u32 v41, v41, 23, 0x37800000
	v_cndmask_b32_e32 v68, v68, v42, vcc_lo
	v_and_b32_e32 v42, 0x80000000, v44
	s_delay_alu instid0(VALU_DEP_2) | instskip(NEXT) | instid1(VALU_DEP_1)
	v_lshlrev_b32_e32 v68, 21, v68
	v_or3_b32 v68, v42, v41, v68
.LBB4_541:                              ;   in Loop: Header=BB4_144 Depth=3
	s_or_b32 exec_lo, exec_lo, s35
	s_delay_alu instid0(VALU_DEP_1) | instskip(NEXT) | instid1(VALU_DEP_1)
	v_mul_f32_e32 v68, s34, v68
	v_and_b32_e32 v41, 0x7f800000, v68
	s_delay_alu instid0(VALU_DEP_1)
	v_cmp_ne_u32_e32 vcc_lo, 0x7f800000, v41
	v_mov_b32_e32 v41, 0x80
	s_and_saveexec_b32 s35, vcc_lo
	s_cbranch_execz .LBB4_549
; %bb.542:                              ;   in Loop: Header=BB4_144 Depth=3
	v_mov_b32_e32 v41, 0
	s_mov_b32 s36, exec_lo
	v_cmpx_ne_u32_e32 0, v68
	s_cbranch_execz .LBB4_548
; %bb.543:                              ;   in Loop: Header=BB4_144 Depth=3
	v_bfe_u32 v41, v68, 23, 8
	s_delay_alu instid0(VALU_DEP_1) | instskip(SKIP_1) | instid1(VALU_DEP_2)
	v_sub_nc_u32_e32 v43, 0x70, v41
	v_cmp_gt_u32_e32 vcc_lo, 0x71, v41
	v_dual_cndmask_b32 v43, 0, v43 :: v_dual_and_b32 v42, 0x7fffff, v68
	s_delay_alu instid0(VALU_DEP_1) | instskip(SKIP_2) | instid1(VALU_DEP_4)
	v_or_b32_e32 v44, 0x800000, v42
	v_cmp_eq_u32_e32 vcc_lo, 0, v41
	v_add_nc_u32_e32 v41, 0xffffff91, v41
	v_cndmask_b32_e64 v43, v43, 0x6f, vcc_lo
	s_delay_alu instid0(VALU_DEP_4) | instskip(NEXT) | instid1(VALU_DEP_3)
	v_cndmask_b32_e32 v42, v44, v42, vcc_lo
	v_cndmask_b32_e64 v41, v41, 0xffffff92, vcc_lo
	s_delay_alu instid0(VALU_DEP_3) | instskip(NEXT) | instid1(VALU_DEP_3)
	v_lshl_add_u32 v44, 0x200000, v43, -1
	v_lshrrev_b32_e32 v45, v43, v42
	v_lshlrev_b32_e64 v47, v43, 0x100000
	s_delay_alu instid0(VALU_DEP_4) | instskip(NEXT) | instid1(VALU_DEP_4)
	v_add_nc_u32_e32 v43, v43, v41
	v_and_b32_e32 v42, v44, v42
	s_delay_alu instid0(VALU_DEP_4) | instskip(NEXT) | instid1(VALU_DEP_2)
	v_bfe_u32 v46, v45, 21, 1
	v_cmp_eq_u32_e64 s13, v42, v47
	s_delay_alu instid0(VALU_DEP_2) | instskip(NEXT) | instid1(VALU_DEP_1)
	v_add_nc_u32_e32 v44, -1, v46
	v_cndmask_b32_e64 v42, 0, v44, s13
	v_lshrrev_b32_e32 v44, 23, v45
	s_mov_b32 s13, exec_lo
	s_delay_alu instid0(VALU_DEP_2) | instskip(NEXT) | instid1(VALU_DEP_2)
	v_add_nc_u32_e32 v42, v42, v45
	v_xor_b32_e32 v44, 1, v44
	s_delay_alu instid0(VALU_DEP_2) | instskip(NEXT) | instid1(VALU_DEP_1)
	v_and_b32_e32 v41, 0x1fffff, v42
	v_add_nc_u32_e32 v42, v41, v45
                                        ; implicit-def: $vgpr41
	s_delay_alu instid0(VALU_DEP_3)
	v_cmpx_ne_u32_e64 v43, v44
	s_xor_b32 s13, exec_lo, s13
; %bb.544:                              ;   in Loop: Header=BB4_144 Depth=3
	s_delay_alu instid0(VALU_DEP_2) | instskip(SKIP_2) | instid1(VALU_DEP_2)
	v_cmp_lt_u32_e32 vcc_lo, 0xffffff, v42
	v_sub_nc_u32_e32 v41, v43, v44
	v_cndmask_b32_e64 v43, 0, 1, vcc_lo
	v_add_co_ci_u32_e32 v41, vcc_lo, 0, v41, vcc_lo
	s_delay_alu instid0(VALU_DEP_2)
	v_lshrrev_b32_e32 v42, v43, v42
; %bb.545:                              ;   in Loop: Header=BB4_144 Depth=3
	s_and_not1_saveexec_b32 s13, s13
; %bb.546:                              ;   in Loop: Header=BB4_144 Depth=3
	s_delay_alu instid0(VALU_DEP_1)
	v_bfe_u32 v41, v42, 23, 1
; %bb.547:                              ;   in Loop: Header=BB4_144 Depth=3
	s_or_b32 exec_lo, exec_lo, s13
	v_lshrrev_b32_e32 v42, 21, v42
	s_delay_alu instid0(VALU_DEP_2) | instskip(SKIP_2) | instid1(VALU_DEP_2)
	v_cmp_gt_i32_e32 vcc_lo, 32, v41
	v_min_i32_e32 v43, 31, v41
	v_lshrrev_b32_e32 v68, 24, v68
	v_dual_cndmask_b32 v42, 3, v42 :: v_dual_lshlrev_b32 v43, 2, v43
	s_delay_alu instid0(VALU_DEP_2) | instskip(NEXT) | instid1(VALU_DEP_2)
	v_and_b32_e32 v68, 0x80, v68
	v_or_b32_e32 v41, v41, v42
	s_delay_alu instid0(VALU_DEP_1) | instskip(SKIP_1) | instid1(VALU_DEP_1)
	v_cmp_ne_u32_e32 vcc_lo, 0, v41
	v_and_b32_e32 v44, 3, v42
	v_or3_b32 v68, v43, v68, v44
	s_delay_alu instid0(VALU_DEP_1)
	v_cndmask_b32_e32 v41, 0, v68, vcc_lo
.LBB4_548:                              ;   in Loop: Header=BB4_144 Depth=3
	s_or_b32 exec_lo, exec_lo, s36
.LBB4_549:                              ;   in Loop: Header=BB4_144 Depth=3
	s_delay_alu instid0(SALU_CYCLE_1) | instskip(SKIP_3) | instid1(VALU_DEP_1)
	s_or_b32 exec_lo, exec_lo, s35
	v_lshrrev_b16 v68, 8, v8
	s_mov_b32 s13, 0
	s_mov_b32 s36, exec_lo
                                        ; implicit-def: $sgpr35
	v_cmpx_lt_i16_e32 0x7f, v68
	s_xor_b32 s36, exec_lo, s36
	s_cbranch_execnz .LBB4_1051
; %bb.550:                              ;   in Loop: Header=BB4_144 Depth=3
	s_or_saveexec_b32 s36, s36
	v_mov_b32_e32 v42, s35
	s_xor_b32 exec_lo, exec_lo, s36
	s_cbranch_execnz .LBB4_1054
.LBB4_551:                              ;   in Loop: Header=BB4_144 Depth=3
	s_or_b32 exec_lo, exec_lo, s36
	s_and_saveexec_b32 s35, s13
	s_cbranch_execz .LBB4_553
.LBB4_552:                              ;   in Loop: Header=BB4_144 Depth=3
	v_and_b32_e32 v42, 0xffff, v68
	v_lshlrev_b32_e32 v68, 24, v68
	s_delay_alu instid0(VALU_DEP_2) | instskip(NEXT) | instid1(VALU_DEP_2)
	v_and_b32_e32 v43, 3, v42
	v_and_b32_e32 v68, 0x80000000, v68
	s_delay_alu instid0(VALU_DEP_2) | instskip(NEXT) | instid1(VALU_DEP_1)
	v_clz_i32_u32_e32 v44, v43
	v_min_u32_e32 v44, 32, v44
	s_delay_alu instid0(VALU_DEP_1) | instskip(SKIP_1) | instid1(VALU_DEP_2)
	v_subrev_nc_u32_e32 v45, 29, v44
	v_sub_nc_u32_e32 v44, 30, v44
	v_lshlrev_b32_e32 v45, v45, v42
	v_bfe_u32 v42, v42, 2, 5
	s_delay_alu instid0(VALU_DEP_2) | instskip(NEXT) | instid1(VALU_DEP_2)
	v_and_b32_e32 v45, 3, v45
	v_cmp_eq_u32_e32 vcc_lo, 0, v42
	s_delay_alu instid0(VALU_DEP_2) | instskip(NEXT) | instid1(VALU_DEP_1)
	v_dual_cndmask_b32 v42, v42, v44 :: v_dual_cndmask_b32 v43, v43, v45
	v_lshl_add_u32 v42, v42, 23, 0x37800000
	s_delay_alu instid0(VALU_DEP_2) | instskip(NEXT) | instid1(VALU_DEP_1)
	v_lshlrev_b32_e32 v43, 21, v43
	v_or3_b32 v42, v68, v42, v43
.LBB4_553:                              ;   in Loop: Header=BB4_144 Depth=3
	s_or_b32 exec_lo, exec_lo, s35
	s_delay_alu instid0(VALU_DEP_1) | instskip(NEXT) | instid1(VALU_DEP_1)
	v_mul_f32_e32 v68, s34, v42
	v_and_b32_e32 v42, 0x7f800000, v68
	s_delay_alu instid0(VALU_DEP_1)
	v_cmp_ne_u32_e32 vcc_lo, 0x7f800000, v42
	v_mov_b32_e32 v42, 0x80
	s_and_saveexec_b32 s35, vcc_lo
	s_cbranch_execz .LBB4_561
; %bb.554:                              ;   in Loop: Header=BB4_144 Depth=3
	v_mov_b32_e32 v42, 0
	s_mov_b32 s36, exec_lo
	v_cmpx_ne_u32_e32 0, v68
	s_cbranch_execz .LBB4_560
; %bb.555:                              ;   in Loop: Header=BB4_144 Depth=3
	v_bfe_u32 v42, v68, 23, 8
	v_and_b32_e32 v43, 0x7fffff, v68
	s_delay_alu instid0(VALU_DEP_2) | instskip(SKIP_1) | instid1(VALU_DEP_3)
	v_sub_nc_u32_e32 v44, 0x70, v42
	v_cmp_gt_u32_e32 vcc_lo, 0x71, v42
	v_or_b32_e32 v45, 0x800000, v43
	s_delay_alu instid0(VALU_DEP_3) | instskip(SKIP_1) | instid1(VALU_DEP_3)
	v_cndmask_b32_e32 v44, 0, v44, vcc_lo
	v_cmp_eq_u32_e32 vcc_lo, 0, v42
	v_dual_cndmask_b32 v43, v45, v43 :: v_dual_add_nc_u32 v42, 0xffffff91, v42
	s_delay_alu instid0(VALU_DEP_3) | instskip(NEXT) | instid1(VALU_DEP_2)
	v_cndmask_b32_e64 v44, v44, 0x6f, vcc_lo
	v_cndmask_b32_e64 v42, v42, 0xffffff92, vcc_lo
	s_delay_alu instid0(VALU_DEP_2) | instskip(SKIP_2) | instid1(VALU_DEP_4)
	v_lshrrev_b32_e32 v46, v44, v43
	v_lshl_add_u32 v45, 0x200000, v44, -1
	v_lshlrev_b32_e64 v56, v44, 0x100000
	v_add_nc_u32_e32 v44, v44, v42
	s_delay_alu instid0(VALU_DEP_4) | instskip(NEXT) | instid1(VALU_DEP_4)
	v_bfe_u32 v47, v46, 21, 1
	v_and_b32_e32 v43, v45, v43
	s_delay_alu instid0(VALU_DEP_2) | instskip(NEXT) | instid1(VALU_DEP_2)
	v_add_nc_u32_e32 v45, -1, v47
	v_cmp_eq_u32_e64 s13, v43, v56
	s_delay_alu instid0(VALU_DEP_1) | instskip(SKIP_2) | instid1(VALU_DEP_2)
	v_cndmask_b32_e64 v43, 0, v45, s13
	v_lshrrev_b32_e32 v45, 23, v46
	s_mov_b32 s13, exec_lo
	v_add_nc_u32_e32 v43, v43, v46
	s_delay_alu instid0(VALU_DEP_2) | instskip(NEXT) | instid1(VALU_DEP_2)
	v_xor_b32_e32 v45, 1, v45
	v_and_b32_e32 v42, 0x1fffff, v43
	s_delay_alu instid0(VALU_DEP_1) | instskip(NEXT) | instid1(VALU_DEP_3)
	v_add_nc_u32_e32 v43, v42, v46
                                        ; implicit-def: $vgpr42
	v_cmpx_ne_u32_e64 v44, v45
	s_xor_b32 s13, exec_lo, s13
; %bb.556:                              ;   in Loop: Header=BB4_144 Depth=3
	s_delay_alu instid0(VALU_DEP_2) | instskip(SKIP_2) | instid1(VALU_DEP_2)
	v_cmp_lt_u32_e32 vcc_lo, 0xffffff, v43
	v_sub_nc_u32_e32 v42, v44, v45
	v_cndmask_b32_e64 v44, 0, 1, vcc_lo
	v_add_co_ci_u32_e32 v42, vcc_lo, 0, v42, vcc_lo
	s_delay_alu instid0(VALU_DEP_2)
	v_lshrrev_b32_e32 v43, v44, v43
; %bb.557:                              ;   in Loop: Header=BB4_144 Depth=3
	s_and_not1_saveexec_b32 s13, s13
; %bb.558:                              ;   in Loop: Header=BB4_144 Depth=3
	s_delay_alu instid0(VALU_DEP_1)
	v_bfe_u32 v42, v43, 23, 1
; %bb.559:                              ;   in Loop: Header=BB4_144 Depth=3
	s_or_b32 exec_lo, exec_lo, s13
	v_lshrrev_b32_e32 v43, 21, v43
	s_delay_alu instid0(VALU_DEP_2) | instskip(SKIP_2) | instid1(VALU_DEP_2)
	v_cmp_gt_i32_e32 vcc_lo, 32, v42
	v_lshrrev_b32_e32 v68, 24, v68
	v_min_i32_e32 v44, 31, v42
	v_dual_cndmask_b32 v43, 3, v43 :: v_dual_and_b32 v68, 0x80, v68
	s_delay_alu instid0(VALU_DEP_2) | instskip(NEXT) | instid1(VALU_DEP_2)
	v_lshlrev_b32_e32 v44, 2, v44
	v_or_b32_e32 v42, v42, v43
	s_delay_alu instid0(VALU_DEP_1) | instskip(SKIP_1) | instid1(VALU_DEP_1)
	v_cmp_ne_u32_e32 vcc_lo, 0, v42
	v_and_b32_e32 v45, 3, v43
	v_or3_b32 v68, v44, v68, v45
	s_delay_alu instid0(VALU_DEP_1)
	v_cndmask_b32_e32 v42, 0, v68, vcc_lo
.LBB4_560:                              ;   in Loop: Header=BB4_144 Depth=3
	s_or_b32 exec_lo, exec_lo, s36
.LBB4_561:                              ;   in Loop: Header=BB4_144 Depth=3
	s_delay_alu instid0(SALU_CYCLE_1) | instskip(SKIP_3) | instid1(VALU_DEP_1)
	s_or_b32 exec_lo, exec_lo, s35
	v_lshrrev_b32_e32 v68, 16, v8
	s_mov_b32 s13, 0
	s_mov_b32 s36, exec_lo
                                        ; implicit-def: $sgpr35
	v_and_b32_e32 v44, 0xff, v68
	s_delay_alu instid0(VALU_DEP_1)
	v_cmpx_lt_i16_e32 0x7f, v44
	s_xor_b32 s36, exec_lo, s36
	s_cbranch_execnz .LBB4_1055
; %bb.562:                              ;   in Loop: Header=BB4_144 Depth=3
	s_or_saveexec_b32 s36, s36
	v_mov_b32_e32 v43, s35
	s_xor_b32 exec_lo, exec_lo, s36
	s_cbranch_execnz .LBB4_1058
.LBB4_563:                              ;   in Loop: Header=BB4_144 Depth=3
	s_or_b32 exec_lo, exec_lo, s36
	s_and_saveexec_b32 s35, s13
	s_cbranch_execz .LBB4_565
.LBB4_564:                              ;   in Loop: Header=BB4_144 Depth=3
	v_bfe_u32 v43, v8, 16, 2
	v_lshlrev_b32_e32 v46, 8, v8
	s_delay_alu instid0(VALU_DEP_2) | instskip(NEXT) | instid1(VALU_DEP_1)
	v_clz_i32_u32_e32 v44, v43
	v_min_u32_e32 v44, 32, v44
	s_delay_alu instid0(VALU_DEP_1) | instskip(SKIP_1) | instid1(VALU_DEP_2)
	v_subrev_nc_u32_e32 v45, 29, v44
	v_sub_nc_u32_e32 v44, 30, v44
	v_lshlrev_b32_e32 v68, v45, v68
	v_bfe_u32 v45, v8, 18, 5
	s_delay_alu instid0(VALU_DEP_2) | instskip(NEXT) | instid1(VALU_DEP_2)
	v_and_b32_e32 v68, 3, v68
	v_cmp_eq_u32_e32 vcc_lo, 0, v45
	v_cndmask_b32_e32 v44, v45, v44, vcc_lo
	s_delay_alu instid0(VALU_DEP_3) | instskip(NEXT) | instid1(VALU_DEP_2)
	v_dual_cndmask_b32 v68, v43, v68 :: v_dual_and_b32 v43, 0x80000000, v46
	v_lshl_add_u32 v44, v44, 23, 0x37800000
	s_delay_alu instid0(VALU_DEP_2) | instskip(NEXT) | instid1(VALU_DEP_1)
	v_lshlrev_b32_e32 v68, 21, v68
	v_or3_b32 v43, v43, v44, v68
.LBB4_565:                              ;   in Loop: Header=BB4_144 Depth=3
	s_or_b32 exec_lo, exec_lo, s35
	s_delay_alu instid0(VALU_DEP_1) | instskip(NEXT) | instid1(VALU_DEP_1)
	v_mul_f32_e32 v68, s34, v43
	v_and_b32_e32 v43, 0x7f800000, v68
	s_delay_alu instid0(VALU_DEP_1)
	v_cmp_ne_u32_e32 vcc_lo, 0x7f800000, v43
	v_mov_b32_e32 v43, 0x80
	s_and_saveexec_b32 s35, vcc_lo
	s_cbranch_execz .LBB4_573
; %bb.566:                              ;   in Loop: Header=BB4_144 Depth=3
	v_mov_b32_e32 v43, 0
	s_mov_b32 s36, exec_lo
	v_cmpx_ne_u32_e32 0, v68
	s_cbranch_execz .LBB4_572
; %bb.567:                              ;   in Loop: Header=BB4_144 Depth=3
	v_bfe_u32 v43, v68, 23, 8
	s_delay_alu instid0(VALU_DEP_1) | instskip(SKIP_1) | instid1(VALU_DEP_2)
	v_sub_nc_u32_e32 v45, 0x70, v43
	v_cmp_gt_u32_e32 vcc_lo, 0x71, v43
	v_dual_cndmask_b32 v45, 0, v45 :: v_dual_and_b32 v44, 0x7fffff, v68
	s_delay_alu instid0(VALU_DEP_1) | instskip(SKIP_2) | instid1(VALU_DEP_4)
	v_or_b32_e32 v46, 0x800000, v44
	v_cmp_eq_u32_e32 vcc_lo, 0, v43
	v_add_nc_u32_e32 v43, 0xffffff91, v43
	v_cndmask_b32_e64 v45, v45, 0x6f, vcc_lo
	s_delay_alu instid0(VALU_DEP_4) | instskip(NEXT) | instid1(VALU_DEP_3)
	v_cndmask_b32_e32 v44, v46, v44, vcc_lo
	v_cndmask_b32_e64 v43, v43, 0xffffff92, vcc_lo
	s_delay_alu instid0(VALU_DEP_3) | instskip(NEXT) | instid1(VALU_DEP_3)
	v_lshl_add_u32 v46, 0x200000, v45, -1
	v_lshrrev_b32_e32 v47, v45, v44
	v_lshlrev_b32_e64 v57, v45, 0x100000
	s_delay_alu instid0(VALU_DEP_4) | instskip(NEXT) | instid1(VALU_DEP_4)
	v_add_nc_u32_e32 v45, v45, v43
	v_and_b32_e32 v44, v46, v44
	s_delay_alu instid0(VALU_DEP_4) | instskip(NEXT) | instid1(VALU_DEP_2)
	v_bfe_u32 v56, v47, 21, 1
	v_cmp_eq_u32_e64 s13, v44, v57
	s_delay_alu instid0(VALU_DEP_2) | instskip(NEXT) | instid1(VALU_DEP_1)
	v_add_nc_u32_e32 v46, -1, v56
	v_cndmask_b32_e64 v44, 0, v46, s13
	v_lshrrev_b32_e32 v46, 23, v47
	s_mov_b32 s13, exec_lo
	s_delay_alu instid0(VALU_DEP_2) | instskip(NEXT) | instid1(VALU_DEP_2)
	v_add_nc_u32_e32 v44, v44, v47
	v_xor_b32_e32 v46, 1, v46
	s_delay_alu instid0(VALU_DEP_2) | instskip(NEXT) | instid1(VALU_DEP_1)
	v_and_b32_e32 v43, 0x1fffff, v44
	v_add_nc_u32_e32 v44, v43, v47
                                        ; implicit-def: $vgpr43
	s_delay_alu instid0(VALU_DEP_3)
	v_cmpx_ne_u32_e64 v45, v46
	s_xor_b32 s13, exec_lo, s13
; %bb.568:                              ;   in Loop: Header=BB4_144 Depth=3
	s_delay_alu instid0(VALU_DEP_2) | instskip(SKIP_2) | instid1(VALU_DEP_2)
	v_cmp_lt_u32_e32 vcc_lo, 0xffffff, v44
	v_sub_nc_u32_e32 v43, v45, v46
	v_cndmask_b32_e64 v45, 0, 1, vcc_lo
	v_add_co_ci_u32_e32 v43, vcc_lo, 0, v43, vcc_lo
	s_delay_alu instid0(VALU_DEP_2)
	v_lshrrev_b32_e32 v44, v45, v44
; %bb.569:                              ;   in Loop: Header=BB4_144 Depth=3
	s_and_not1_saveexec_b32 s13, s13
; %bb.570:                              ;   in Loop: Header=BB4_144 Depth=3
	s_delay_alu instid0(VALU_DEP_1)
	v_bfe_u32 v43, v44, 23, 1
; %bb.571:                              ;   in Loop: Header=BB4_144 Depth=3
	s_or_b32 exec_lo, exec_lo, s13
	v_lshrrev_b32_e32 v44, 21, v44
	s_delay_alu instid0(VALU_DEP_2) | instskip(SKIP_2) | instid1(VALU_DEP_4)
	v_cmp_gt_i32_e32 vcc_lo, 32, v43
	v_lshrrev_b32_e32 v68, 24, v68
	v_min_i32_e32 v45, 31, v43
	v_cndmask_b32_e32 v44, 3, v44, vcc_lo
	s_delay_alu instid0(VALU_DEP_3) | instskip(NEXT) | instid1(VALU_DEP_3)
	v_and_b32_e32 v68, 0x80, v68
	v_lshlrev_b32_e32 v45, 2, v45
	s_delay_alu instid0(VALU_DEP_3) | instskip(SKIP_1) | instid1(VALU_DEP_2)
	v_and_b32_e32 v46, 3, v44
	v_or_b32_e32 v43, v43, v44
	v_or3_b32 v68, v45, v68, v46
	s_delay_alu instid0(VALU_DEP_2) | instskip(NEXT) | instid1(VALU_DEP_2)
	v_cmp_ne_u32_e32 vcc_lo, 0, v43
	v_cndmask_b32_e32 v43, 0, v68, vcc_lo
.LBB4_572:                              ;   in Loop: Header=BB4_144 Depth=3
	s_or_b32 exec_lo, exec_lo, s36
.LBB4_573:                              ;   in Loop: Header=BB4_144 Depth=3
	s_delay_alu instid0(SALU_CYCLE_1) | instskip(SKIP_3) | instid1(VALU_DEP_1)
	s_or_b32 exec_lo, exec_lo, s35
	v_lshrrev_b32_e32 v68, 24, v8
	s_mov_b32 s13, 0
	s_mov_b32 s36, exec_lo
                                        ; implicit-def: $sgpr35
	v_cmpx_lt_i16_e32 0x7f, v68
	s_xor_b32 s36, exec_lo, s36
	s_cbranch_execnz .LBB4_1059
; %bb.574:                              ;   in Loop: Header=BB4_144 Depth=3
	s_or_saveexec_b32 s36, s36
	v_mov_b32_e32 v44, s35
	s_xor_b32 exec_lo, exec_lo, s36
	s_cbranch_execnz .LBB4_1062
.LBB4_575:                              ;   in Loop: Header=BB4_144 Depth=3
	s_or_b32 exec_lo, exec_lo, s36
	s_and_saveexec_b32 s35, s13
	s_cbranch_execz .LBB4_577
.LBB4_576:                              ;   in Loop: Header=BB4_144 Depth=3
	v_bfe_u32 v44, v8, 24, 2
	s_delay_alu instid0(VALU_DEP_1) | instskip(NEXT) | instid1(VALU_DEP_1)
	v_clz_i32_u32_e32 v45, v44
	v_min_u32_e32 v45, 32, v45
	s_delay_alu instid0(VALU_DEP_1) | instskip(SKIP_1) | instid1(VALU_DEP_2)
	v_subrev_nc_u32_e32 v46, 29, v45
	v_sub_nc_u32_e32 v45, 30, v45
	v_lshlrev_b32_e32 v68, v46, v68
	v_bfe_u32 v46, v8, 26, 5
	v_and_b32_e32 v8, 0x80000000, v8
	s_delay_alu instid0(VALU_DEP_2) | instskip(NEXT) | instid1(VALU_DEP_4)
	v_cmp_eq_u32_e32 vcc_lo, 0, v46
	v_dual_cndmask_b32 v45, v46, v45 :: v_dual_and_b32 v68, 3, v68
	s_delay_alu instid0(VALU_DEP_1) | instskip(NEXT) | instid1(VALU_DEP_2)
	v_cndmask_b32_e32 v68, v44, v68, vcc_lo
	v_lshl_add_u32 v44, v45, 23, 0x37800000
	s_delay_alu instid0(VALU_DEP_2) | instskip(NEXT) | instid1(VALU_DEP_1)
	v_lshlrev_b32_e32 v68, 21, v68
	v_or3_b32 v44, v8, v44, v68
.LBB4_577:                              ;   in Loop: Header=BB4_144 Depth=3
	s_or_b32 exec_lo, exec_lo, s35
	s_delay_alu instid0(VALU_DEP_1) | instskip(SKIP_2) | instid1(VALU_DEP_2)
	v_mul_f32_e32 v8, s34, v44
	v_mov_b32_e32 v44, 0x80
	s_mov_b32 s35, exec_lo
	v_and_b32_e32 v68, 0x7f800000, v8
	s_delay_alu instid0(VALU_DEP_1)
	v_cmpx_ne_u32_e32 0x7f800000, v68
	s_cbranch_execz .LBB4_585
; %bb.578:                              ;   in Loop: Header=BB4_144 Depth=3
	v_mov_b32_e32 v44, 0
	s_mov_b32 s36, exec_lo
	v_cmpx_ne_u32_e32 0, v8
	s_cbranch_execz .LBB4_584
; %bb.579:                              ;   in Loop: Header=BB4_144 Depth=3
	v_bfe_u32 v68, v8, 23, 8
	s_delay_alu instid0(VALU_DEP_1) | instskip(SKIP_1) | instid1(VALU_DEP_2)
	v_sub_nc_u32_e32 v45, 0x70, v68
	v_cmp_gt_u32_e32 vcc_lo, 0x71, v68
	v_dual_cndmask_b32 v45, 0, v45 :: v_dual_and_b32 v44, 0x7fffff, v8
	s_delay_alu instid0(VALU_DEP_1) | instskip(SKIP_2) | instid1(VALU_DEP_4)
	v_or_b32_e32 v46, 0x800000, v44
	v_cmp_eq_u32_e32 vcc_lo, 0, v68
	v_add_nc_u32_e32 v68, 0xffffff91, v68
	v_cndmask_b32_e64 v45, v45, 0x6f, vcc_lo
	s_delay_alu instid0(VALU_DEP_4) | instskip(NEXT) | instid1(VALU_DEP_3)
	v_cndmask_b32_e32 v44, v46, v44, vcc_lo
	v_cndmask_b32_e64 v68, v68, 0xffffff92, vcc_lo
	s_delay_alu instid0(VALU_DEP_3) | instskip(NEXT) | instid1(VALU_DEP_3)
	v_lshl_add_u32 v46, 0x200000, v45, -1
	v_lshrrev_b32_e32 v47, v45, v44
	v_lshlrev_b32_e64 v57, v45, 0x100000
	s_delay_alu instid0(VALU_DEP_4) | instskip(NEXT) | instid1(VALU_DEP_4)
	v_add_nc_u32_e32 v45, v45, v68
	v_and_b32_e32 v44, v46, v44
	s_delay_alu instid0(VALU_DEP_4) | instskip(NEXT) | instid1(VALU_DEP_2)
	v_bfe_u32 v56, v47, 21, 1
	v_cmp_eq_u32_e64 s13, v44, v57
	s_delay_alu instid0(VALU_DEP_2) | instskip(NEXT) | instid1(VALU_DEP_1)
	v_add_nc_u32_e32 v46, -1, v56
	v_cndmask_b32_e64 v44, 0, v46, s13
	v_lshrrev_b32_e32 v46, 23, v47
	s_mov_b32 s13, exec_lo
	s_delay_alu instid0(VALU_DEP_2) | instskip(NEXT) | instid1(VALU_DEP_2)
	v_add_nc_u32_e32 v44, v44, v47
	v_xor_b32_e32 v46, 1, v46
	s_delay_alu instid0(VALU_DEP_2) | instskip(NEXT) | instid1(VALU_DEP_1)
	v_and_b32_e32 v68, 0x1fffff, v44
	v_add_nc_u32_e32 v44, v68, v47
                                        ; implicit-def: $vgpr68
	s_delay_alu instid0(VALU_DEP_3)
	v_cmpx_ne_u32_e64 v45, v46
	s_xor_b32 s13, exec_lo, s13
; %bb.580:                              ;   in Loop: Header=BB4_144 Depth=3
	s_delay_alu instid0(VALU_DEP_2) | instskip(SKIP_2) | instid1(VALU_DEP_2)
	v_cmp_lt_u32_e32 vcc_lo, 0xffffff, v44
	v_sub_nc_u32_e32 v68, v45, v46
	v_cndmask_b32_e64 v45, 0, 1, vcc_lo
	v_add_co_ci_u32_e32 v68, vcc_lo, 0, v68, vcc_lo
	s_delay_alu instid0(VALU_DEP_2)
	v_lshrrev_b32_e32 v44, v45, v44
; %bb.581:                              ;   in Loop: Header=BB4_144 Depth=3
	s_and_not1_saveexec_b32 s13, s13
; %bb.582:                              ;   in Loop: Header=BB4_144 Depth=3
	s_delay_alu instid0(VALU_DEP_1)
	v_bfe_u32 v68, v44, 23, 1
; %bb.583:                              ;   in Loop: Header=BB4_144 Depth=3
	s_or_b32 exec_lo, exec_lo, s13
	v_lshrrev_b32_e32 v44, 21, v44
	s_delay_alu instid0(VALU_DEP_2) | instskip(SKIP_2) | instid1(VALU_DEP_4)
	v_cmp_gt_i32_e32 vcc_lo, 32, v68
	v_lshrrev_b32_e32 v8, 24, v8
	v_min_i32_e32 v45, 31, v68
	v_cndmask_b32_e32 v44, 3, v44, vcc_lo
	s_delay_alu instid0(VALU_DEP_3) | instskip(NEXT) | instid1(VALU_DEP_3)
	v_and_b32_e32 v8, 0x80, v8
	v_lshlrev_b32_e32 v45, 2, v45
	s_delay_alu instid0(VALU_DEP_3) | instskip(SKIP_1) | instid1(VALU_DEP_2)
	v_and_b32_e32 v46, 3, v44
	v_or_b32_e32 v68, v68, v44
	v_or3_b32 v8, v45, v8, v46
	s_delay_alu instid0(VALU_DEP_2) | instskip(NEXT) | instid1(VALU_DEP_2)
	v_cmp_ne_u32_e32 vcc_lo, 0, v68
	v_cndmask_b32_e32 v44, 0, v8, vcc_lo
.LBB4_584:                              ;   in Loop: Header=BB4_144 Depth=3
	s_or_b32 exec_lo, exec_lo, s36
.LBB4_585:                              ;   in Loop: Header=BB4_144 Depth=3
	s_delay_alu instid0(SALU_CYCLE_1) | instskip(SKIP_3) | instid1(VALU_DEP_1)
	s_or_b32 exec_lo, exec_lo, s35
	v_and_b32_e32 v68, 0xff, v9
	s_mov_b32 s13, 0
	s_mov_b32 s36, exec_lo
                                        ; implicit-def: $sgpr35
	v_cmpx_lt_i16_e32 0x7f, v68
	s_xor_b32 s36, exec_lo, s36
	s_cbranch_execnz .LBB4_1063
; %bb.586:                              ;   in Loop: Header=BB4_144 Depth=3
	s_or_saveexec_b32 s36, s36
	v_mov_b32_e32 v8, s35
	s_xor_b32 exec_lo, exec_lo, s36
	s_cbranch_execnz .LBB4_1066
.LBB4_587:                              ;   in Loop: Header=BB4_144 Depth=3
	s_or_b32 exec_lo, exec_lo, s36
	s_and_saveexec_b32 s35, s13
	s_cbranch_execz .LBB4_589
.LBB4_588:                              ;   in Loop: Header=BB4_144 Depth=3
	v_and_b32_e32 v8, 3, v9
	v_bfe_u32 v46, v9, 2, 5
	v_lshlrev_b32_e32 v47, 24, v9
	s_delay_alu instid0(VALU_DEP_3) | instskip(NEXT) | instid1(VALU_DEP_3)
	v_clz_i32_u32_e32 v68, v8
	v_cmp_eq_u32_e32 vcc_lo, 0, v46
	s_delay_alu instid0(VALU_DEP_2) | instskip(NEXT) | instid1(VALU_DEP_1)
	v_min_u32_e32 v68, 32, v68
	v_subrev_nc_u32_e32 v45, 29, v68
	v_sub_nc_u32_e32 v68, 30, v68
	s_delay_alu instid0(VALU_DEP_1) | instskip(NEXT) | instid1(VALU_DEP_1)
	v_dual_cndmask_b32 v68, v46, v68 :: v_dual_lshlrev_b32 v45, v45, v9
	v_and_b32_e32 v45, 3, v45
	s_delay_alu instid0(VALU_DEP_2) | instskip(NEXT) | instid1(VALU_DEP_2)
	v_lshl_add_u32 v68, v68, 23, 0x37800000
	v_dual_cndmask_b32 v8, v8, v45 :: v_dual_and_b32 v45, 0x80000000, v47
	s_delay_alu instid0(VALU_DEP_1) | instskip(NEXT) | instid1(VALU_DEP_1)
	v_lshlrev_b32_e32 v8, 21, v8
	v_or3_b32 v8, v45, v68, v8
.LBB4_589:                              ;   in Loop: Header=BB4_144 Depth=3
	s_or_b32 exec_lo, exec_lo, s35
	s_delay_alu instid0(VALU_DEP_1) | instskip(SKIP_1) | instid1(VALU_DEP_1)
	v_dual_mul_f32 v8, s34, v8 :: v_dual_mov_b32 v45, 0x80
	s_mov_b32 s35, exec_lo
	v_and_b32_e32 v68, 0x7f800000, v8
	s_delay_alu instid0(VALU_DEP_1)
	v_cmpx_ne_u32_e32 0x7f800000, v68
	s_cbranch_execz .LBB4_597
; %bb.590:                              ;   in Loop: Header=BB4_144 Depth=3
	v_mov_b32_e32 v45, 0
	s_mov_b32 s36, exec_lo
	v_cmpx_ne_u32_e32 0, v8
	s_cbranch_execz .LBB4_596
; %bb.591:                              ;   in Loop: Header=BB4_144 Depth=3
	v_bfe_u32 v68, v8, 23, 8
	s_delay_alu instid0(VALU_DEP_1) | instskip(SKIP_1) | instid1(VALU_DEP_2)
	v_sub_nc_u32_e32 v46, 0x70, v68
	v_cmp_gt_u32_e32 vcc_lo, 0x71, v68
	v_dual_cndmask_b32 v46, 0, v46 :: v_dual_and_b32 v45, 0x7fffff, v8
	s_delay_alu instid0(VALU_DEP_1) | instskip(SKIP_2) | instid1(VALU_DEP_4)
	v_or_b32_e32 v47, 0x800000, v45
	v_cmp_eq_u32_e32 vcc_lo, 0, v68
	v_add_nc_u32_e32 v68, 0xffffff91, v68
	v_cndmask_b32_e64 v46, v46, 0x6f, vcc_lo
	s_delay_alu instid0(VALU_DEP_4) | instskip(NEXT) | instid1(VALU_DEP_3)
	v_cndmask_b32_e32 v45, v47, v45, vcc_lo
	v_cndmask_b32_e64 v68, v68, 0xffffff92, vcc_lo
	s_delay_alu instid0(VALU_DEP_3) | instskip(NEXT) | instid1(VALU_DEP_3)
	v_lshl_add_u32 v47, 0x200000, v46, -1
	v_lshrrev_b32_e32 v56, v46, v45
	v_lshlrev_b32_e64 v58, v46, 0x100000
	s_delay_alu instid0(VALU_DEP_4) | instskip(NEXT) | instid1(VALU_DEP_4)
	v_add_nc_u32_e32 v46, v46, v68
	v_and_b32_e32 v45, v47, v45
	s_delay_alu instid0(VALU_DEP_4) | instskip(NEXT) | instid1(VALU_DEP_2)
	v_bfe_u32 v57, v56, 21, 1
	v_cmp_eq_u32_e64 s13, v45, v58
	s_delay_alu instid0(VALU_DEP_2) | instskip(NEXT) | instid1(VALU_DEP_1)
	v_add_nc_u32_e32 v47, -1, v57
	v_cndmask_b32_e64 v45, 0, v47, s13
	v_lshrrev_b32_e32 v47, 23, v56
	s_mov_b32 s13, exec_lo
	s_delay_alu instid0(VALU_DEP_2) | instskip(NEXT) | instid1(VALU_DEP_2)
	v_add_nc_u32_e32 v45, v45, v56
	v_xor_b32_e32 v47, 1, v47
	s_delay_alu instid0(VALU_DEP_2) | instskip(NEXT) | instid1(VALU_DEP_1)
	v_and_b32_e32 v68, 0x1fffff, v45
	v_add_nc_u32_e32 v45, v68, v56
                                        ; implicit-def: $vgpr68
	s_delay_alu instid0(VALU_DEP_3)
	v_cmpx_ne_u32_e64 v46, v47
	s_xor_b32 s13, exec_lo, s13
; %bb.592:                              ;   in Loop: Header=BB4_144 Depth=3
	s_delay_alu instid0(VALU_DEP_2) | instskip(SKIP_2) | instid1(VALU_DEP_2)
	v_cmp_lt_u32_e32 vcc_lo, 0xffffff, v45
	v_sub_nc_u32_e32 v68, v46, v47
	v_cndmask_b32_e64 v46, 0, 1, vcc_lo
	v_add_co_ci_u32_e32 v68, vcc_lo, 0, v68, vcc_lo
	s_delay_alu instid0(VALU_DEP_2)
	v_lshrrev_b32_e32 v45, v46, v45
; %bb.593:                              ;   in Loop: Header=BB4_144 Depth=3
	s_and_not1_saveexec_b32 s13, s13
; %bb.594:                              ;   in Loop: Header=BB4_144 Depth=3
	s_delay_alu instid0(VALU_DEP_1)
	v_bfe_u32 v68, v45, 23, 1
; %bb.595:                              ;   in Loop: Header=BB4_144 Depth=3
	s_or_b32 exec_lo, exec_lo, s13
	v_lshrrev_b32_e32 v45, 21, v45
	s_delay_alu instid0(VALU_DEP_2) | instskip(SKIP_2) | instid1(VALU_DEP_2)
	v_cmp_gt_i32_e32 vcc_lo, 32, v68
	v_min_i32_e32 v46, 31, v68
	v_lshrrev_b32_e32 v8, 24, v8
	v_dual_cndmask_b32 v45, 3, v45 :: v_dual_lshlrev_b32 v46, 2, v46
	s_delay_alu instid0(VALU_DEP_2) | instskip(NEXT) | instid1(VALU_DEP_2)
	v_and_b32_e32 v8, 0x80, v8
	v_or_b32_e32 v68, v68, v45
	v_and_b32_e32 v47, 3, v45
	s_delay_alu instid0(VALU_DEP_2) | instskip(SKIP_1) | instid1(VALU_DEP_1)
	v_cmp_ne_u32_e32 vcc_lo, 0, v68
	v_and_b32_e32 v46, 0xfc, v46
	v_or3_b32 v8, v46, v8, v47
	s_delay_alu instid0(VALU_DEP_1)
	v_cndmask_b32_e32 v45, 0, v8, vcc_lo
.LBB4_596:                              ;   in Loop: Header=BB4_144 Depth=3
	s_or_b32 exec_lo, exec_lo, s36
.LBB4_597:                              ;   in Loop: Header=BB4_144 Depth=3
	s_delay_alu instid0(SALU_CYCLE_1) | instskip(SKIP_3) | instid1(VALU_DEP_1)
	s_or_b32 exec_lo, exec_lo, s35
	v_lshrrev_b16 v8, 8, v9
	s_mov_b32 s13, 0
	s_mov_b32 s36, exec_lo
                                        ; implicit-def: $sgpr35
	v_cmpx_lt_i16_e32 0x7f, v8
	s_xor_b32 s36, exec_lo, s36
	s_cbranch_execnz .LBB4_1067
; %bb.598:                              ;   in Loop: Header=BB4_144 Depth=3
	s_or_saveexec_b32 s36, s36
	v_mov_b32_e32 v68, s35
	s_xor_b32 exec_lo, exec_lo, s36
	s_cbranch_execnz .LBB4_1070
.LBB4_599:                              ;   in Loop: Header=BB4_144 Depth=3
	s_or_b32 exec_lo, exec_lo, s36
	s_and_saveexec_b32 s35, s13
	s_cbranch_execz .LBB4_601
.LBB4_600:                              ;   in Loop: Header=BB4_144 Depth=3
	v_and_b32_e32 v68, 0xffff, v8
	v_lshlrev_b32_e32 v8, 24, v8
	s_delay_alu instid0(VALU_DEP_2) | instskip(NEXT) | instid1(VALU_DEP_2)
	v_and_b32_e32 v46, 3, v68
	v_and_b32_e32 v8, 0x80000000, v8
	s_delay_alu instid0(VALU_DEP_2) | instskip(NEXT) | instid1(VALU_DEP_1)
	v_clz_i32_u32_e32 v47, v46
	v_min_u32_e32 v47, 32, v47
	s_delay_alu instid0(VALU_DEP_1) | instskip(SKIP_1) | instid1(VALU_DEP_2)
	v_subrev_nc_u32_e32 v56, 29, v47
	v_sub_nc_u32_e32 v47, 30, v47
	v_lshlrev_b32_e32 v56, v56, v68
	v_bfe_u32 v68, v68, 2, 5
	s_delay_alu instid0(VALU_DEP_2) | instskip(NEXT) | instid1(VALU_DEP_2)
	v_and_b32_e32 v56, 3, v56
	v_cmp_eq_u32_e32 vcc_lo, 0, v68
	v_cndmask_b32_e32 v68, v68, v47, vcc_lo
	s_delay_alu instid0(VALU_DEP_3) | instskip(NEXT) | instid1(VALU_DEP_2)
	v_cndmask_b32_e32 v46, v46, v56, vcc_lo
	v_lshl_add_u32 v68, v68, 23, 0x37800000
	s_delay_alu instid0(VALU_DEP_2) | instskip(NEXT) | instid1(VALU_DEP_1)
	v_lshlrev_b32_e32 v46, 21, v46
	v_or3_b32 v68, v8, v68, v46
.LBB4_601:                              ;   in Loop: Header=BB4_144 Depth=3
	s_or_b32 exec_lo, exec_lo, s35
	s_delay_alu instid0(VALU_DEP_1) | instskip(SKIP_2) | instid1(VALU_DEP_2)
	v_mul_f32_e32 v8, s34, v68
	v_mov_b32_e32 v46, 0x8000
	s_mov_b32 s35, exec_lo
	v_and_b32_e32 v68, 0x7f800000, v8
	s_delay_alu instid0(VALU_DEP_1)
	v_cmpx_ne_u32_e32 0x7f800000, v68
	s_cbranch_execz .LBB4_609
; %bb.602:                              ;   in Loop: Header=BB4_144 Depth=3
	v_mov_b32_e32 v46, 0
	s_mov_b32 s36, exec_lo
	v_cmpx_ne_u32_e32 0, v8
	s_cbranch_execz .LBB4_608
; %bb.603:                              ;   in Loop: Header=BB4_144 Depth=3
	v_bfe_u32 v68, v8, 23, 8
	s_delay_alu instid0(VALU_DEP_1) | instskip(SKIP_1) | instid1(VALU_DEP_2)
	v_sub_nc_u32_e32 v47, 0x70, v68
	v_cmp_gt_u32_e32 vcc_lo, 0x71, v68
	v_dual_cndmask_b32 v47, 0, v47 :: v_dual_and_b32 v46, 0x7fffff, v8
	s_delay_alu instid0(VALU_DEP_1) | instskip(SKIP_2) | instid1(VALU_DEP_4)
	v_or_b32_e32 v56, 0x800000, v46
	v_cmp_eq_u32_e32 vcc_lo, 0, v68
	v_add_nc_u32_e32 v68, 0xffffff91, v68
	v_cndmask_b32_e64 v47, v47, 0x6f, vcc_lo
	s_delay_alu instid0(VALU_DEP_2) | instskip(SKIP_1) | instid1(VALU_DEP_3)
	v_cndmask_b32_e64 v68, v68, 0xffffff92, vcc_lo
	v_cndmask_b32_e32 v46, v56, v46, vcc_lo
	v_lshl_add_u32 v56, 0x200000, v47, -1
	v_lshlrev_b32_e64 v59, v47, 0x100000
	s_delay_alu instid0(VALU_DEP_3) | instskip(SKIP_1) | instid1(VALU_DEP_4)
	v_lshrrev_b32_e32 v57, v47, v46
	v_add_nc_u32_e32 v47, v47, v68
	v_and_b32_e32 v46, v56, v46
	s_delay_alu instid0(VALU_DEP_3) | instskip(NEXT) | instid1(VALU_DEP_2)
	v_bfe_u32 v58, v57, 21, 1
	v_cmp_eq_u32_e64 s13, v46, v59
	s_delay_alu instid0(VALU_DEP_2) | instskip(NEXT) | instid1(VALU_DEP_1)
	v_add_nc_u32_e32 v56, -1, v58
	v_cndmask_b32_e64 v46, 0, v56, s13
	v_lshrrev_b32_e32 v56, 23, v57
	s_mov_b32 s13, exec_lo
	s_delay_alu instid0(VALU_DEP_2) | instskip(NEXT) | instid1(VALU_DEP_2)
	v_add_nc_u32_e32 v46, v46, v57
	v_xor_b32_e32 v56, 1, v56
	s_delay_alu instid0(VALU_DEP_2) | instskip(NEXT) | instid1(VALU_DEP_1)
	v_and_b32_e32 v68, 0x1fffff, v46
	v_add_nc_u32_e32 v46, v68, v57
                                        ; implicit-def: $vgpr68
	s_delay_alu instid0(VALU_DEP_3)
	v_cmpx_ne_u32_e64 v47, v56
	s_xor_b32 s13, exec_lo, s13
; %bb.604:                              ;   in Loop: Header=BB4_144 Depth=3
	s_delay_alu instid0(VALU_DEP_2) | instskip(SKIP_2) | instid1(VALU_DEP_2)
	v_cmp_lt_u32_e32 vcc_lo, 0xffffff, v46
	v_sub_nc_u32_e32 v68, v47, v56
	v_cndmask_b32_e64 v47, 0, 1, vcc_lo
	v_add_co_ci_u32_e32 v68, vcc_lo, 0, v68, vcc_lo
	s_delay_alu instid0(VALU_DEP_2)
	v_lshrrev_b32_e32 v46, v47, v46
; %bb.605:                              ;   in Loop: Header=BB4_144 Depth=3
	s_and_not1_saveexec_b32 s13, s13
; %bb.606:                              ;   in Loop: Header=BB4_144 Depth=3
	s_delay_alu instid0(VALU_DEP_1)
	v_bfe_u32 v68, v46, 23, 1
; %bb.607:                              ;   in Loop: Header=BB4_144 Depth=3
	s_or_b32 exec_lo, exec_lo, s13
	v_lshrrev_b32_e32 v46, 21, v46
	s_delay_alu instid0(VALU_DEP_2) | instskip(SKIP_2) | instid1(VALU_DEP_2)
	v_cmp_gt_i32_e32 vcc_lo, 32, v68
	v_min_i32_e32 v47, 31, v68
	v_lshrrev_b32_e32 v8, 24, v8
	v_dual_cndmask_b32 v46, 3, v46 :: v_dual_lshlrev_b32 v47, 2, v47
	s_delay_alu instid0(VALU_DEP_2) | instskip(NEXT) | instid1(VALU_DEP_2)
	v_and_b32_e32 v8, 0x80, v8
	v_or_b32_e32 v68, v68, v46
	v_and_b32_e32 v56, 3, v46
	s_delay_alu instid0(VALU_DEP_2) | instskip(SKIP_1) | instid1(VALU_DEP_1)
	v_cmp_ne_u32_e32 vcc_lo, 0, v68
	v_and_b32_e32 v47, 0xfc, v47
	v_or3_b32 v8, v8, v47, v56
	s_delay_alu instid0(VALU_DEP_1) | instskip(NEXT) | instid1(VALU_DEP_1)
	v_lshlrev_b32_e32 v8, 8, v8
	v_cndmask_b32_e32 v46, 0, v8, vcc_lo
.LBB4_608:                              ;   in Loop: Header=BB4_144 Depth=3
	s_or_b32 exec_lo, exec_lo, s36
.LBB4_609:                              ;   in Loop: Header=BB4_144 Depth=3
	s_delay_alu instid0(SALU_CYCLE_1) | instskip(SKIP_3) | instid1(VALU_DEP_1)
	s_or_b32 exec_lo, exec_lo, s35
	v_lshrrev_b32_e32 v8, 16, v9
	s_mov_b32 s13, 0
	s_mov_b32 s36, exec_lo
                                        ; implicit-def: $sgpr35
	v_and_b32_e32 v47, 0xff, v8
	s_delay_alu instid0(VALU_DEP_1)
	v_cmpx_lt_i16_e32 0x7f, v47
	s_xor_b32 s36, exec_lo, s36
	s_cbranch_execnz .LBB4_1071
; %bb.610:                              ;   in Loop: Header=BB4_144 Depth=3
	s_or_saveexec_b32 s36, s36
	v_mov_b32_e32 v68, s35
	s_xor_b32 exec_lo, exec_lo, s36
	s_cbranch_execnz .LBB4_1074
.LBB4_611:                              ;   in Loop: Header=BB4_144 Depth=3
	s_or_b32 exec_lo, exec_lo, s36
	s_and_saveexec_b32 s35, s13
	s_cbranch_execz .LBB4_613
.LBB4_612:                              ;   in Loop: Header=BB4_144 Depth=3
	v_bfe_u32 v68, v9, 16, 2
	s_delay_alu instid0(VALU_DEP_1) | instskip(NEXT) | instid1(VALU_DEP_1)
	v_clz_i32_u32_e32 v47, v68
	v_min_u32_e32 v47, 32, v47
	s_delay_alu instid0(VALU_DEP_1) | instskip(SKIP_1) | instid1(VALU_DEP_2)
	v_subrev_nc_u32_e32 v56, 29, v47
	v_sub_nc_u32_e32 v47, 30, v47
	v_lshlrev_b32_e32 v8, v56, v8
	v_bfe_u32 v56, v9, 18, 5
	s_delay_alu instid0(VALU_DEP_1) | instskip(NEXT) | instid1(VALU_DEP_3)
	v_cmp_eq_u32_e32 vcc_lo, 0, v56
	v_dual_cndmask_b32 v47, v56, v47 :: v_dual_and_b32 v8, 3, v8
	s_delay_alu instid0(VALU_DEP_1) | instskip(NEXT) | instid1(VALU_DEP_2)
	v_dual_cndmask_b32 v8, v68, v8 :: v_dual_lshlrev_b32 v57, 8, v9
	v_lshl_add_u32 v47, v47, 23, 0x37800000
	s_delay_alu instid0(VALU_DEP_2) | instskip(NEXT) | instid1(VALU_DEP_3)
	v_and_b32_e32 v68, 0x80000000, v57
	v_lshlrev_b32_e32 v8, 21, v8
	s_delay_alu instid0(VALU_DEP_1)
	v_or3_b32 v68, v68, v47, v8
.LBB4_613:                              ;   in Loop: Header=BB4_144 Depth=3
	s_or_b32 exec_lo, exec_lo, s35
	s_delay_alu instid0(VALU_DEP_1) | instskip(NEXT) | instid1(VALU_DEP_1)
	v_mul_f32_e32 v8, s34, v68
	v_and_b32_e32 v68, 0x7f800000, v8
	s_delay_alu instid0(VALU_DEP_1)
	v_cmp_ne_u32_e32 vcc_lo, 0x7f800000, v68
	v_mov_b32_e32 v68, 0x80
	s_and_saveexec_b32 s35, vcc_lo
	s_cbranch_execz .LBB4_621
; %bb.614:                              ;   in Loop: Header=BB4_144 Depth=3
	v_mov_b32_e32 v68, 0
	s_mov_b32 s36, exec_lo
	v_cmpx_ne_u32_e32 0, v8
	s_cbranch_execz .LBB4_620
; %bb.615:                              ;   in Loop: Header=BB4_144 Depth=3
	v_bfe_u32 v68, v8, 23, 8
	v_and_b32_e32 v47, 0x7fffff, v8
	s_delay_alu instid0(VALU_DEP_2) | instskip(SKIP_1) | instid1(VALU_DEP_3)
	v_sub_nc_u32_e32 v56, 0x70, v68
	v_cmp_gt_u32_e32 vcc_lo, 0x71, v68
	v_or_b32_e32 v57, 0x800000, v47
	s_delay_alu instid0(VALU_DEP_3) | instskip(SKIP_1) | instid1(VALU_DEP_3)
	v_cndmask_b32_e32 v56, 0, v56, vcc_lo
	v_cmp_eq_u32_e32 vcc_lo, 0, v68
	v_dual_cndmask_b32 v47, v57, v47 :: v_dual_add_nc_u32 v68, 0xffffff91, v68
	s_delay_alu instid0(VALU_DEP_3) | instskip(NEXT) | instid1(VALU_DEP_2)
	v_cndmask_b32_e64 v56, v56, 0x6f, vcc_lo
	v_cndmask_b32_e64 v68, v68, 0xffffff92, vcc_lo
	s_delay_alu instid0(VALU_DEP_2) | instskip(SKIP_2) | instid1(VALU_DEP_4)
	v_lshrrev_b32_e32 v58, v56, v47
	v_lshl_add_u32 v57, 0x200000, v56, -1
	v_lshlrev_b32_e64 v60, v56, 0x100000
	v_add_nc_u32_e32 v56, v56, v68
	s_delay_alu instid0(VALU_DEP_4) | instskip(NEXT) | instid1(VALU_DEP_4)
	v_bfe_u32 v59, v58, 21, 1
	v_and_b32_e32 v47, v57, v47
	s_delay_alu instid0(VALU_DEP_2) | instskip(NEXT) | instid1(VALU_DEP_2)
	v_add_nc_u32_e32 v57, -1, v59
	v_cmp_eq_u32_e64 s13, v47, v60
	s_delay_alu instid0(VALU_DEP_1) | instskip(SKIP_2) | instid1(VALU_DEP_2)
	v_cndmask_b32_e64 v47, 0, v57, s13
	v_lshrrev_b32_e32 v57, 23, v58
	s_mov_b32 s13, exec_lo
	v_add_nc_u32_e32 v47, v47, v58
	s_delay_alu instid0(VALU_DEP_2) | instskip(NEXT) | instid1(VALU_DEP_2)
	v_xor_b32_e32 v57, 1, v57
	v_and_b32_e32 v68, 0x1fffff, v47
	s_delay_alu instid0(VALU_DEP_1) | instskip(NEXT) | instid1(VALU_DEP_3)
	v_add_nc_u32_e32 v47, v68, v58
                                        ; implicit-def: $vgpr68
	v_cmpx_ne_u32_e64 v56, v57
	s_xor_b32 s13, exec_lo, s13
; %bb.616:                              ;   in Loop: Header=BB4_144 Depth=3
	s_delay_alu instid0(VALU_DEP_2) | instskip(SKIP_2) | instid1(VALU_DEP_2)
	v_cmp_lt_u32_e32 vcc_lo, 0xffffff, v47
	v_sub_nc_u32_e32 v68, v56, v57
	v_cndmask_b32_e64 v56, 0, 1, vcc_lo
	v_add_co_ci_u32_e32 v68, vcc_lo, 0, v68, vcc_lo
	s_delay_alu instid0(VALU_DEP_2)
	v_lshrrev_b32_e32 v47, v56, v47
; %bb.617:                              ;   in Loop: Header=BB4_144 Depth=3
	s_and_not1_saveexec_b32 s13, s13
; %bb.618:                              ;   in Loop: Header=BB4_144 Depth=3
	s_delay_alu instid0(VALU_DEP_1)
	v_bfe_u32 v68, v47, 23, 1
; %bb.619:                              ;   in Loop: Header=BB4_144 Depth=3
	s_or_b32 exec_lo, exec_lo, s13
	v_lshrrev_b32_e32 v47, 21, v47
	s_delay_alu instid0(VALU_DEP_2) | instskip(SKIP_2) | instid1(VALU_DEP_2)
	v_cmp_gt_i32_e32 vcc_lo, 32, v68
	v_min_i32_e32 v56, 31, v68
	v_lshrrev_b32_e32 v8, 24, v8
	v_dual_cndmask_b32 v47, 3, v47 :: v_dual_lshlrev_b32 v56, 2, v56
	s_delay_alu instid0(VALU_DEP_2) | instskip(NEXT) | instid1(VALU_DEP_2)
	v_and_b32_e32 v8, 0x80, v8
	v_or_b32_e32 v68, v68, v47
	s_delay_alu instid0(VALU_DEP_3) | instskip(NEXT) | instid1(VALU_DEP_2)
	v_and_b32_e32 v56, 0xfc, v56
	v_cmp_ne_u32_e32 vcc_lo, 0, v68
	v_and_b32_e32 v57, 3, v47
	s_delay_alu instid0(VALU_DEP_1) | instskip(NEXT) | instid1(VALU_DEP_1)
	v_or3_b32 v8, v56, v8, v57
	v_cndmask_b32_e32 v68, 0, v8, vcc_lo
.LBB4_620:                              ;   in Loop: Header=BB4_144 Depth=3
	s_or_b32 exec_lo, exec_lo, s36
.LBB4_621:                              ;   in Loop: Header=BB4_144 Depth=3
	s_delay_alu instid0(SALU_CYCLE_1) | instskip(SKIP_3) | instid1(VALU_DEP_1)
	s_or_b32 exec_lo, exec_lo, s35
	v_lshrrev_b32_e32 v8, 24, v9
	s_mov_b32 s13, 0
	s_mov_b32 s36, exec_lo
                                        ; implicit-def: $sgpr35
	v_cmpx_lt_i16_e32 0x7f, v8
	s_xor_b32 s36, exec_lo, s36
	s_cbranch_execnz .LBB4_1075
; %bb.622:                              ;   in Loop: Header=BB4_144 Depth=3
	s_or_saveexec_b32 s36, s36
	v_mov_b32_e32 v47, s35
	s_xor_b32 exec_lo, exec_lo, s36
	s_cbranch_execnz .LBB4_1078
.LBB4_623:                              ;   in Loop: Header=BB4_144 Depth=3
	s_or_b32 exec_lo, exec_lo, s36
	s_and_saveexec_b32 s35, s13
	s_cbranch_execz .LBB4_625
.LBB4_624:                              ;   in Loop: Header=BB4_144 Depth=3
	v_bfe_u32 v47, v9, 24, 2
	s_delay_alu instid0(VALU_DEP_1) | instskip(NEXT) | instid1(VALU_DEP_1)
	v_clz_i32_u32_e32 v56, v47
	v_min_u32_e32 v56, 32, v56
	s_delay_alu instid0(VALU_DEP_1) | instskip(SKIP_1) | instid1(VALU_DEP_2)
	v_subrev_nc_u32_e32 v57, 29, v56
	v_sub_nc_u32_e32 v56, 30, v56
	v_lshlrev_b32_e32 v8, v57, v8
	v_bfe_u32 v57, v9, 26, 5
	v_and_b32_e32 v9, 0x80000000, v9
	s_delay_alu instid0(VALU_DEP_3) | instskip(NEXT) | instid1(VALU_DEP_3)
	v_and_b32_e32 v8, 3, v8
	v_cmp_eq_u32_e32 vcc_lo, 0, v57
	v_cndmask_b32_e32 v56, v57, v56, vcc_lo
	s_delay_alu instid0(VALU_DEP_3) | instskip(NEXT) | instid1(VALU_DEP_2)
	v_cndmask_b32_e32 v8, v47, v8, vcc_lo
	v_lshl_add_u32 v47, v56, 23, 0x37800000
	s_delay_alu instid0(VALU_DEP_2) | instskip(NEXT) | instid1(VALU_DEP_1)
	v_lshlrev_b32_e32 v8, 21, v8
	v_or3_b32 v47, v9, v47, v8
.LBB4_625:                              ;   in Loop: Header=BB4_144 Depth=3
	s_or_b32 exec_lo, exec_lo, s35
	s_delay_alu instid0(VALU_DEP_1) | instskip(SKIP_1) | instid1(VALU_DEP_1)
	v_dual_mul_f32 v8, s34, v47 :: v_dual_mov_b32 v47, 0x8000
	s_mov_b32 s35, exec_lo
	v_and_b32_e32 v9, 0x7f800000, v8
	s_delay_alu instid0(VALU_DEP_1)
	v_cmpx_ne_u32_e32 0x7f800000, v9
	s_cbranch_execz .LBB4_633
; %bb.626:                              ;   in Loop: Header=BB4_144 Depth=3
	v_mov_b32_e32 v47, 0
	s_mov_b32 s36, exec_lo
	v_cmpx_ne_u32_e32 0, v8
	s_cbranch_execz .LBB4_632
; %bb.627:                              ;   in Loop: Header=BB4_144 Depth=3
	v_bfe_u32 v9, v8, 23, 8
	v_and_b32_e32 v47, 0x7fffff, v8
	s_delay_alu instid0(VALU_DEP_2) | instskip(SKIP_1) | instid1(VALU_DEP_3)
	v_sub_nc_u32_e32 v56, 0x70, v9
	v_cmp_gt_u32_e32 vcc_lo, 0x71, v9
	v_or_b32_e32 v57, 0x800000, v47
	s_delay_alu instid0(VALU_DEP_3) | instskip(SKIP_2) | instid1(VALU_DEP_4)
	v_cndmask_b32_e32 v56, 0, v56, vcc_lo
	v_cmp_eq_u32_e32 vcc_lo, 0, v9
	v_add_nc_u32_e32 v9, 0xffffff91, v9
	v_cndmask_b32_e32 v47, v57, v47, vcc_lo
	s_delay_alu instid0(VALU_DEP_4) | instskip(NEXT) | instid1(VALU_DEP_3)
	v_cndmask_b32_e64 v56, v56, 0x6f, vcc_lo
	v_cndmask_b32_e64 v9, v9, 0xffffff92, vcc_lo
	s_delay_alu instid0(VALU_DEP_2) | instskip(SKIP_2) | instid1(VALU_DEP_4)
	v_lshrrev_b32_e32 v58, v56, v47
	v_lshl_add_u32 v57, 0x200000, v56, -1
	v_lshlrev_b32_e64 v60, v56, 0x100000
	v_add_nc_u32_e32 v56, v56, v9
	s_delay_alu instid0(VALU_DEP_4) | instskip(NEXT) | instid1(VALU_DEP_4)
	v_bfe_u32 v59, v58, 21, 1
	v_and_b32_e32 v47, v57, v47
	s_delay_alu instid0(VALU_DEP_2) | instskip(NEXT) | instid1(VALU_DEP_2)
	v_add_nc_u32_e32 v57, -1, v59
	v_cmp_eq_u32_e64 s13, v47, v60
	s_delay_alu instid0(VALU_DEP_1) | instskip(SKIP_2) | instid1(VALU_DEP_2)
	v_cndmask_b32_e64 v47, 0, v57, s13
	v_lshrrev_b32_e32 v57, 23, v58
	s_mov_b32 s13, exec_lo
	v_add_nc_u32_e32 v47, v47, v58
	s_delay_alu instid0(VALU_DEP_2) | instskip(NEXT) | instid1(VALU_DEP_2)
	v_xor_b32_e32 v57, 1, v57
	v_and_b32_e32 v9, 0x1fffff, v47
	s_delay_alu instid0(VALU_DEP_1) | instskip(NEXT) | instid1(VALU_DEP_3)
	v_add_nc_u32_e32 v47, v9, v58
                                        ; implicit-def: $vgpr9
	v_cmpx_ne_u32_e64 v56, v57
	s_xor_b32 s13, exec_lo, s13
; %bb.628:                              ;   in Loop: Header=BB4_144 Depth=3
	s_delay_alu instid0(VALU_DEP_2) | instskip(SKIP_2) | instid1(VALU_DEP_2)
	v_cmp_lt_u32_e32 vcc_lo, 0xffffff, v47
	v_sub_nc_u32_e32 v9, v56, v57
	v_cndmask_b32_e64 v56, 0, 1, vcc_lo
	v_add_co_ci_u32_e32 v9, vcc_lo, 0, v9, vcc_lo
	s_delay_alu instid0(VALU_DEP_2)
	v_lshrrev_b32_e32 v47, v56, v47
; %bb.629:                              ;   in Loop: Header=BB4_144 Depth=3
	s_and_not1_saveexec_b32 s13, s13
; %bb.630:                              ;   in Loop: Header=BB4_144 Depth=3
	s_delay_alu instid0(VALU_DEP_1)
	v_bfe_u32 v9, v47, 23, 1
; %bb.631:                              ;   in Loop: Header=BB4_144 Depth=3
	s_or_b32 exec_lo, exec_lo, s13
	v_lshrrev_b32_e32 v47, 21, v47
	s_delay_alu instid0(VALU_DEP_2) | instskip(SKIP_2) | instid1(VALU_DEP_3)
	v_min_i32_e32 v56, 31, v9
	v_cmp_gt_i32_e32 vcc_lo, 32, v9
	v_lshrrev_b32_e32 v8, 24, v8
	v_dual_cndmask_b32 v47, 3, v47 :: v_dual_lshlrev_b32 v56, 2, v56
	s_delay_alu instid0(VALU_DEP_2) | instskip(NEXT) | instid1(VALU_DEP_2)
	v_and_b32_e32 v8, 0x80, v8
	v_and_b32_e32 v56, 0xfc, v56
	s_delay_alu instid0(VALU_DEP_3) | instskip(SKIP_1) | instid1(VALU_DEP_2)
	v_and_b32_e32 v57, 3, v47
	v_or_b32_e32 v9, v9, v47
	v_or3_b32 v8, v8, v56, v57
	s_delay_alu instid0(VALU_DEP_2) | instskip(NEXT) | instid1(VALU_DEP_2)
	v_cmp_ne_u32_e32 vcc_lo, 0, v9
	v_lshlrev_b32_e32 v8, 8, v8
	s_delay_alu instid0(VALU_DEP_1)
	v_cndmask_b32_e32 v47, 0, v8, vcc_lo
.LBB4_632:                              ;   in Loop: Header=BB4_144 Depth=3
	s_or_b32 exec_lo, exec_lo, s36
.LBB4_633:                              ;   in Loop: Header=BB4_144 Depth=3
	s_delay_alu instid0(SALU_CYCLE_1) | instskip(SKIP_3) | instid1(VALU_DEP_1)
	s_or_b32 exec_lo, exec_lo, s35
	v_and_b32_e32 v9, 0xff, v10
	s_mov_b32 s13, 0
	s_mov_b32 s36, exec_lo
                                        ; implicit-def: $sgpr35
	v_cmpx_lt_i16_e32 0x7f, v9
	s_xor_b32 s36, exec_lo, s36
	s_cbranch_execnz .LBB4_1079
; %bb.634:                              ;   in Loop: Header=BB4_144 Depth=3
	s_or_saveexec_b32 s36, s36
	v_mov_b32_e32 v8, s35
	s_xor_b32 exec_lo, exec_lo, s36
	s_cbranch_execnz .LBB4_1082
.LBB4_635:                              ;   in Loop: Header=BB4_144 Depth=3
	s_or_b32 exec_lo, exec_lo, s36
	s_and_saveexec_b32 s35, s13
	s_cbranch_execz .LBB4_637
.LBB4_636:                              ;   in Loop: Header=BB4_144 Depth=3
	v_bfe_u32 v57, v10, 2, 5
	v_lshlrev_b32_e32 v58, 24, v10
	s_delay_alu instid0(VALU_DEP_2) | instskip(SKIP_1) | instid1(VALU_DEP_1)
	v_cmp_eq_u32_e32 vcc_lo, 0, v57
	v_and_b32_e32 v8, 3, v10
	v_clz_i32_u32_e32 v9, v8
	s_delay_alu instid0(VALU_DEP_1) | instskip(NEXT) | instid1(VALU_DEP_1)
	v_min_u32_e32 v9, 32, v9
	v_subrev_nc_u32_e32 v56, 29, v9
	v_sub_nc_u32_e32 v9, 30, v9
	s_delay_alu instid0(VALU_DEP_1) | instskip(NEXT) | instid1(VALU_DEP_1)
	v_dual_cndmask_b32 v9, v57, v9 :: v_dual_lshlrev_b32 v56, v56, v10
	v_and_b32_e32 v56, 3, v56
	s_delay_alu instid0(VALU_DEP_2) | instskip(NEXT) | instid1(VALU_DEP_2)
	v_lshl_add_u32 v9, v9, 23, 0x37800000
	v_cndmask_b32_e32 v8, v8, v56, vcc_lo
	v_and_b32_e32 v56, 0x80000000, v58
	s_delay_alu instid0(VALU_DEP_2) | instskip(NEXT) | instid1(VALU_DEP_1)
	v_lshlrev_b32_e32 v8, 21, v8
	v_or3_b32 v8, v56, v9, v8
.LBB4_637:                              ;   in Loop: Header=BB4_144 Depth=3
	s_or_b32 exec_lo, exec_lo, s35
	s_delay_alu instid0(VALU_DEP_1) | instskip(SKIP_2) | instid1(VALU_DEP_2)
	v_mul_f32_e32 v8, s34, v8
	v_mov_b32_e32 v56, 0x80
	s_mov_b32 s35, exec_lo
	v_and_b32_e32 v9, 0x7f800000, v8
	s_delay_alu instid0(VALU_DEP_1)
	v_cmpx_ne_u32_e32 0x7f800000, v9
	s_cbranch_execz .LBB4_645
; %bb.638:                              ;   in Loop: Header=BB4_144 Depth=3
	v_mov_b32_e32 v56, 0
	s_mov_b32 s36, exec_lo
	v_cmpx_ne_u32_e32 0, v8
	s_cbranch_execz .LBB4_644
; %bb.639:                              ;   in Loop: Header=BB4_144 Depth=3
	v_bfe_u32 v9, v8, 23, 8
	s_delay_alu instid0(VALU_DEP_1) | instskip(SKIP_1) | instid1(VALU_DEP_2)
	v_sub_nc_u32_e32 v57, 0x70, v9
	v_cmp_gt_u32_e32 vcc_lo, 0x71, v9
	v_dual_cndmask_b32 v57, 0, v57 :: v_dual_and_b32 v56, 0x7fffff, v8
	s_delay_alu instid0(VALU_DEP_1) | instskip(SKIP_2) | instid1(VALU_DEP_4)
	v_or_b32_e32 v58, 0x800000, v56
	v_cmp_eq_u32_e32 vcc_lo, 0, v9
	v_add_nc_u32_e32 v9, 0xffffff91, v9
	v_cndmask_b32_e64 v57, v57, 0x6f, vcc_lo
	s_delay_alu instid0(VALU_DEP_4) | instskip(NEXT) | instid1(VALU_DEP_3)
	v_cndmask_b32_e32 v56, v58, v56, vcc_lo
	v_cndmask_b32_e64 v9, v9, 0xffffff92, vcc_lo
	s_delay_alu instid0(VALU_DEP_3) | instskip(NEXT) | instid1(VALU_DEP_3)
	v_lshl_add_u32 v58, 0x200000, v57, -1
	v_lshrrev_b32_e32 v59, v57, v56
	v_lshlrev_b32_e64 v61, v57, 0x100000
	s_delay_alu instid0(VALU_DEP_4) | instskip(NEXT) | instid1(VALU_DEP_4)
	v_add_nc_u32_e32 v57, v57, v9
	v_and_b32_e32 v56, v58, v56
	s_delay_alu instid0(VALU_DEP_4) | instskip(NEXT) | instid1(VALU_DEP_2)
	v_bfe_u32 v60, v59, 21, 1
	v_cmp_eq_u32_e64 s13, v56, v61
	s_delay_alu instid0(VALU_DEP_2) | instskip(NEXT) | instid1(VALU_DEP_1)
	v_add_nc_u32_e32 v58, -1, v60
	v_cndmask_b32_e64 v56, 0, v58, s13
	v_lshrrev_b32_e32 v58, 23, v59
	s_mov_b32 s13, exec_lo
	s_delay_alu instid0(VALU_DEP_2) | instskip(NEXT) | instid1(VALU_DEP_2)
	v_add_nc_u32_e32 v56, v56, v59
	v_xor_b32_e32 v58, 1, v58
	s_delay_alu instid0(VALU_DEP_2) | instskip(NEXT) | instid1(VALU_DEP_1)
	v_and_b32_e32 v9, 0x1fffff, v56
	v_add_nc_u32_e32 v56, v9, v59
                                        ; implicit-def: $vgpr9
	s_delay_alu instid0(VALU_DEP_3)
	v_cmpx_ne_u32_e64 v57, v58
	s_xor_b32 s13, exec_lo, s13
; %bb.640:                              ;   in Loop: Header=BB4_144 Depth=3
	s_delay_alu instid0(VALU_DEP_2) | instskip(SKIP_2) | instid1(VALU_DEP_2)
	v_cmp_lt_u32_e32 vcc_lo, 0xffffff, v56
	v_sub_nc_u32_e32 v9, v57, v58
	v_cndmask_b32_e64 v57, 0, 1, vcc_lo
	v_add_co_ci_u32_e32 v9, vcc_lo, 0, v9, vcc_lo
	s_delay_alu instid0(VALU_DEP_2)
	v_lshrrev_b32_e32 v56, v57, v56
; %bb.641:                              ;   in Loop: Header=BB4_144 Depth=3
	s_and_not1_saveexec_b32 s13, s13
; %bb.642:                              ;   in Loop: Header=BB4_144 Depth=3
	s_delay_alu instid0(VALU_DEP_1)
	v_bfe_u32 v9, v56, 23, 1
; %bb.643:                              ;   in Loop: Header=BB4_144 Depth=3
	s_or_b32 exec_lo, exec_lo, s13
	v_lshrrev_b32_e32 v56, 21, v56
	s_delay_alu instid0(VALU_DEP_2) | instskip(SKIP_2) | instid1(VALU_DEP_4)
	v_cmp_gt_i32_e32 vcc_lo, 32, v9
	v_lshrrev_b32_e32 v8, 24, v8
	v_min_i32_e32 v57, 31, v9
	v_cndmask_b32_e32 v56, 3, v56, vcc_lo
	s_delay_alu instid0(VALU_DEP_3) | instskip(NEXT) | instid1(VALU_DEP_3)
	v_and_b32_e32 v8, 0x80, v8
	v_lshlrev_b32_e32 v57, 2, v57
	s_delay_alu instid0(VALU_DEP_3) | instskip(SKIP_1) | instid1(VALU_DEP_2)
	v_and_b32_e32 v58, 3, v56
	v_or_b32_e32 v9, v9, v56
	v_or3_b32 v8, v57, v8, v58
	s_delay_alu instid0(VALU_DEP_2) | instskip(NEXT) | instid1(VALU_DEP_2)
	v_cmp_ne_u32_e32 vcc_lo, 0, v9
	v_cndmask_b32_e32 v56, 0, v8, vcc_lo
.LBB4_644:                              ;   in Loop: Header=BB4_144 Depth=3
	s_or_b32 exec_lo, exec_lo, s36
.LBB4_645:                              ;   in Loop: Header=BB4_144 Depth=3
	s_delay_alu instid0(SALU_CYCLE_1) | instskip(SKIP_3) | instid1(VALU_DEP_1)
	s_or_b32 exec_lo, exec_lo, s35
	v_lshrrev_b16 v8, 8, v10
	s_mov_b32 s13, 0
	s_mov_b32 s36, exec_lo
                                        ; implicit-def: $sgpr35
	v_cmpx_lt_i16_e32 0x7f, v8
	s_xor_b32 s36, exec_lo, s36
	s_cbranch_execnz .LBB4_1083
; %bb.646:                              ;   in Loop: Header=BB4_144 Depth=3
	s_or_saveexec_b32 s36, s36
	v_mov_b32_e32 v9, s35
	s_xor_b32 exec_lo, exec_lo, s36
	s_cbranch_execnz .LBB4_1086
.LBB4_647:                              ;   in Loop: Header=BB4_144 Depth=3
	s_or_b32 exec_lo, exec_lo, s36
	s_and_saveexec_b32 s35, s13
	s_cbranch_execz .LBB4_649
.LBB4_648:                              ;   in Loop: Header=BB4_144 Depth=3
	v_and_b32_e32 v9, 0xffff, v8
	s_delay_alu instid0(VALU_DEP_1) | instskip(NEXT) | instid1(VALU_DEP_1)
	v_and_b32_e32 v57, 3, v9
	v_clz_i32_u32_e32 v58, v57
	s_delay_alu instid0(VALU_DEP_1) | instskip(NEXT) | instid1(VALU_DEP_1)
	v_min_u32_e32 v58, 32, v58
	v_subrev_nc_u32_e32 v59, 29, v58
	v_sub_nc_u32_e32 v58, 30, v58
	s_delay_alu instid0(VALU_DEP_2) | instskip(SKIP_1) | instid1(VALU_DEP_2)
	v_lshlrev_b32_e32 v59, v59, v9
	v_bfe_u32 v9, v9, 2, 5
	v_and_b32_e32 v59, 3, v59
	s_delay_alu instid0(VALU_DEP_2) | instskip(SKIP_1) | instid1(VALU_DEP_1)
	v_cmp_eq_u32_e32 vcc_lo, 0, v9
	v_dual_cndmask_b32 v9, v9, v58 :: v_dual_lshlrev_b32 v8, 24, v8
	v_dual_cndmask_b32 v57, v57, v59 :: v_dual_and_b32 v8, 0x80000000, v8
	s_delay_alu instid0(VALU_DEP_2) | instskip(NEXT) | instid1(VALU_DEP_2)
	v_lshl_add_u32 v9, v9, 23, 0x37800000
	v_lshlrev_b32_e32 v57, 21, v57
	s_delay_alu instid0(VALU_DEP_1)
	v_or3_b32 v9, v8, v9, v57
.LBB4_649:                              ;   in Loop: Header=BB4_144 Depth=3
	s_or_b32 exec_lo, exec_lo, s35
	s_delay_alu instid0(VALU_DEP_1) | instskip(SKIP_1) | instid1(VALU_DEP_1)
	v_dual_mul_f32 v8, s34, v9 :: v_dual_mov_b32 v57, 0x80
	s_mov_b32 s35, exec_lo
	v_and_b32_e32 v9, 0x7f800000, v8
	s_delay_alu instid0(VALU_DEP_1)
	v_cmpx_ne_u32_e32 0x7f800000, v9
	s_cbranch_execz .LBB4_657
; %bb.650:                              ;   in Loop: Header=BB4_144 Depth=3
	v_mov_b32_e32 v57, 0
	s_mov_b32 s36, exec_lo
	v_cmpx_ne_u32_e32 0, v8
	s_cbranch_execz .LBB4_656
; %bb.651:                              ;   in Loop: Header=BB4_144 Depth=3
	v_bfe_u32 v9, v8, 23, 8
	s_delay_alu instid0(VALU_DEP_1) | instskip(SKIP_1) | instid1(VALU_DEP_2)
	v_sub_nc_u32_e32 v58, 0x70, v9
	v_cmp_gt_u32_e32 vcc_lo, 0x71, v9
	v_dual_cndmask_b32 v58, 0, v58 :: v_dual_and_b32 v57, 0x7fffff, v8
	s_delay_alu instid0(VALU_DEP_1) | instskip(SKIP_2) | instid1(VALU_DEP_4)
	v_or_b32_e32 v59, 0x800000, v57
	v_cmp_eq_u32_e32 vcc_lo, 0, v9
	v_add_nc_u32_e32 v9, 0xffffff91, v9
	v_cndmask_b32_e64 v58, v58, 0x6f, vcc_lo
	s_delay_alu instid0(VALU_DEP_4) | instskip(NEXT) | instid1(VALU_DEP_3)
	v_cndmask_b32_e32 v57, v59, v57, vcc_lo
	v_cndmask_b32_e64 v9, v9, 0xffffff92, vcc_lo
	s_delay_alu instid0(VALU_DEP_3) | instskip(NEXT) | instid1(VALU_DEP_3)
	v_lshl_add_u32 v59, 0x200000, v58, -1
	v_lshrrev_b32_e32 v60, v58, v57
	v_lshlrev_b32_e64 v62, v58, 0x100000
	s_delay_alu instid0(VALU_DEP_4) | instskip(NEXT) | instid1(VALU_DEP_4)
	v_add_nc_u32_e32 v58, v58, v9
	v_and_b32_e32 v57, v59, v57
	s_delay_alu instid0(VALU_DEP_4) | instskip(NEXT) | instid1(VALU_DEP_2)
	v_bfe_u32 v61, v60, 21, 1
	v_cmp_eq_u32_e64 s13, v57, v62
	s_delay_alu instid0(VALU_DEP_2) | instskip(NEXT) | instid1(VALU_DEP_1)
	v_add_nc_u32_e32 v59, -1, v61
	v_cndmask_b32_e64 v57, 0, v59, s13
	v_lshrrev_b32_e32 v59, 23, v60
	s_mov_b32 s13, exec_lo
	s_delay_alu instid0(VALU_DEP_2) | instskip(NEXT) | instid1(VALU_DEP_2)
	v_add_nc_u32_e32 v57, v57, v60
	v_xor_b32_e32 v59, 1, v59
	s_delay_alu instid0(VALU_DEP_2) | instskip(NEXT) | instid1(VALU_DEP_1)
	v_and_b32_e32 v9, 0x1fffff, v57
	v_add_nc_u32_e32 v57, v9, v60
                                        ; implicit-def: $vgpr9
	s_delay_alu instid0(VALU_DEP_3)
	v_cmpx_ne_u32_e64 v58, v59
	s_xor_b32 s13, exec_lo, s13
; %bb.652:                              ;   in Loop: Header=BB4_144 Depth=3
	s_delay_alu instid0(VALU_DEP_2) | instskip(SKIP_2) | instid1(VALU_DEP_2)
	v_cmp_lt_u32_e32 vcc_lo, 0xffffff, v57
	v_sub_nc_u32_e32 v9, v58, v59
	v_cndmask_b32_e64 v58, 0, 1, vcc_lo
	v_add_co_ci_u32_e32 v9, vcc_lo, 0, v9, vcc_lo
	s_delay_alu instid0(VALU_DEP_2)
	v_lshrrev_b32_e32 v57, v58, v57
; %bb.653:                              ;   in Loop: Header=BB4_144 Depth=3
	s_and_not1_saveexec_b32 s13, s13
; %bb.654:                              ;   in Loop: Header=BB4_144 Depth=3
	s_delay_alu instid0(VALU_DEP_1)
	v_bfe_u32 v9, v57, 23, 1
; %bb.655:                              ;   in Loop: Header=BB4_144 Depth=3
	s_or_b32 exec_lo, exec_lo, s13
	v_lshrrev_b32_e32 v57, 21, v57
	s_delay_alu instid0(VALU_DEP_2) | instskip(SKIP_2) | instid1(VALU_DEP_2)
	v_cmp_gt_i32_e32 vcc_lo, 32, v9
	v_lshrrev_b32_e32 v8, 24, v8
	v_min_i32_e32 v58, 31, v9
	v_dual_cndmask_b32 v57, 3, v57 :: v_dual_and_b32 v8, 0x80, v8
	s_delay_alu instid0(VALU_DEP_1) | instskip(SKIP_1) | instid1(VALU_DEP_2)
	v_or_b32_e32 v9, v9, v57
	v_and_b32_e32 v59, 3, v57
	v_cmp_ne_u32_e32 vcc_lo, 0, v9
	v_lshlrev_b32_e32 v58, 2, v58
	s_delay_alu instid0(VALU_DEP_1) | instskip(NEXT) | instid1(VALU_DEP_1)
	v_or3_b32 v8, v58, v8, v59
	v_cndmask_b32_e32 v57, 0, v8, vcc_lo
.LBB4_656:                              ;   in Loop: Header=BB4_144 Depth=3
	s_or_b32 exec_lo, exec_lo, s36
.LBB4_657:                              ;   in Loop: Header=BB4_144 Depth=3
	s_delay_alu instid0(SALU_CYCLE_1) | instskip(SKIP_3) | instid1(VALU_DEP_1)
	s_or_b32 exec_lo, exec_lo, s35
	v_lshrrev_b32_e32 v8, 16, v10
	s_mov_b32 s13, 0
	s_mov_b32 s36, exec_lo
                                        ; implicit-def: $sgpr35
	v_and_b32_e32 v58, 0xff, v8
	s_delay_alu instid0(VALU_DEP_1)
	v_cmpx_lt_i16_e32 0x7f, v58
	s_xor_b32 s36, exec_lo, s36
	s_cbranch_execnz .LBB4_1087
; %bb.658:                              ;   in Loop: Header=BB4_144 Depth=3
	s_or_saveexec_b32 s36, s36
	v_mov_b32_e32 v9, s35
	s_xor_b32 exec_lo, exec_lo, s36
	s_cbranch_execnz .LBB4_1090
.LBB4_659:                              ;   in Loop: Header=BB4_144 Depth=3
	s_or_b32 exec_lo, exec_lo, s36
	s_and_saveexec_b32 s35, s13
	s_cbranch_execz .LBB4_661
.LBB4_660:                              ;   in Loop: Header=BB4_144 Depth=3
	v_bfe_u32 v9, v10, 16, 2
	v_lshlrev_b32_e32 v60, 8, v10
	s_delay_alu instid0(VALU_DEP_2) | instskip(NEXT) | instid1(VALU_DEP_1)
	v_clz_i32_u32_e32 v58, v9
	v_min_u32_e32 v58, 32, v58
	s_delay_alu instid0(VALU_DEP_1) | instskip(SKIP_1) | instid1(VALU_DEP_2)
	v_subrev_nc_u32_e32 v59, 29, v58
	v_sub_nc_u32_e32 v58, 30, v58
	v_lshlrev_b32_e32 v8, v59, v8
	v_bfe_u32 v59, v10, 18, 5
	s_delay_alu instid0(VALU_DEP_2) | instskip(NEXT) | instid1(VALU_DEP_2)
	v_and_b32_e32 v8, 3, v8
	v_cmp_eq_u32_e32 vcc_lo, 0, v59
	v_cndmask_b32_e32 v58, v59, v58, vcc_lo
	s_delay_alu instid0(VALU_DEP_3) | instskip(SKIP_1) | instid1(VALU_DEP_3)
	v_cndmask_b32_e32 v8, v9, v8, vcc_lo
	v_and_b32_e32 v9, 0x80000000, v60
	v_lshl_add_u32 v58, v58, 23, 0x37800000
	s_delay_alu instid0(VALU_DEP_3) | instskip(NEXT) | instid1(VALU_DEP_1)
	v_lshlrev_b32_e32 v8, 21, v8
	v_or3_b32 v9, v9, v58, v8
.LBB4_661:                              ;   in Loop: Header=BB4_144 Depth=3
	s_or_b32 exec_lo, exec_lo, s35
	s_delay_alu instid0(VALU_DEP_1) | instskip(SKIP_2) | instid1(VALU_DEP_2)
	v_mul_f32_e32 v8, s34, v9
	v_mov_b32_e32 v58, 0x80
	s_mov_b32 s35, exec_lo
	v_and_b32_e32 v9, 0x7f800000, v8
	s_delay_alu instid0(VALU_DEP_1)
	v_cmpx_ne_u32_e32 0x7f800000, v9
	s_cbranch_execz .LBB4_669
; %bb.662:                              ;   in Loop: Header=BB4_144 Depth=3
	v_mov_b32_e32 v58, 0
	s_mov_b32 s36, exec_lo
	v_cmpx_ne_u32_e32 0, v8
	s_cbranch_execz .LBB4_668
; %bb.663:                              ;   in Loop: Header=BB4_144 Depth=3
	v_bfe_u32 v9, v8, 23, 8
	s_delay_alu instid0(VALU_DEP_1) | instskip(SKIP_1) | instid1(VALU_DEP_2)
	v_sub_nc_u32_e32 v59, 0x70, v9
	v_cmp_gt_u32_e32 vcc_lo, 0x71, v9
	v_dual_cndmask_b32 v59, 0, v59 :: v_dual_and_b32 v58, 0x7fffff, v8
	s_delay_alu instid0(VALU_DEP_1) | instskip(SKIP_2) | instid1(VALU_DEP_4)
	v_or_b32_e32 v60, 0x800000, v58
	v_cmp_eq_u32_e32 vcc_lo, 0, v9
	v_add_nc_u32_e32 v9, 0xffffff91, v9
	v_cndmask_b32_e64 v59, v59, 0x6f, vcc_lo
	s_delay_alu instid0(VALU_DEP_4) | instskip(NEXT) | instid1(VALU_DEP_3)
	v_cndmask_b32_e32 v58, v60, v58, vcc_lo
	v_cndmask_b32_e64 v9, v9, 0xffffff92, vcc_lo
	s_delay_alu instid0(VALU_DEP_3) | instskip(NEXT) | instid1(VALU_DEP_3)
	v_lshl_add_u32 v60, 0x200000, v59, -1
	v_lshrrev_b32_e32 v61, v59, v58
	v_lshlrev_b32_e64 v63, v59, 0x100000
	s_delay_alu instid0(VALU_DEP_4) | instskip(NEXT) | instid1(VALU_DEP_4)
	v_add_nc_u32_e32 v59, v59, v9
	v_and_b32_e32 v58, v60, v58
	s_delay_alu instid0(VALU_DEP_4) | instskip(NEXT) | instid1(VALU_DEP_2)
	v_bfe_u32 v62, v61, 21, 1
	v_cmp_eq_u32_e64 s13, v58, v63
	s_delay_alu instid0(VALU_DEP_2) | instskip(NEXT) | instid1(VALU_DEP_1)
	v_add_nc_u32_e32 v60, -1, v62
	v_cndmask_b32_e64 v58, 0, v60, s13
	v_lshrrev_b32_e32 v60, 23, v61
	s_mov_b32 s13, exec_lo
	s_delay_alu instid0(VALU_DEP_2) | instskip(NEXT) | instid1(VALU_DEP_2)
	v_add_nc_u32_e32 v58, v58, v61
	v_xor_b32_e32 v60, 1, v60
	s_delay_alu instid0(VALU_DEP_2) | instskip(NEXT) | instid1(VALU_DEP_1)
	v_and_b32_e32 v9, 0x1fffff, v58
	v_add_nc_u32_e32 v58, v9, v61
                                        ; implicit-def: $vgpr9
	s_delay_alu instid0(VALU_DEP_3)
	v_cmpx_ne_u32_e64 v59, v60
	s_xor_b32 s13, exec_lo, s13
; %bb.664:                              ;   in Loop: Header=BB4_144 Depth=3
	s_delay_alu instid0(VALU_DEP_2) | instskip(SKIP_2) | instid1(VALU_DEP_2)
	v_cmp_lt_u32_e32 vcc_lo, 0xffffff, v58
	v_sub_nc_u32_e32 v9, v59, v60
	v_cndmask_b32_e64 v59, 0, 1, vcc_lo
	v_add_co_ci_u32_e32 v9, vcc_lo, 0, v9, vcc_lo
	s_delay_alu instid0(VALU_DEP_2)
	v_lshrrev_b32_e32 v58, v59, v58
; %bb.665:                              ;   in Loop: Header=BB4_144 Depth=3
	s_and_not1_saveexec_b32 s13, s13
; %bb.666:                              ;   in Loop: Header=BB4_144 Depth=3
	s_delay_alu instid0(VALU_DEP_1)
	v_bfe_u32 v9, v58, 23, 1
; %bb.667:                              ;   in Loop: Header=BB4_144 Depth=3
	s_or_b32 exec_lo, exec_lo, s13
	v_lshrrev_b32_e32 v58, 21, v58
	s_delay_alu instid0(VALU_DEP_2) | instskip(SKIP_2) | instid1(VALU_DEP_4)
	v_cmp_gt_i32_e32 vcc_lo, 32, v9
	v_lshrrev_b32_e32 v8, 24, v8
	v_min_i32_e32 v59, 31, v9
	v_cndmask_b32_e32 v58, 3, v58, vcc_lo
	s_delay_alu instid0(VALU_DEP_3) | instskip(NEXT) | instid1(VALU_DEP_3)
	v_and_b32_e32 v8, 0x80, v8
	v_lshlrev_b32_e32 v59, 2, v59
	s_delay_alu instid0(VALU_DEP_3) | instskip(SKIP_1) | instid1(VALU_DEP_2)
	v_and_b32_e32 v60, 3, v58
	v_or_b32_e32 v9, v9, v58
	v_or3_b32 v8, v59, v8, v60
	s_delay_alu instid0(VALU_DEP_2) | instskip(NEXT) | instid1(VALU_DEP_2)
	v_cmp_ne_u32_e32 vcc_lo, 0, v9
	v_cndmask_b32_e32 v58, 0, v8, vcc_lo
.LBB4_668:                              ;   in Loop: Header=BB4_144 Depth=3
	s_or_b32 exec_lo, exec_lo, s36
.LBB4_669:                              ;   in Loop: Header=BB4_144 Depth=3
	s_delay_alu instid0(SALU_CYCLE_1) | instskip(SKIP_3) | instid1(VALU_DEP_1)
	s_or_b32 exec_lo, exec_lo, s35
	v_lshrrev_b32_e32 v8, 24, v10
	s_mov_b32 s13, 0
	s_mov_b32 s36, exec_lo
                                        ; implicit-def: $sgpr35
	v_cmpx_lt_i16_e32 0x7f, v8
	s_xor_b32 s36, exec_lo, s36
	s_cbranch_execnz .LBB4_1091
; %bb.670:                              ;   in Loop: Header=BB4_144 Depth=3
	s_or_saveexec_b32 s36, s36
	v_mov_b32_e32 v9, s35
	s_xor_b32 exec_lo, exec_lo, s36
	s_cbranch_execnz .LBB4_1094
.LBB4_671:                              ;   in Loop: Header=BB4_144 Depth=3
	s_or_b32 exec_lo, exec_lo, s36
	s_and_saveexec_b32 s35, s13
	s_cbranch_execz .LBB4_673
.LBB4_672:                              ;   in Loop: Header=BB4_144 Depth=3
	v_bfe_u32 v9, v10, 24, 2
	s_delay_alu instid0(VALU_DEP_1) | instskip(NEXT) | instid1(VALU_DEP_1)
	v_clz_i32_u32_e32 v59, v9
	v_min_u32_e32 v59, 32, v59
	s_delay_alu instid0(VALU_DEP_1) | instskip(SKIP_1) | instid1(VALU_DEP_2)
	v_subrev_nc_u32_e32 v60, 29, v59
	v_sub_nc_u32_e32 v59, 30, v59
	v_lshlrev_b32_e32 v8, v60, v8
	v_bfe_u32 v60, v10, 26, 5
	s_delay_alu instid0(VALU_DEP_1) | instskip(NEXT) | instid1(VALU_DEP_3)
	v_cmp_eq_u32_e32 vcc_lo, 0, v60
	v_dual_cndmask_b32 v59, v60, v59 :: v_dual_and_b32 v8, 3, v8
	s_delay_alu instid0(VALU_DEP_1) | instskip(NEXT) | instid1(VALU_DEP_2)
	v_dual_cndmask_b32 v8, v9, v8 :: v_dual_and_b32 v9, 0x80000000, v10
	v_lshl_add_u32 v10, v59, 23, 0x37800000
	s_delay_alu instid0(VALU_DEP_2) | instskip(NEXT) | instid1(VALU_DEP_1)
	v_lshlrev_b32_e32 v8, 21, v8
	v_or3_b32 v9, v9, v10, v8
.LBB4_673:                              ;   in Loop: Header=BB4_144 Depth=3
	s_or_b32 exec_lo, exec_lo, s35
	s_delay_alu instid0(VALU_DEP_1) | instskip(SKIP_1) | instid1(VALU_DEP_1)
	v_dual_mul_f32 v8, s34, v9 :: v_dual_mov_b32 v59, 0x80
	s_mov_b32 s35, exec_lo
	v_and_b32_e32 v9, 0x7f800000, v8
	s_delay_alu instid0(VALU_DEP_1)
	v_cmpx_ne_u32_e32 0x7f800000, v9
	s_cbranch_execz .LBB4_681
; %bb.674:                              ;   in Loop: Header=BB4_144 Depth=3
	v_mov_b32_e32 v59, 0
	s_mov_b32 s36, exec_lo
	v_cmpx_ne_u32_e32 0, v8
	s_cbranch_execz .LBB4_680
; %bb.675:                              ;   in Loop: Header=BB4_144 Depth=3
	v_bfe_u32 v9, v8, 23, 8
	s_delay_alu instid0(VALU_DEP_1) | instskip(SKIP_1) | instid1(VALU_DEP_2)
	v_sub_nc_u32_e32 v59, 0x70, v9
	v_cmp_gt_u32_e32 vcc_lo, 0x71, v9
	v_dual_cndmask_b32 v59, 0, v59 :: v_dual_and_b32 v10, 0x7fffff, v8
	s_delay_alu instid0(VALU_DEP_1) | instskip(SKIP_2) | instid1(VALU_DEP_4)
	v_or_b32_e32 v60, 0x800000, v10
	v_cmp_eq_u32_e32 vcc_lo, 0, v9
	v_add_nc_u32_e32 v9, 0xffffff91, v9
	v_cndmask_b32_e64 v59, v59, 0x6f, vcc_lo
	s_delay_alu instid0(VALU_DEP_4) | instskip(NEXT) | instid1(VALU_DEP_3)
	v_cndmask_b32_e32 v10, v60, v10, vcc_lo
	v_cndmask_b32_e64 v9, v9, 0xffffff92, vcc_lo
	s_delay_alu instid0(VALU_DEP_3) | instskip(NEXT) | instid1(VALU_DEP_3)
	v_lshl_add_u32 v60, 0x200000, v59, -1
	v_lshrrev_b32_e32 v61, v59, v10
	v_lshlrev_b32_e64 v63, v59, 0x100000
	s_delay_alu instid0(VALU_DEP_4) | instskip(NEXT) | instid1(VALU_DEP_4)
	v_add_nc_u32_e32 v59, v59, v9
	v_and_b32_e32 v10, v60, v10
	s_delay_alu instid0(VALU_DEP_4) | instskip(NEXT) | instid1(VALU_DEP_2)
	v_bfe_u32 v62, v61, 21, 1
	v_cmp_eq_u32_e64 s13, v10, v63
	s_delay_alu instid0(VALU_DEP_2) | instskip(NEXT) | instid1(VALU_DEP_1)
	v_add_nc_u32_e32 v60, -1, v62
	v_cndmask_b32_e64 v10, 0, v60, s13
	v_lshrrev_b32_e32 v60, 23, v61
	s_mov_b32 s13, exec_lo
	s_delay_alu instid0(VALU_DEP_2) | instskip(NEXT) | instid1(VALU_DEP_2)
	v_add_nc_u32_e32 v10, v10, v61
	v_xor_b32_e32 v60, 1, v60
	s_delay_alu instid0(VALU_DEP_2) | instskip(NEXT) | instid1(VALU_DEP_1)
	v_and_b32_e32 v9, 0x1fffff, v10
	v_add_nc_u32_e32 v10, v9, v61
                                        ; implicit-def: $vgpr9
	s_delay_alu instid0(VALU_DEP_3)
	v_cmpx_ne_u32_e64 v59, v60
	s_xor_b32 s13, exec_lo, s13
; %bb.676:                              ;   in Loop: Header=BB4_144 Depth=3
	s_delay_alu instid0(VALU_DEP_2) | instskip(SKIP_2) | instid1(VALU_DEP_2)
	v_cmp_lt_u32_e32 vcc_lo, 0xffffff, v10
	v_sub_nc_u32_e32 v9, v59, v60
	v_cndmask_b32_e64 v59, 0, 1, vcc_lo
	v_add_co_ci_u32_e32 v9, vcc_lo, 0, v9, vcc_lo
	s_delay_alu instid0(VALU_DEP_2)
	v_lshrrev_b32_e32 v10, v59, v10
; %bb.677:                              ;   in Loop: Header=BB4_144 Depth=3
	s_and_not1_saveexec_b32 s13, s13
; %bb.678:                              ;   in Loop: Header=BB4_144 Depth=3
	s_delay_alu instid0(VALU_DEP_1)
	v_bfe_u32 v9, v10, 23, 1
; %bb.679:                              ;   in Loop: Header=BB4_144 Depth=3
	s_or_b32 exec_lo, exec_lo, s13
	v_lshrrev_b32_e32 v10, 21, v10
	s_delay_alu instid0(VALU_DEP_2) | instskip(SKIP_2) | instid1(VALU_DEP_2)
	v_cmp_gt_i32_e32 vcc_lo, 32, v9
	v_min_i32_e32 v59, 31, v9
	v_lshrrev_b32_e32 v8, 24, v8
	v_dual_cndmask_b32 v10, 3, v10 :: v_dual_lshlrev_b32 v59, 2, v59
	s_delay_alu instid0(VALU_DEP_2) | instskip(NEXT) | instid1(VALU_DEP_2)
	v_and_b32_e32 v8, 0x80, v8
	v_or_b32_e32 v9, v9, v10
	s_delay_alu instid0(VALU_DEP_1) | instskip(SKIP_1) | instid1(VALU_DEP_1)
	v_cmp_ne_u32_e32 vcc_lo, 0, v9
	v_and_b32_e32 v60, 3, v10
	v_or3_b32 v8, v59, v8, v60
	s_delay_alu instid0(VALU_DEP_1)
	v_cndmask_b32_e32 v59, 0, v8, vcc_lo
.LBB4_680:                              ;   in Loop: Header=BB4_144 Depth=3
	s_or_b32 exec_lo, exec_lo, s36
.LBB4_681:                              ;   in Loop: Header=BB4_144 Depth=3
	s_delay_alu instid0(SALU_CYCLE_1) | instskip(SKIP_3) | instid1(VALU_DEP_1)
	s_or_b32 exec_lo, exec_lo, s35
	v_and_b32_e32 v9, 0xff, v11
	s_mov_b32 s13, 0
	s_mov_b32 s36, exec_lo
                                        ; implicit-def: $sgpr35
	v_cmpx_lt_i16_e32 0x7f, v9
	s_xor_b32 s36, exec_lo, s36
	s_cbranch_execnz .LBB4_1095
; %bb.682:                              ;   in Loop: Header=BB4_144 Depth=3
	s_or_saveexec_b32 s36, s36
	v_mov_b32_e32 v8, s35
	s_xor_b32 exec_lo, exec_lo, s36
	s_cbranch_execnz .LBB4_1098
.LBB4_683:                              ;   in Loop: Header=BB4_144 Depth=3
	s_or_b32 exec_lo, exec_lo, s36
	s_and_saveexec_b32 s35, s13
	s_cbranch_execz .LBB4_685
.LBB4_684:                              ;   in Loop: Header=BB4_144 Depth=3
	v_bfe_u32 v60, v11, 2, 5
	s_delay_alu instid0(VALU_DEP_1) | instskip(SKIP_1) | instid1(VALU_DEP_1)
	v_cmp_eq_u32_e32 vcc_lo, 0, v60
	v_and_b32_e32 v8, 3, v11
	v_clz_i32_u32_e32 v9, v8
	s_delay_alu instid0(VALU_DEP_1) | instskip(NEXT) | instid1(VALU_DEP_1)
	v_min_u32_e32 v9, 32, v9
	v_subrev_nc_u32_e32 v10, 29, v9
	v_sub_nc_u32_e32 v9, 30, v9
	s_delay_alu instid0(VALU_DEP_1) | instskip(NEXT) | instid1(VALU_DEP_1)
	v_dual_cndmask_b32 v9, v60, v9 :: v_dual_lshlrev_b32 v10, v10, v11
	v_and_b32_e32 v10, 3, v10
	v_lshlrev_b32_e32 v61, 24, v11
	s_delay_alu instid0(VALU_DEP_3) | instskip(NEXT) | instid1(VALU_DEP_3)
	v_lshl_add_u32 v9, v9, 23, 0x37800000
	v_cndmask_b32_e32 v8, v8, v10, vcc_lo
	s_delay_alu instid0(VALU_DEP_3) | instskip(NEXT) | instid1(VALU_DEP_2)
	v_and_b32_e32 v10, 0x80000000, v61
	v_lshlrev_b32_e32 v8, 21, v8
	s_delay_alu instid0(VALU_DEP_1)
	v_or3_b32 v8, v10, v9, v8
.LBB4_685:                              ;   in Loop: Header=BB4_144 Depth=3
	s_or_b32 exec_lo, exec_lo, s35
	s_delay_alu instid0(VALU_DEP_1) | instskip(SKIP_2) | instid1(VALU_DEP_2)
	v_mul_f32_e32 v8, s34, v8
	v_mov_b32_e32 v60, 0x80
	s_mov_b32 s35, exec_lo
	v_and_b32_e32 v9, 0x7f800000, v8
	s_delay_alu instid0(VALU_DEP_1)
	v_cmpx_ne_u32_e32 0x7f800000, v9
	s_cbranch_execz .LBB4_693
; %bb.686:                              ;   in Loop: Header=BB4_144 Depth=3
	v_mov_b32_e32 v60, 0
	s_mov_b32 s36, exec_lo
	v_cmpx_ne_u32_e32 0, v8
	s_cbranch_execz .LBB4_692
; %bb.687:                              ;   in Loop: Header=BB4_144 Depth=3
	v_bfe_u32 v9, v8, 23, 8
	v_and_b32_e32 v10, 0x7fffff, v8
	s_delay_alu instid0(VALU_DEP_2) | instskip(SKIP_1) | instid1(VALU_DEP_3)
	v_sub_nc_u32_e32 v60, 0x70, v9
	v_cmp_gt_u32_e32 vcc_lo, 0x71, v9
	v_or_b32_e32 v61, 0x800000, v10
	s_delay_alu instid0(VALU_DEP_3) | instskip(SKIP_2) | instid1(VALU_DEP_3)
	v_cndmask_b32_e32 v60, 0, v60, vcc_lo
	v_cmp_eq_u32_e32 vcc_lo, 0, v9
	v_add_nc_u32_e32 v9, 0xffffff91, v9
	v_cndmask_b32_e64 v60, v60, 0x6f, vcc_lo
	v_cndmask_b32_e32 v10, v61, v10, vcc_lo
	s_delay_alu instid0(VALU_DEP_3) | instskip(NEXT) | instid1(VALU_DEP_3)
	v_cndmask_b32_e64 v9, v9, 0xffffff92, vcc_lo
	v_lshl_add_u32 v61, 0x200000, v60, -1
	s_delay_alu instid0(VALU_DEP_3) | instskip(SKIP_1) | instid1(VALU_DEP_4)
	v_lshrrev_b32_e32 v62, v60, v10
	v_lshlrev_b32_e64 v73, v60, 0x100000
	v_add_nc_u32_e32 v60, v60, v9
	s_delay_alu instid0(VALU_DEP_4) | instskip(NEXT) | instid1(VALU_DEP_4)
	v_and_b32_e32 v10, v61, v10
	v_bfe_u32 v63, v62, 21, 1
	s_delay_alu instid0(VALU_DEP_2) | instskip(NEXT) | instid1(VALU_DEP_2)
	v_cmp_eq_u32_e64 s13, v10, v73
	v_add_nc_u32_e32 v61, -1, v63
	s_delay_alu instid0(VALU_DEP_1) | instskip(SKIP_2) | instid1(VALU_DEP_2)
	v_cndmask_b32_e64 v10, 0, v61, s13
	v_lshrrev_b32_e32 v61, 23, v62
	s_mov_b32 s13, exec_lo
	v_add_nc_u32_e32 v10, v10, v62
	s_delay_alu instid0(VALU_DEP_2) | instskip(NEXT) | instid1(VALU_DEP_2)
	v_xor_b32_e32 v61, 1, v61
	v_and_b32_e32 v9, 0x1fffff, v10
	s_delay_alu instid0(VALU_DEP_1) | instskip(NEXT) | instid1(VALU_DEP_3)
	v_add_nc_u32_e32 v10, v9, v62
                                        ; implicit-def: $vgpr9
	v_cmpx_ne_u32_e64 v60, v61
	s_xor_b32 s13, exec_lo, s13
; %bb.688:                              ;   in Loop: Header=BB4_144 Depth=3
	s_delay_alu instid0(VALU_DEP_2) | instskip(SKIP_2) | instid1(VALU_DEP_2)
	v_cmp_lt_u32_e32 vcc_lo, 0xffffff, v10
	v_sub_nc_u32_e32 v9, v60, v61
	v_cndmask_b32_e64 v60, 0, 1, vcc_lo
	v_add_co_ci_u32_e32 v9, vcc_lo, 0, v9, vcc_lo
	s_delay_alu instid0(VALU_DEP_2)
	v_lshrrev_b32_e32 v10, v60, v10
; %bb.689:                              ;   in Loop: Header=BB4_144 Depth=3
	s_and_not1_saveexec_b32 s13, s13
; %bb.690:                              ;   in Loop: Header=BB4_144 Depth=3
	s_delay_alu instid0(VALU_DEP_1)
	v_bfe_u32 v9, v10, 23, 1
; %bb.691:                              ;   in Loop: Header=BB4_144 Depth=3
	s_or_b32 exec_lo, exec_lo, s13
	v_lshrrev_b32_e32 v10, 21, v10
	s_delay_alu instid0(VALU_DEP_2) | instskip(SKIP_2) | instid1(VALU_DEP_4)
	v_cmp_gt_i32_e32 vcc_lo, 32, v9
	v_min_i32_e32 v60, 31, v9
	v_lshrrev_b32_e32 v8, 24, v8
	v_cndmask_b32_e32 v10, 3, v10, vcc_lo
	s_delay_alu instid0(VALU_DEP_3) | instskip(NEXT) | instid1(VALU_DEP_3)
	v_lshlrev_b32_e32 v60, 2, v60
	v_and_b32_e32 v8, 0x80, v8
	s_delay_alu instid0(VALU_DEP_3) | instskip(NEXT) | instid1(VALU_DEP_3)
	v_or_b32_e32 v9, v9, v10
	v_and_b32_e32 v60, 0xfc, v60
	s_delay_alu instid0(VALU_DEP_2) | instskip(SKIP_1) | instid1(VALU_DEP_1)
	v_cmp_ne_u32_e32 vcc_lo, 0, v9
	v_and_b32_e32 v61, 3, v10
	v_or3_b32 v8, v60, v8, v61
	s_delay_alu instid0(VALU_DEP_1)
	v_cndmask_b32_e32 v60, 0, v8, vcc_lo
.LBB4_692:                              ;   in Loop: Header=BB4_144 Depth=3
	s_or_b32 exec_lo, exec_lo, s36
.LBB4_693:                              ;   in Loop: Header=BB4_144 Depth=3
	s_delay_alu instid0(SALU_CYCLE_1) | instskip(SKIP_3) | instid1(VALU_DEP_1)
	s_or_b32 exec_lo, exec_lo, s35
	v_lshrrev_b16 v8, 8, v11
	s_mov_b32 s13, 0
	s_mov_b32 s36, exec_lo
                                        ; implicit-def: $sgpr35
	v_cmpx_lt_i16_e32 0x7f, v8
	s_xor_b32 s36, exec_lo, s36
	s_cbranch_execnz .LBB4_1099
; %bb.694:                              ;   in Loop: Header=BB4_144 Depth=3
	s_or_saveexec_b32 s36, s36
	v_mov_b32_e32 v9, s35
	s_xor_b32 exec_lo, exec_lo, s36
	s_cbranch_execnz .LBB4_1102
.LBB4_695:                              ;   in Loop: Header=BB4_144 Depth=3
	s_or_b32 exec_lo, exec_lo, s36
	s_and_saveexec_b32 s35, s13
	s_cbranch_execz .LBB4_697
.LBB4_696:                              ;   in Loop: Header=BB4_144 Depth=3
	v_and_b32_e32 v9, 0xffff, v8
	v_lshlrev_b32_e32 v8, 24, v8
	s_delay_alu instid0(VALU_DEP_2) | instskip(NEXT) | instid1(VALU_DEP_2)
	v_and_b32_e32 v10, 3, v9
	v_and_b32_e32 v8, 0x80000000, v8
	s_delay_alu instid0(VALU_DEP_2) | instskip(NEXT) | instid1(VALU_DEP_1)
	v_clz_i32_u32_e32 v61, v10
	v_min_u32_e32 v61, 32, v61
	s_delay_alu instid0(VALU_DEP_1) | instskip(SKIP_1) | instid1(VALU_DEP_2)
	v_subrev_nc_u32_e32 v62, 29, v61
	v_sub_nc_u32_e32 v61, 30, v61
	v_lshlrev_b32_e32 v62, v62, v9
	v_bfe_u32 v9, v9, 2, 5
	s_delay_alu instid0(VALU_DEP_1) | instskip(NEXT) | instid1(VALU_DEP_3)
	v_cmp_eq_u32_e32 vcc_lo, 0, v9
	v_dual_cndmask_b32 v9, v9, v61 :: v_dual_and_b32 v62, 3, v62
	s_delay_alu instid0(VALU_DEP_1) | instskip(NEXT) | instid1(VALU_DEP_2)
	v_cndmask_b32_e32 v10, v10, v62, vcc_lo
	v_lshl_add_u32 v9, v9, 23, 0x37800000
	s_delay_alu instid0(VALU_DEP_2) | instskip(NEXT) | instid1(VALU_DEP_1)
	v_lshlrev_b32_e32 v10, 21, v10
	v_or3_b32 v9, v8, v9, v10
.LBB4_697:                              ;   in Loop: Header=BB4_144 Depth=3
	s_or_b32 exec_lo, exec_lo, s35
	s_delay_alu instid0(VALU_DEP_1) | instskip(SKIP_1) | instid1(VALU_DEP_1)
	v_dual_mul_f32 v8, s34, v9 :: v_dual_mov_b32 v61, 0x8000
	s_mov_b32 s35, exec_lo
	v_and_b32_e32 v9, 0x7f800000, v8
	s_delay_alu instid0(VALU_DEP_1)
	v_cmpx_ne_u32_e32 0x7f800000, v9
	s_cbranch_execz .LBB4_705
; %bb.698:                              ;   in Loop: Header=BB4_144 Depth=3
	v_mov_b32_e32 v61, 0
	s_mov_b32 s36, exec_lo
	v_cmpx_ne_u32_e32 0, v8
	s_cbranch_execz .LBB4_704
; %bb.699:                              ;   in Loop: Header=BB4_144 Depth=3
	v_bfe_u32 v9, v8, 23, 8
	s_delay_alu instid0(VALU_DEP_1) | instskip(SKIP_1) | instid1(VALU_DEP_2)
	v_sub_nc_u32_e32 v61, 0x70, v9
	v_cmp_gt_u32_e32 vcc_lo, 0x71, v9
	v_dual_cndmask_b32 v61, 0, v61 :: v_dual_and_b32 v10, 0x7fffff, v8
	s_delay_alu instid0(VALU_DEP_1) | instskip(SKIP_2) | instid1(VALU_DEP_4)
	v_or_b32_e32 v62, 0x800000, v10
	v_cmp_eq_u32_e32 vcc_lo, 0, v9
	v_add_nc_u32_e32 v9, 0xffffff91, v9
	v_cndmask_b32_e64 v61, v61, 0x6f, vcc_lo
	s_delay_alu instid0(VALU_DEP_4) | instskip(NEXT) | instid1(VALU_DEP_3)
	v_cndmask_b32_e32 v10, v62, v10, vcc_lo
	v_cndmask_b32_e64 v9, v9, 0xffffff92, vcc_lo
	s_delay_alu instid0(VALU_DEP_3) | instskip(NEXT) | instid1(VALU_DEP_3)
	v_lshl_add_u32 v62, 0x200000, v61, -1
	v_lshrrev_b32_e32 v63, v61, v10
	v_lshlrev_b32_e64 v74, v61, 0x100000
	s_delay_alu instid0(VALU_DEP_4) | instskip(NEXT) | instid1(VALU_DEP_4)
	v_add_nc_u32_e32 v61, v61, v9
	v_and_b32_e32 v10, v62, v10
	s_delay_alu instid0(VALU_DEP_4) | instskip(NEXT) | instid1(VALU_DEP_2)
	v_bfe_u32 v73, v63, 21, 1
	v_cmp_eq_u32_e64 s13, v10, v74
	s_delay_alu instid0(VALU_DEP_2) | instskip(NEXT) | instid1(VALU_DEP_1)
	v_add_nc_u32_e32 v62, -1, v73
	v_cndmask_b32_e64 v10, 0, v62, s13
	v_lshrrev_b32_e32 v62, 23, v63
	s_mov_b32 s13, exec_lo
	s_delay_alu instid0(VALU_DEP_2) | instskip(NEXT) | instid1(VALU_DEP_2)
	v_add_nc_u32_e32 v10, v10, v63
	v_xor_b32_e32 v62, 1, v62
	s_delay_alu instid0(VALU_DEP_2) | instskip(NEXT) | instid1(VALU_DEP_1)
	v_and_b32_e32 v9, 0x1fffff, v10
	v_add_nc_u32_e32 v10, v9, v63
                                        ; implicit-def: $vgpr9
	s_delay_alu instid0(VALU_DEP_3)
	v_cmpx_ne_u32_e64 v61, v62
	s_xor_b32 s13, exec_lo, s13
; %bb.700:                              ;   in Loop: Header=BB4_144 Depth=3
	s_delay_alu instid0(VALU_DEP_2) | instskip(SKIP_2) | instid1(VALU_DEP_2)
	v_cmp_lt_u32_e32 vcc_lo, 0xffffff, v10
	v_sub_nc_u32_e32 v9, v61, v62
	v_cndmask_b32_e64 v61, 0, 1, vcc_lo
	v_add_co_ci_u32_e32 v9, vcc_lo, 0, v9, vcc_lo
	s_delay_alu instid0(VALU_DEP_2)
	v_lshrrev_b32_e32 v10, v61, v10
; %bb.701:                              ;   in Loop: Header=BB4_144 Depth=3
	s_and_not1_saveexec_b32 s13, s13
; %bb.702:                              ;   in Loop: Header=BB4_144 Depth=3
	s_delay_alu instid0(VALU_DEP_1)
	v_bfe_u32 v9, v10, 23, 1
; %bb.703:                              ;   in Loop: Header=BB4_144 Depth=3
	s_or_b32 exec_lo, exec_lo, s13
	v_lshrrev_b32_e32 v10, 21, v10
	s_delay_alu instid0(VALU_DEP_2) | instskip(SKIP_2) | instid1(VALU_DEP_2)
	v_cmp_gt_i32_e32 vcc_lo, 32, v9
	v_min_i32_e32 v61, 31, v9
	v_lshrrev_b32_e32 v8, 24, v8
	v_dual_cndmask_b32 v10, 3, v10 :: v_dual_lshlrev_b32 v61, 2, v61
	s_delay_alu instid0(VALU_DEP_2) | instskip(NEXT) | instid1(VALU_DEP_2)
	v_and_b32_e32 v8, 0x80, v8
	v_or_b32_e32 v9, v9, v10
	s_delay_alu instid0(VALU_DEP_3) | instskip(NEXT) | instid1(VALU_DEP_2)
	v_and_b32_e32 v61, 0xfc, v61
	v_cmp_ne_u32_e32 vcc_lo, 0, v9
	v_and_b32_e32 v62, 3, v10
	s_delay_alu instid0(VALU_DEP_1) | instskip(NEXT) | instid1(VALU_DEP_1)
	v_or3_b32 v8, v8, v61, v62
	v_lshlrev_b32_e32 v8, 8, v8
	s_delay_alu instid0(VALU_DEP_1)
	v_cndmask_b32_e32 v61, 0, v8, vcc_lo
.LBB4_704:                              ;   in Loop: Header=BB4_144 Depth=3
	s_or_b32 exec_lo, exec_lo, s36
.LBB4_705:                              ;   in Loop: Header=BB4_144 Depth=3
	s_delay_alu instid0(SALU_CYCLE_1) | instskip(SKIP_3) | instid1(VALU_DEP_1)
	s_or_b32 exec_lo, exec_lo, s35
	v_lshrrev_b32_e32 v8, 16, v11
	s_mov_b32 s13, 0
	s_mov_b32 s36, exec_lo
                                        ; implicit-def: $sgpr35
	v_and_b32_e32 v10, 0xff, v8
	s_delay_alu instid0(VALU_DEP_1)
	v_cmpx_lt_i16_e32 0x7f, v10
	s_xor_b32 s36, exec_lo, s36
	s_cbranch_execnz .LBB4_1103
; %bb.706:                              ;   in Loop: Header=BB4_144 Depth=3
	s_or_saveexec_b32 s36, s36
	v_mov_b32_e32 v9, s35
	s_xor_b32 exec_lo, exec_lo, s36
	s_cbranch_execnz .LBB4_1106
.LBB4_707:                              ;   in Loop: Header=BB4_144 Depth=3
	s_or_b32 exec_lo, exec_lo, s36
	s_and_saveexec_b32 s35, s13
	s_cbranch_execz .LBB4_709
.LBB4_708:                              ;   in Loop: Header=BB4_144 Depth=3
	v_bfe_u32 v9, v11, 16, 2
	s_delay_alu instid0(VALU_DEP_1) | instskip(NEXT) | instid1(VALU_DEP_1)
	v_clz_i32_u32_e32 v10, v9
	v_min_u32_e32 v10, 32, v10
	s_delay_alu instid0(VALU_DEP_1) | instskip(SKIP_1) | instid1(VALU_DEP_2)
	v_subrev_nc_u32_e32 v62, 29, v10
	v_sub_nc_u32_e32 v10, 30, v10
	v_lshlrev_b32_e32 v8, v62, v8
	v_bfe_u32 v62, v11, 18, 5
	s_delay_alu instid0(VALU_DEP_2) | instskip(NEXT) | instid1(VALU_DEP_2)
	v_and_b32_e32 v8, 3, v8
	v_cmp_eq_u32_e32 vcc_lo, 0, v62
	v_dual_cndmask_b32 v10, v62, v10 :: v_dual_lshlrev_b32 v63, 8, v11
	s_delay_alu instid0(VALU_DEP_1) | instskip(NEXT) | instid1(VALU_DEP_2)
	v_dual_cndmask_b32 v8, v9, v8 :: v_dual_and_b32 v9, 0x80000000, v63
	v_lshl_add_u32 v10, v10, 23, 0x37800000
	s_delay_alu instid0(VALU_DEP_2) | instskip(NEXT) | instid1(VALU_DEP_1)
	v_lshlrev_b32_e32 v8, 21, v8
	v_or3_b32 v9, v9, v10, v8
.LBB4_709:                              ;   in Loop: Header=BB4_144 Depth=3
	s_or_b32 exec_lo, exec_lo, s35
	s_delay_alu instid0(VALU_DEP_1) | instskip(SKIP_2) | instid1(VALU_DEP_2)
	v_mul_f32_e32 v8, s34, v9
	v_mov_b32_e32 v62, 0x80
	s_mov_b32 s35, exec_lo
	v_and_b32_e32 v9, 0x7f800000, v8
	s_delay_alu instid0(VALU_DEP_1)
	v_cmpx_ne_u32_e32 0x7f800000, v9
	s_cbranch_execz .LBB4_717
; %bb.710:                              ;   in Loop: Header=BB4_144 Depth=3
	v_mov_b32_e32 v62, 0
	s_mov_b32 s36, exec_lo
	v_cmpx_ne_u32_e32 0, v8
	s_cbranch_execz .LBB4_716
; %bb.711:                              ;   in Loop: Header=BB4_144 Depth=3
	v_bfe_u32 v9, v8, 23, 8
	v_and_b32_e32 v10, 0x7fffff, v8
	s_delay_alu instid0(VALU_DEP_2) | instskip(SKIP_1) | instid1(VALU_DEP_3)
	v_sub_nc_u32_e32 v62, 0x70, v9
	v_cmp_gt_u32_e32 vcc_lo, 0x71, v9
	v_or_b32_e32 v63, 0x800000, v10
	s_delay_alu instid0(VALU_DEP_3) | instskip(SKIP_2) | instid1(VALU_DEP_3)
	v_cndmask_b32_e32 v62, 0, v62, vcc_lo
	v_cmp_eq_u32_e32 vcc_lo, 0, v9
	v_add_nc_u32_e32 v9, 0xffffff91, v9
	v_cndmask_b32_e64 v62, v62, 0x6f, vcc_lo
	v_cndmask_b32_e32 v10, v63, v10, vcc_lo
	s_delay_alu instid0(VALU_DEP_3) | instskip(NEXT) | instid1(VALU_DEP_3)
	v_cndmask_b32_e64 v9, v9, 0xffffff92, vcc_lo
	v_lshl_add_u32 v63, 0x200000, v62, -1
	s_delay_alu instid0(VALU_DEP_3) | instskip(SKIP_1) | instid1(VALU_DEP_4)
	v_lshrrev_b32_e32 v73, v62, v10
	v_lshlrev_b32_e64 v75, v62, 0x100000
	v_add_nc_u32_e32 v62, v62, v9
	s_delay_alu instid0(VALU_DEP_4) | instskip(NEXT) | instid1(VALU_DEP_4)
	v_and_b32_e32 v10, v63, v10
	v_bfe_u32 v74, v73, 21, 1
	s_delay_alu instid0(VALU_DEP_2) | instskip(NEXT) | instid1(VALU_DEP_2)
	v_cmp_eq_u32_e64 s13, v10, v75
	v_add_nc_u32_e32 v63, -1, v74
	s_delay_alu instid0(VALU_DEP_1) | instskip(SKIP_2) | instid1(VALU_DEP_2)
	v_cndmask_b32_e64 v10, 0, v63, s13
	v_lshrrev_b32_e32 v63, 23, v73
	s_mov_b32 s13, exec_lo
	v_add_nc_u32_e32 v10, v10, v73
	s_delay_alu instid0(VALU_DEP_2) | instskip(NEXT) | instid1(VALU_DEP_2)
	v_xor_b32_e32 v63, 1, v63
	v_and_b32_e32 v9, 0x1fffff, v10
	s_delay_alu instid0(VALU_DEP_1) | instskip(NEXT) | instid1(VALU_DEP_3)
	v_add_nc_u32_e32 v10, v9, v73
                                        ; implicit-def: $vgpr9
	v_cmpx_ne_u32_e64 v62, v63
	s_xor_b32 s13, exec_lo, s13
; %bb.712:                              ;   in Loop: Header=BB4_144 Depth=3
	s_delay_alu instid0(VALU_DEP_2) | instskip(SKIP_2) | instid1(VALU_DEP_2)
	v_cmp_lt_u32_e32 vcc_lo, 0xffffff, v10
	v_sub_nc_u32_e32 v9, v62, v63
	v_cndmask_b32_e64 v62, 0, 1, vcc_lo
	v_add_co_ci_u32_e32 v9, vcc_lo, 0, v9, vcc_lo
	s_delay_alu instid0(VALU_DEP_2)
	v_lshrrev_b32_e32 v10, v62, v10
; %bb.713:                              ;   in Loop: Header=BB4_144 Depth=3
	s_and_not1_saveexec_b32 s13, s13
; %bb.714:                              ;   in Loop: Header=BB4_144 Depth=3
	s_delay_alu instid0(VALU_DEP_1)
	v_bfe_u32 v9, v10, 23, 1
; %bb.715:                              ;   in Loop: Header=BB4_144 Depth=3
	s_or_b32 exec_lo, exec_lo, s13
	v_lshrrev_b32_e32 v10, 21, v10
	s_delay_alu instid0(VALU_DEP_2) | instskip(SKIP_2) | instid1(VALU_DEP_4)
	v_cmp_gt_i32_e32 vcc_lo, 32, v9
	v_min_i32_e32 v62, 31, v9
	v_lshrrev_b32_e32 v8, 24, v8
	v_cndmask_b32_e32 v10, 3, v10, vcc_lo
	s_delay_alu instid0(VALU_DEP_3) | instskip(NEXT) | instid1(VALU_DEP_3)
	v_lshlrev_b32_e32 v62, 2, v62
	v_and_b32_e32 v8, 0x80, v8
	s_delay_alu instid0(VALU_DEP_3) | instskip(NEXT) | instid1(VALU_DEP_3)
	v_or_b32_e32 v9, v9, v10
	v_and_b32_e32 v62, 0xfc, v62
	s_delay_alu instid0(VALU_DEP_2) | instskip(SKIP_1) | instid1(VALU_DEP_1)
	v_cmp_ne_u32_e32 vcc_lo, 0, v9
	v_and_b32_e32 v63, 3, v10
	v_or3_b32 v8, v62, v8, v63
	s_delay_alu instid0(VALU_DEP_1)
	v_cndmask_b32_e32 v62, 0, v8, vcc_lo
.LBB4_716:                              ;   in Loop: Header=BB4_144 Depth=3
	s_or_b32 exec_lo, exec_lo, s36
.LBB4_717:                              ;   in Loop: Header=BB4_144 Depth=3
	s_delay_alu instid0(SALU_CYCLE_1) | instskip(SKIP_3) | instid1(VALU_DEP_1)
	s_or_b32 exec_lo, exec_lo, s35
	v_lshrrev_b32_e32 v8, 24, v11
	s_mov_b32 s13, 0
	s_mov_b32 s36, exec_lo
                                        ; implicit-def: $sgpr35
	v_cmpx_lt_i16_e32 0x7f, v8
	s_xor_b32 s36, exec_lo, s36
	s_cbranch_execnz .LBB4_1107
; %bb.718:                              ;   in Loop: Header=BB4_144 Depth=3
	s_or_saveexec_b32 s36, s36
	v_mov_b32_e32 v9, s35
	s_xor_b32 exec_lo, exec_lo, s36
	s_cbranch_execnz .LBB4_1110
.LBB4_719:                              ;   in Loop: Header=BB4_144 Depth=3
	s_or_b32 exec_lo, exec_lo, s36
	s_and_saveexec_b32 s35, s13
	s_cbranch_execz .LBB4_721
.LBB4_720:                              ;   in Loop: Header=BB4_144 Depth=3
	v_bfe_u32 v9, v11, 24, 2
	s_delay_alu instid0(VALU_DEP_1) | instskip(NEXT) | instid1(VALU_DEP_1)
	v_clz_i32_u32_e32 v10, v9
	v_min_u32_e32 v10, 32, v10
	s_delay_alu instid0(VALU_DEP_1) | instskip(SKIP_1) | instid1(VALU_DEP_2)
	v_subrev_nc_u32_e32 v63, 29, v10
	v_sub_nc_u32_e32 v10, 30, v10
	v_lshlrev_b32_e32 v8, v63, v8
	v_bfe_u32 v63, v11, 26, 5
	s_delay_alu instid0(VALU_DEP_2) | instskip(NEXT) | instid1(VALU_DEP_2)
	v_and_b32_e32 v8, 3, v8
	v_cmp_eq_u32_e32 vcc_lo, 0, v63
	v_cndmask_b32_e32 v10, v63, v10, vcc_lo
	s_delay_alu instid0(VALU_DEP_3) | instskip(NEXT) | instid1(VALU_DEP_2)
	v_dual_cndmask_b32 v8, v9, v8 :: v_dual_and_b32 v9, 0x80000000, v11
	v_lshl_add_u32 v10, v10, 23, 0x37800000
	s_delay_alu instid0(VALU_DEP_2) | instskip(NEXT) | instid1(VALU_DEP_1)
	v_lshlrev_b32_e32 v8, 21, v8
	v_or3_b32 v9, v9, v10, v8
.LBB4_721:                              ;   in Loop: Header=BB4_144 Depth=3
	s_or_b32 exec_lo, exec_lo, s35
	s_delay_alu instid0(VALU_DEP_1) | instskip(SKIP_1) | instid1(VALU_DEP_1)
	v_dual_mul_f32 v8, s34, v9 :: v_dual_mov_b32 v63, 0x8000
	s_mov_b32 s35, exec_lo
	v_and_b32_e32 v9, 0x7f800000, v8
	s_delay_alu instid0(VALU_DEP_1)
	v_cmpx_ne_u32_e32 0x7f800000, v9
	s_cbranch_execz .LBB4_729
; %bb.722:                              ;   in Loop: Header=BB4_144 Depth=3
	v_mov_b32_e32 v63, 0
	s_mov_b32 s36, exec_lo
	v_cmpx_ne_u32_e32 0, v8
	s_cbranch_execz .LBB4_728
; %bb.723:                              ;   in Loop: Header=BB4_144 Depth=3
	v_bfe_u32 v9, v8, 23, 8
	s_delay_alu instid0(VALU_DEP_1) | instskip(SKIP_1) | instid1(VALU_DEP_2)
	v_sub_nc_u32_e32 v11, 0x70, v9
	v_cmp_gt_u32_e32 vcc_lo, 0x71, v9
	v_dual_cndmask_b32 v11, 0, v11 :: v_dual_and_b32 v10, 0x7fffff, v8
	s_delay_alu instid0(VALU_DEP_1) | instskip(SKIP_2) | instid1(VALU_DEP_4)
	v_or_b32_e32 v63, 0x800000, v10
	v_cmp_eq_u32_e32 vcc_lo, 0, v9
	v_add_nc_u32_e32 v9, 0xffffff91, v9
	v_cndmask_b32_e64 v11, v11, 0x6f, vcc_lo
	s_delay_alu instid0(VALU_DEP_4) | instskip(NEXT) | instid1(VALU_DEP_3)
	v_cndmask_b32_e32 v10, v63, v10, vcc_lo
	v_cndmask_b32_e64 v9, v9, 0xffffff92, vcc_lo
	s_delay_alu instid0(VALU_DEP_3) | instskip(NEXT) | instid1(VALU_DEP_3)
	v_lshl_add_u32 v63, 0x200000, v11, -1
	v_lshrrev_b32_e32 v73, v11, v10
	v_lshlrev_b32_e64 v75, v11, 0x100000
	s_delay_alu instid0(VALU_DEP_4) | instskip(NEXT) | instid1(VALU_DEP_4)
	v_add_nc_u32_e32 v11, v11, v9
	v_and_b32_e32 v10, v63, v10
	s_delay_alu instid0(VALU_DEP_4) | instskip(NEXT) | instid1(VALU_DEP_2)
	v_bfe_u32 v74, v73, 21, 1
	v_cmp_eq_u32_e64 s13, v10, v75
	s_delay_alu instid0(VALU_DEP_2) | instskip(NEXT) | instid1(VALU_DEP_1)
	v_add_nc_u32_e32 v63, -1, v74
	v_cndmask_b32_e64 v10, 0, v63, s13
	v_lshrrev_b32_e32 v63, 23, v73
	s_mov_b32 s13, exec_lo
	s_delay_alu instid0(VALU_DEP_2) | instskip(NEXT) | instid1(VALU_DEP_2)
	v_add_nc_u32_e32 v10, v10, v73
	v_xor_b32_e32 v63, 1, v63
	s_delay_alu instid0(VALU_DEP_2) | instskip(NEXT) | instid1(VALU_DEP_1)
	v_and_b32_e32 v9, 0x1fffff, v10
	v_add_nc_u32_e32 v10, v9, v73
                                        ; implicit-def: $vgpr9
	s_delay_alu instid0(VALU_DEP_3)
	v_cmpx_ne_u32_e64 v11, v63
	s_xor_b32 s13, exec_lo, s13
; %bb.724:                              ;   in Loop: Header=BB4_144 Depth=3
	s_delay_alu instid0(VALU_DEP_2) | instskip(SKIP_2) | instid1(VALU_DEP_2)
	v_cmp_lt_u32_e32 vcc_lo, 0xffffff, v10
	v_sub_nc_u32_e32 v9, v11, v63
	v_cndmask_b32_e64 v11, 0, 1, vcc_lo
	v_add_co_ci_u32_e32 v9, vcc_lo, 0, v9, vcc_lo
	s_delay_alu instid0(VALU_DEP_2)
	v_lshrrev_b32_e32 v10, v11, v10
; %bb.725:                              ;   in Loop: Header=BB4_144 Depth=3
	s_and_not1_saveexec_b32 s13, s13
; %bb.726:                              ;   in Loop: Header=BB4_144 Depth=3
	s_delay_alu instid0(VALU_DEP_1)
	v_bfe_u32 v9, v10, 23, 1
; %bb.727:                              ;   in Loop: Header=BB4_144 Depth=3
	s_or_b32 exec_lo, exec_lo, s13
	v_lshrrev_b32_e32 v10, 21, v10
	s_delay_alu instid0(VALU_DEP_2) | instskip(SKIP_2) | instid1(VALU_DEP_3)
	v_min_i32_e32 v11, 31, v9
	v_cmp_gt_i32_e32 vcc_lo, 32, v9
	v_lshrrev_b32_e32 v8, 24, v8
	v_dual_cndmask_b32 v10, 3, v10 :: v_dual_lshlrev_b32 v11, 2, v11
	s_delay_alu instid0(VALU_DEP_2) | instskip(NEXT) | instid1(VALU_DEP_2)
	v_and_b32_e32 v8, 0x80, v8
	v_and_b32_e32 v11, 0xfc, v11
	s_delay_alu instid0(VALU_DEP_3) | instskip(SKIP_1) | instid1(VALU_DEP_2)
	v_and_b32_e32 v63, 3, v10
	v_or_b32_e32 v9, v9, v10
	v_or3_b32 v8, v8, v11, v63
	s_delay_alu instid0(VALU_DEP_2) | instskip(NEXT) | instid1(VALU_DEP_2)
	v_cmp_ne_u32_e32 vcc_lo, 0, v9
	v_lshlrev_b32_e32 v8, 8, v8
	s_delay_alu instid0(VALU_DEP_1)
	v_cndmask_b32_e32 v63, 0, v8, vcc_lo
.LBB4_728:                              ;   in Loop: Header=BB4_144 Depth=3
	s_or_b32 exec_lo, exec_lo, s36
.LBB4_729:                              ;   in Loop: Header=BB4_144 Depth=3
	s_delay_alu instid0(SALU_CYCLE_1) | instskip(SKIP_4) | instid1(VALU_DEP_1)
	s_or_b32 exec_lo, exec_lo, s35
	global_load_b128 v[8:11], v[64:65], off offset:1536 slc dlc
	s_mov_b32 s13, 0
                                        ; implicit-def: $sgpr35
	s_waitcnt vmcnt(0)
	v_and_b32_e32 v65, 0xff, v8
	v_cmp_lt_i16_e32 vcc_lo, 0x7f, v65
	s_mov_b32 s36, exec_lo
	v_dual_mov_b32 v78, v68 :: v_dual_mov_b32 v79, v57
	v_dual_mov_b32 v88, v47 :: v_dual_mov_b32 v77, v56
	;; [unrolled: 1-line block ×5, first 2 shown]
	s_and_b32 vcc_lo, s36, vcc_lo
	s_delay_alu instid0(SALU_CYCLE_1)
	s_xor_b32 s36, vcc_lo, s36
	s_mov_b32 exec_lo, vcc_lo
	s_cbranch_execnz .LBB4_1111
; %bb.730:                              ;   in Loop: Header=BB4_144 Depth=3
	s_or_saveexec_b32 s36, s36
	v_mov_b32_e32 v64, s35
	s_xor_b32 exec_lo, exec_lo, s36
	s_cbranch_execnz .LBB4_1114
.LBB4_731:                              ;   in Loop: Header=BB4_144 Depth=3
	s_or_b32 exec_lo, exec_lo, s36
	s_and_saveexec_b32 s35, s13
	s_cbranch_execz .LBB4_733
.LBB4_732:                              ;   in Loop: Header=BB4_144 Depth=3
	v_bfe_u32 v74, v8, 2, 5
	s_delay_alu instid0(VALU_DEP_1) | instskip(SKIP_1) | instid1(VALU_DEP_1)
	v_cmp_eq_u32_e32 vcc_lo, 0, v74
	v_and_b32_e32 v64, 3, v8
	v_clz_i32_u32_e32 v65, v64
	s_delay_alu instid0(VALU_DEP_1) | instskip(NEXT) | instid1(VALU_DEP_1)
	v_min_u32_e32 v65, 32, v65
	v_subrev_nc_u32_e32 v73, 29, v65
	v_sub_nc_u32_e32 v65, 30, v65
	s_delay_alu instid0(VALU_DEP_2) | instskip(NEXT) | instid1(VALU_DEP_2)
	v_lshlrev_b32_e32 v73, v73, v8
	v_cndmask_b32_e32 v65, v74, v65, vcc_lo
	s_delay_alu instid0(VALU_DEP_2) | instskip(SKIP_1) | instid1(VALU_DEP_3)
	v_and_b32_e32 v73, 3, v73
	v_lshlrev_b32_e32 v75, 24, v8
	v_lshl_add_u32 v65, v65, 23, 0x37800000
	s_delay_alu instid0(VALU_DEP_2) | instskip(NEXT) | instid1(VALU_DEP_1)
	v_dual_cndmask_b32 v64, v64, v73 :: v_dual_and_b32 v73, 0x80000000, v75
	v_lshlrev_b32_e32 v64, 21, v64
	s_delay_alu instid0(VALU_DEP_1)
	v_or3_b32 v64, v73, v65, v64
.LBB4_733:                              ;   in Loop: Header=BB4_144 Depth=3
	s_or_b32 exec_lo, exec_lo, s35
	s_delay_alu instid0(VALU_DEP_1) | instskip(NEXT) | instid1(VALU_DEP_1)
	v_mul_f32_e32 v65, s34, v64
	v_and_b32_e32 v64, 0x7f800000, v65
	s_delay_alu instid0(VALU_DEP_1)
	v_cmp_ne_u32_e32 vcc_lo, 0x7f800000, v64
	v_mov_b32_e32 v64, 0x80
	s_and_saveexec_b32 s35, vcc_lo
	s_cbranch_execz .LBB4_741
; %bb.734:                              ;   in Loop: Header=BB4_144 Depth=3
	v_mov_b32_e32 v64, 0
	s_mov_b32 s36, exec_lo
	v_cmpx_ne_u32_e32 0, v65
	s_cbranch_execz .LBB4_740
; %bb.735:                              ;   in Loop: Header=BB4_144 Depth=3
	v_bfe_u32 v64, v65, 23, 8
	s_delay_alu instid0(VALU_DEP_1) | instskip(SKIP_1) | instid1(VALU_DEP_2)
	v_sub_nc_u32_e32 v74, 0x70, v64
	v_cmp_gt_u32_e32 vcc_lo, 0x71, v64
	v_dual_cndmask_b32 v74, 0, v74 :: v_dual_and_b32 v73, 0x7fffff, v65
	s_delay_alu instid0(VALU_DEP_1) | instskip(SKIP_2) | instid1(VALU_DEP_4)
	v_or_b32_e32 v75, 0x800000, v73
	v_cmp_eq_u32_e32 vcc_lo, 0, v64
	v_add_nc_u32_e32 v64, 0xffffff91, v64
	v_cndmask_b32_e64 v74, v74, 0x6f, vcc_lo
	s_delay_alu instid0(VALU_DEP_4) | instskip(NEXT) | instid1(VALU_DEP_3)
	v_cndmask_b32_e32 v73, v75, v73, vcc_lo
	v_cndmask_b32_e64 v64, v64, 0xffffff92, vcc_lo
	s_delay_alu instid0(VALU_DEP_3) | instskip(NEXT) | instid1(VALU_DEP_3)
	v_lshl_add_u32 v75, 0x200000, v74, -1
	v_lshrrev_b32_e32 v76, v74, v73
	v_lshlrev_b32_e64 v78, v74, 0x100000
	s_delay_alu instid0(VALU_DEP_4) | instskip(NEXT) | instid1(VALU_DEP_4)
	v_add_nc_u32_e32 v74, v74, v64
	v_and_b32_e32 v73, v75, v73
	s_delay_alu instid0(VALU_DEP_4) | instskip(NEXT) | instid1(VALU_DEP_2)
	v_bfe_u32 v77, v76, 21, 1
	v_cmp_eq_u32_e64 s13, v73, v78
	s_delay_alu instid0(VALU_DEP_2) | instskip(NEXT) | instid1(VALU_DEP_1)
	v_add_nc_u32_e32 v75, -1, v77
	v_cndmask_b32_e64 v73, 0, v75, s13
	v_lshrrev_b32_e32 v75, 23, v76
	s_mov_b32 s13, exec_lo
	s_delay_alu instid0(VALU_DEP_2) | instskip(NEXT) | instid1(VALU_DEP_2)
	v_add_nc_u32_e32 v73, v73, v76
	v_xor_b32_e32 v75, 1, v75
	s_delay_alu instid0(VALU_DEP_2) | instskip(NEXT) | instid1(VALU_DEP_1)
	v_and_b32_e32 v64, 0x1fffff, v73
	v_add_nc_u32_e32 v73, v64, v76
                                        ; implicit-def: $vgpr64
	s_delay_alu instid0(VALU_DEP_3)
	v_cmpx_ne_u32_e64 v74, v75
	s_xor_b32 s13, exec_lo, s13
; %bb.736:                              ;   in Loop: Header=BB4_144 Depth=3
	s_delay_alu instid0(VALU_DEP_2) | instskip(SKIP_2) | instid1(VALU_DEP_2)
	v_cmp_lt_u32_e32 vcc_lo, 0xffffff, v73
	v_sub_nc_u32_e32 v64, v74, v75
	v_cndmask_b32_e64 v74, 0, 1, vcc_lo
	v_add_co_ci_u32_e32 v64, vcc_lo, 0, v64, vcc_lo
	s_delay_alu instid0(VALU_DEP_2)
	v_lshrrev_b32_e32 v73, v74, v73
; %bb.737:                              ;   in Loop: Header=BB4_144 Depth=3
	s_and_not1_saveexec_b32 s13, s13
; %bb.738:                              ;   in Loop: Header=BB4_144 Depth=3
	s_delay_alu instid0(VALU_DEP_1)
	v_bfe_u32 v64, v73, 23, 1
; %bb.739:                              ;   in Loop: Header=BB4_144 Depth=3
	s_or_b32 exec_lo, exec_lo, s13
	v_lshrrev_b32_e32 v73, 21, v73
	s_delay_alu instid0(VALU_DEP_2) | instskip(SKIP_4) | instid1(VALU_DEP_4)
	v_cmp_gt_i32_e32 vcc_lo, 32, v64
	v_lshrrev_b32_e32 v65, 24, v65
	v_min_i32_e32 v74, 31, v64
	v_dual_mov_b32 v79, v57 :: v_dual_mov_b32 v92, v58
	v_cndmask_b32_e32 v73, 3, v73, vcc_lo
	v_dual_mov_b32 v78, v68 :: v_dual_and_b32 v65, 0x80, v65
	s_delay_alu instid0(VALU_DEP_4) | instskip(NEXT) | instid1(VALU_DEP_3)
	v_lshlrev_b32_e32 v74, 2, v74
	v_dual_mov_b32 v88, v47 :: v_dual_and_b32 v75, 3, v73
	v_or_b32_e32 v64, v64, v73
	v_dual_mov_b32 v90, v59 :: v_dual_mov_b32 v89, v60
	v_dual_mov_b32 v91, v61 :: v_dual_mov_b32 v94, v63
	s_delay_alu instid0(VALU_DEP_4) | instskip(NEXT) | instid1(VALU_DEP_4)
	v_or3_b32 v65, v74, v65, v75
	v_cmp_ne_u32_e32 vcc_lo, 0, v64
	v_mov_b32_e32 v93, v62
	s_delay_alu instid0(VALU_DEP_3)
	v_dual_mov_b32 v77, v56 :: v_dual_cndmask_b32 v64, 0, v65
.LBB4_740:                              ;   in Loop: Header=BB4_144 Depth=3
	s_or_b32 exec_lo, exec_lo, s36
.LBB4_741:                              ;   in Loop: Header=BB4_144 Depth=3
	s_delay_alu instid0(SALU_CYCLE_1) | instskip(SKIP_3) | instid1(VALU_DEP_1)
	s_or_b32 exec_lo, exec_lo, s35
	v_lshrrev_b16 v65, 8, v8
	s_mov_b32 s13, 0
	s_mov_b32 s36, exec_lo
                                        ; implicit-def: $sgpr35
	v_cmpx_lt_i16_e32 0x7f, v65
	s_xor_b32 s36, exec_lo, s36
	s_cbranch_execnz .LBB4_1115
; %bb.742:                              ;   in Loop: Header=BB4_144 Depth=3
	s_or_saveexec_b32 s36, s36
	v_mov_b32_e32 v73, s35
	s_xor_b32 exec_lo, exec_lo, s36
	s_cbranch_execnz .LBB4_1118
.LBB4_743:                              ;   in Loop: Header=BB4_144 Depth=3
	s_or_b32 exec_lo, exec_lo, s36
	s_and_saveexec_b32 s35, s13
	s_cbranch_execz .LBB4_745
.LBB4_744:                              ;   in Loop: Header=BB4_144 Depth=3
	v_and_b32_e32 v73, 0xffff, v65
	v_lshlrev_b32_e32 v65, 24, v65
	s_delay_alu instid0(VALU_DEP_2) | instskip(NEXT) | instid1(VALU_DEP_2)
	v_and_b32_e32 v74, 3, v73
	v_and_b32_e32 v65, 0x80000000, v65
	s_delay_alu instid0(VALU_DEP_2) | instskip(NEXT) | instid1(VALU_DEP_1)
	v_clz_i32_u32_e32 v75, v74
	v_min_u32_e32 v75, 32, v75
	s_delay_alu instid0(VALU_DEP_1) | instskip(SKIP_1) | instid1(VALU_DEP_2)
	v_subrev_nc_u32_e32 v76, 29, v75
	v_sub_nc_u32_e32 v75, 30, v75
	v_lshlrev_b32_e32 v76, v76, v73
	v_bfe_u32 v73, v73, 2, 5
	s_delay_alu instid0(VALU_DEP_2) | instskip(NEXT) | instid1(VALU_DEP_2)
	v_and_b32_e32 v76, 3, v76
	v_cmp_eq_u32_e32 vcc_lo, 0, v73
	s_delay_alu instid0(VALU_DEP_2) | instskip(NEXT) | instid1(VALU_DEP_1)
	v_dual_cndmask_b32 v73, v73, v75 :: v_dual_cndmask_b32 v74, v74, v76
	v_lshl_add_u32 v73, v73, 23, 0x37800000
	s_delay_alu instid0(VALU_DEP_2) | instskip(NEXT) | instid1(VALU_DEP_1)
	v_lshlrev_b32_e32 v74, 21, v74
	v_or3_b32 v73, v65, v73, v74
.LBB4_745:                              ;   in Loop: Header=BB4_144 Depth=3
	s_or_b32 exec_lo, exec_lo, s35
	s_delay_alu instid0(VALU_DEP_1) | instskip(NEXT) | instid1(VALU_DEP_1)
	v_mul_f32_e32 v73, s34, v73
	v_and_b32_e32 v65, 0x7f800000, v73
	s_delay_alu instid0(VALU_DEP_1)
	v_cmp_ne_u32_e32 vcc_lo, 0x7f800000, v65
	v_mov_b32_e32 v65, 0x80
	s_and_saveexec_b32 s35, vcc_lo
	s_cbranch_execz .LBB4_753
; %bb.746:                              ;   in Loop: Header=BB4_144 Depth=3
	v_mov_b32_e32 v65, 0
	s_mov_b32 s36, exec_lo
	v_cmpx_ne_u32_e32 0, v73
	s_cbranch_execz .LBB4_752
; %bb.747:                              ;   in Loop: Header=BB4_144 Depth=3
	v_bfe_u32 v65, v73, 23, 8
	s_delay_alu instid0(VALU_DEP_1) | instskip(SKIP_1) | instid1(VALU_DEP_2)
	v_sub_nc_u32_e32 v75, 0x70, v65
	v_cmp_gt_u32_e32 vcc_lo, 0x71, v65
	v_dual_cndmask_b32 v75, 0, v75 :: v_dual_and_b32 v74, 0x7fffff, v73
	s_delay_alu instid0(VALU_DEP_1) | instskip(SKIP_2) | instid1(VALU_DEP_4)
	v_or_b32_e32 v76, 0x800000, v74
	v_cmp_eq_u32_e32 vcc_lo, 0, v65
	v_add_nc_u32_e32 v65, 0xffffff91, v65
	v_cndmask_b32_e64 v75, v75, 0x6f, vcc_lo
	s_delay_alu instid0(VALU_DEP_4) | instskip(NEXT) | instid1(VALU_DEP_3)
	v_cndmask_b32_e32 v74, v76, v74, vcc_lo
	v_cndmask_b32_e64 v65, v65, 0xffffff92, vcc_lo
	s_delay_alu instid0(VALU_DEP_3) | instskip(NEXT) | instid1(VALU_DEP_3)
	v_lshl_add_u32 v76, 0x200000, v75, -1
	v_lshrrev_b32_e32 v77, v75, v74
	v_lshlrev_b32_e64 v79, v75, 0x100000
	s_delay_alu instid0(VALU_DEP_4) | instskip(NEXT) | instid1(VALU_DEP_4)
	v_add_nc_u32_e32 v75, v75, v65
	v_and_b32_e32 v74, v76, v74
	s_delay_alu instid0(VALU_DEP_4) | instskip(NEXT) | instid1(VALU_DEP_2)
	v_bfe_u32 v78, v77, 21, 1
	v_cmp_eq_u32_e64 s13, v74, v79
	s_delay_alu instid0(VALU_DEP_2) | instskip(NEXT) | instid1(VALU_DEP_1)
	v_add_nc_u32_e32 v76, -1, v78
	v_cndmask_b32_e64 v74, 0, v76, s13
	v_lshrrev_b32_e32 v76, 23, v77
	s_mov_b32 s13, exec_lo
	s_delay_alu instid0(VALU_DEP_2) | instskip(NEXT) | instid1(VALU_DEP_2)
	v_add_nc_u32_e32 v74, v74, v77
	v_xor_b32_e32 v76, 1, v76
	s_delay_alu instid0(VALU_DEP_2) | instskip(NEXT) | instid1(VALU_DEP_1)
	v_and_b32_e32 v65, 0x1fffff, v74
	v_add_nc_u32_e32 v74, v65, v77
                                        ; implicit-def: $vgpr65
	s_delay_alu instid0(VALU_DEP_3)
	v_cmpx_ne_u32_e64 v75, v76
	s_xor_b32 s13, exec_lo, s13
; %bb.748:                              ;   in Loop: Header=BB4_144 Depth=3
	s_delay_alu instid0(VALU_DEP_2) | instskip(SKIP_2) | instid1(VALU_DEP_2)
	v_cmp_lt_u32_e32 vcc_lo, 0xffffff, v74
	v_sub_nc_u32_e32 v65, v75, v76
	v_cndmask_b32_e64 v75, 0, 1, vcc_lo
	v_add_co_ci_u32_e32 v65, vcc_lo, 0, v65, vcc_lo
	s_delay_alu instid0(VALU_DEP_2)
	v_lshrrev_b32_e32 v74, v75, v74
; %bb.749:                              ;   in Loop: Header=BB4_144 Depth=3
	s_and_not1_saveexec_b32 s13, s13
; %bb.750:                              ;   in Loop: Header=BB4_144 Depth=3
	s_delay_alu instid0(VALU_DEP_1)
	v_bfe_u32 v65, v74, 23, 1
; %bb.751:                              ;   in Loop: Header=BB4_144 Depth=3
	s_or_b32 exec_lo, exec_lo, s13
	v_lshrrev_b32_e32 v74, 21, v74
	s_delay_alu instid0(VALU_DEP_2) | instskip(SKIP_3) | instid1(VALU_DEP_3)
	v_cmp_gt_i32_e32 vcc_lo, 32, v65
	v_lshrrev_b32_e32 v73, 24, v73
	v_min_i32_e32 v75, 31, v65
	v_dual_mov_b32 v88, v47 :: v_dual_mov_b32 v77, v56
	v_dual_cndmask_b32 v74, 3, v74 :: v_dual_and_b32 v73, 0x80, v73
	s_delay_alu instid0(VALU_DEP_3) | instskip(SKIP_1) | instid1(VALU_DEP_3)
	v_dual_mov_b32 v78, v68 :: v_dual_lshlrev_b32 v75, 2, v75
	v_dual_mov_b32 v79, v57 :: v_dual_mov_b32 v92, v58
	v_or_b32_e32 v65, v65, v74
	v_dual_mov_b32 v90, v59 :: v_dual_mov_b32 v89, v60
	v_dual_mov_b32 v91, v61 :: v_dual_mov_b32 v94, v63
	s_delay_alu instid0(VALU_DEP_3) | instskip(SKIP_1) | instid1(VALU_DEP_1)
	v_cmp_ne_u32_e32 vcc_lo, 0, v65
	v_dual_mov_b32 v93, v62 :: v_dual_and_b32 v76, 3, v74
	v_or3_b32 v73, v75, v73, v76
	s_delay_alu instid0(VALU_DEP_1)
	v_cndmask_b32_e32 v65, 0, v73, vcc_lo
.LBB4_752:                              ;   in Loop: Header=BB4_144 Depth=3
	s_or_b32 exec_lo, exec_lo, s36
.LBB4_753:                              ;   in Loop: Header=BB4_144 Depth=3
	s_delay_alu instid0(SALU_CYCLE_1) | instskip(SKIP_3) | instid1(VALU_DEP_1)
	s_or_b32 exec_lo, exec_lo, s35
	v_lshrrev_b32_e32 v73, 16, v8
	s_mov_b32 s13, 0
	s_mov_b32 s36, exec_lo
                                        ; implicit-def: $sgpr35
	v_and_b32_e32 v75, 0xff, v73
	s_delay_alu instid0(VALU_DEP_1)
	v_cmpx_lt_i16_e32 0x7f, v75
	s_xor_b32 s36, exec_lo, s36
	s_cbranch_execnz .LBB4_1119
; %bb.754:                              ;   in Loop: Header=BB4_144 Depth=3
	s_or_saveexec_b32 s36, s36
	v_mov_b32_e32 v74, s35
	s_xor_b32 exec_lo, exec_lo, s36
	s_cbranch_execnz .LBB4_1122
.LBB4_755:                              ;   in Loop: Header=BB4_144 Depth=3
	s_or_b32 exec_lo, exec_lo, s36
	s_and_saveexec_b32 s35, s13
	s_cbranch_execz .LBB4_757
.LBB4_756:                              ;   in Loop: Header=BB4_144 Depth=3
	v_bfe_u32 v74, v8, 16, 2
	v_lshlrev_b32_e32 v95, 8, v8
	s_delay_alu instid0(VALU_DEP_2) | instskip(NEXT) | instid1(VALU_DEP_1)
	v_clz_i32_u32_e32 v75, v74
	v_min_u32_e32 v75, 32, v75
	s_delay_alu instid0(VALU_DEP_1) | instskip(SKIP_1) | instid1(VALU_DEP_2)
	v_subrev_nc_u32_e32 v76, 29, v75
	v_sub_nc_u32_e32 v75, 30, v75
	v_lshlrev_b32_e32 v73, v76, v73
	v_bfe_u32 v76, v8, 18, 5
	s_delay_alu instid0(VALU_DEP_2) | instskip(NEXT) | instid1(VALU_DEP_2)
	v_and_b32_e32 v73, 3, v73
	v_cmp_eq_u32_e32 vcc_lo, 0, v76
	v_cndmask_b32_e32 v75, v76, v75, vcc_lo
	s_delay_alu instid0(VALU_DEP_3) | instskip(NEXT) | instid1(VALU_DEP_2)
	v_dual_cndmask_b32 v73, v74, v73 :: v_dual_and_b32 v74, 0x80000000, v95
	v_lshl_add_u32 v75, v75, 23, 0x37800000
	s_delay_alu instid0(VALU_DEP_2) | instskip(NEXT) | instid1(VALU_DEP_1)
	v_lshlrev_b32_e32 v73, 21, v73
	v_or3_b32 v74, v74, v75, v73
.LBB4_757:                              ;   in Loop: Header=BB4_144 Depth=3
	s_or_b32 exec_lo, exec_lo, s35
	s_delay_alu instid0(VALU_DEP_1) | instskip(NEXT) | instid1(VALU_DEP_1)
	v_mul_f32_e32 v74, s34, v74
	v_and_b32_e32 v73, 0x7f800000, v74
	s_delay_alu instid0(VALU_DEP_1)
	v_cmp_ne_u32_e32 vcc_lo, 0x7f800000, v73
	v_mov_b32_e32 v73, 0x80
	s_and_saveexec_b32 s35, vcc_lo
	s_cbranch_execz .LBB4_765
; %bb.758:                              ;   in Loop: Header=BB4_144 Depth=3
	v_mov_b32_e32 v73, 0
	s_mov_b32 s36, exec_lo
	v_cmpx_ne_u32_e32 0, v74
	s_cbranch_execz .LBB4_764
; %bb.759:                              ;   in Loop: Header=BB4_144 Depth=3
	v_bfe_u32 v73, v74, 23, 8
	s_delay_alu instid0(VALU_DEP_1) | instskip(SKIP_1) | instid1(VALU_DEP_2)
	v_sub_nc_u32_e32 v76, 0x70, v73
	v_cmp_gt_u32_e32 vcc_lo, 0x71, v73
	v_dual_cndmask_b32 v76, 0, v76 :: v_dual_and_b32 v75, 0x7fffff, v74
	s_delay_alu instid0(VALU_DEP_1) | instskip(SKIP_2) | instid1(VALU_DEP_4)
	v_or_b32_e32 v77, 0x800000, v75
	v_cmp_eq_u32_e32 vcc_lo, 0, v73
	v_add_nc_u32_e32 v73, 0xffffff91, v73
	v_cndmask_b32_e64 v76, v76, 0x6f, vcc_lo
	s_delay_alu instid0(VALU_DEP_2) | instskip(SKIP_1) | instid1(VALU_DEP_3)
	v_cndmask_b32_e64 v73, v73, 0xffffff92, vcc_lo
	v_cndmask_b32_e32 v75, v77, v75, vcc_lo
	v_lshl_add_u32 v77, 0x200000, v76, -1
	v_lshlrev_b32_e64 v88, v76, 0x100000
	s_delay_alu instid0(VALU_DEP_3) | instskip(SKIP_1) | instid1(VALU_DEP_4)
	v_lshrrev_b32_e32 v78, v76, v75
	v_add_nc_u32_e32 v76, v76, v73
	v_and_b32_e32 v75, v77, v75
	s_delay_alu instid0(VALU_DEP_3) | instskip(NEXT) | instid1(VALU_DEP_2)
	v_bfe_u32 v79, v78, 21, 1
	v_cmp_eq_u32_e64 s13, v75, v88
	s_delay_alu instid0(VALU_DEP_2) | instskip(NEXT) | instid1(VALU_DEP_1)
	v_add_nc_u32_e32 v77, -1, v79
	v_cndmask_b32_e64 v75, 0, v77, s13
	v_lshrrev_b32_e32 v77, 23, v78
	s_mov_b32 s13, exec_lo
	s_delay_alu instid0(VALU_DEP_2) | instskip(NEXT) | instid1(VALU_DEP_2)
	v_add_nc_u32_e32 v75, v75, v78
	v_xor_b32_e32 v77, 1, v77
	s_delay_alu instid0(VALU_DEP_2) | instskip(NEXT) | instid1(VALU_DEP_1)
	v_and_b32_e32 v73, 0x1fffff, v75
	v_add_nc_u32_e32 v75, v73, v78
                                        ; implicit-def: $vgpr73
	s_delay_alu instid0(VALU_DEP_3)
	v_cmpx_ne_u32_e64 v76, v77
	s_xor_b32 s13, exec_lo, s13
; %bb.760:                              ;   in Loop: Header=BB4_144 Depth=3
	s_delay_alu instid0(VALU_DEP_2) | instskip(SKIP_2) | instid1(VALU_DEP_2)
	v_cmp_lt_u32_e32 vcc_lo, 0xffffff, v75
	v_sub_nc_u32_e32 v73, v76, v77
	v_cndmask_b32_e64 v76, 0, 1, vcc_lo
	v_add_co_ci_u32_e32 v73, vcc_lo, 0, v73, vcc_lo
	s_delay_alu instid0(VALU_DEP_2)
	v_lshrrev_b32_e32 v75, v76, v75
; %bb.761:                              ;   in Loop: Header=BB4_144 Depth=3
	s_and_not1_saveexec_b32 s13, s13
; %bb.762:                              ;   in Loop: Header=BB4_144 Depth=3
	s_delay_alu instid0(VALU_DEP_1)
	v_bfe_u32 v73, v75, 23, 1
; %bb.763:                              ;   in Loop: Header=BB4_144 Depth=3
	s_or_b32 exec_lo, exec_lo, s13
	v_lshrrev_b32_e32 v75, 21, v75
	s_delay_alu instid0(VALU_DEP_2) | instskip(SKIP_4) | instid1(VALU_DEP_4)
	v_cmp_gt_i32_e32 vcc_lo, 32, v73
	v_lshrrev_b32_e32 v74, 24, v74
	v_min_i32_e32 v76, 31, v73
	v_dual_mov_b32 v88, v47 :: v_dual_mov_b32 v79, v57
	v_dual_mov_b32 v92, v58 :: v_dual_cndmask_b32 v75, 3, v75
	v_and_b32_e32 v74, 0x80, v74
	v_dual_mov_b32 v90, v59 :: v_dual_mov_b32 v89, v60
	v_mov_b32_e32 v78, v68
	s_delay_alu instid0(VALU_DEP_4) | instskip(SKIP_3) | instid1(VALU_DEP_4)
	v_or_b32_e32 v73, v73, v75
	v_and_b32_e32 v77, 3, v75
	v_dual_mov_b32 v91, v61 :: v_dual_mov_b32 v94, v63
	v_mov_b32_e32 v93, v62
	v_cmp_ne_u32_e32 vcc_lo, 0, v73
	v_lshlrev_b32_e32 v76, 2, v76
	s_delay_alu instid0(VALU_DEP_1) | instskip(SKIP_1) | instid1(VALU_DEP_2)
	v_or3_b32 v74, v76, v74, v77
	v_mov_b32_e32 v77, v56
	v_cndmask_b32_e32 v73, 0, v74, vcc_lo
.LBB4_764:                              ;   in Loop: Header=BB4_144 Depth=3
	s_or_b32 exec_lo, exec_lo, s36
.LBB4_765:                              ;   in Loop: Header=BB4_144 Depth=3
	s_delay_alu instid0(SALU_CYCLE_1) | instskip(SKIP_3) | instid1(VALU_DEP_1)
	s_or_b32 exec_lo, exec_lo, s35
	v_lshrrev_b32_e32 v74, 24, v8
	s_mov_b32 s13, 0
	s_mov_b32 s36, exec_lo
                                        ; implicit-def: $sgpr35
	v_cmpx_lt_i16_e32 0x7f, v74
	s_xor_b32 s36, exec_lo, s36
	s_cbranch_execnz .LBB4_1123
; %bb.766:                              ;   in Loop: Header=BB4_144 Depth=3
	s_or_saveexec_b32 s36, s36
	v_mov_b32_e32 v75, s35
	s_xor_b32 exec_lo, exec_lo, s36
	s_cbranch_execnz .LBB4_1126
.LBB4_767:                              ;   in Loop: Header=BB4_144 Depth=3
	s_or_b32 exec_lo, exec_lo, s36
	s_and_saveexec_b32 s35, s13
	s_cbranch_execz .LBB4_769
.LBB4_768:                              ;   in Loop: Header=BB4_144 Depth=3
	v_bfe_u32 v75, v8, 24, 2
	s_delay_alu instid0(VALU_DEP_1) | instskip(NEXT) | instid1(VALU_DEP_1)
	v_clz_i32_u32_e32 v76, v75
	v_min_u32_e32 v76, 32, v76
	s_delay_alu instid0(VALU_DEP_1) | instskip(SKIP_1) | instid1(VALU_DEP_2)
	v_subrev_nc_u32_e32 v95, 29, v76
	v_sub_nc_u32_e32 v76, 30, v76
	v_lshlrev_b32_e32 v74, v95, v74
	v_bfe_u32 v95, v8, 26, 5
	v_and_b32_e32 v8, 0x80000000, v8
	s_delay_alu instid0(VALU_DEP_3) | instskip(NEXT) | instid1(VALU_DEP_3)
	v_and_b32_e32 v74, 3, v74
	v_cmp_eq_u32_e32 vcc_lo, 0, v95
	v_cndmask_b32_e32 v76, v95, v76, vcc_lo
	s_delay_alu instid0(VALU_DEP_3) | instskip(NEXT) | instid1(VALU_DEP_2)
	v_cndmask_b32_e32 v74, v75, v74, vcc_lo
	v_lshl_add_u32 v75, v76, 23, 0x37800000
	s_delay_alu instid0(VALU_DEP_2) | instskip(NEXT) | instid1(VALU_DEP_1)
	v_lshlrev_b32_e32 v74, 21, v74
	v_or3_b32 v75, v8, v75, v74
.LBB4_769:                              ;   in Loop: Header=BB4_144 Depth=3
	s_or_b32 exec_lo, exec_lo, s35
	s_delay_alu instid0(VALU_DEP_1) | instskip(NEXT) | instid1(VALU_DEP_1)
	v_mul_f32_e32 v74, s34, v75
	v_and_b32_e32 v8, 0x7f800000, v74
	s_delay_alu instid0(VALU_DEP_1)
	v_cmp_ne_u32_e32 vcc_lo, 0x7f800000, v8
	v_mov_b32_e32 v8, 0x80
	s_and_saveexec_b32 s35, vcc_lo
	s_cbranch_execz .LBB4_777
; %bb.770:                              ;   in Loop: Header=BB4_144 Depth=3
	v_mov_b32_e32 v8, 0
	s_mov_b32 s36, exec_lo
	v_cmpx_ne_u32_e32 0, v74
	s_cbranch_execz .LBB4_776
; %bb.771:                              ;   in Loop: Header=BB4_144 Depth=3
	v_bfe_u32 v8, v74, 23, 8
	s_delay_alu instid0(VALU_DEP_1) | instskip(SKIP_1) | instid1(VALU_DEP_2)
	v_sub_nc_u32_e32 v76, 0x70, v8
	v_cmp_gt_u32_e32 vcc_lo, 0x71, v8
	v_dual_cndmask_b32 v76, 0, v76 :: v_dual_and_b32 v75, 0x7fffff, v74
	s_delay_alu instid0(VALU_DEP_1) | instskip(SKIP_2) | instid1(VALU_DEP_4)
	v_or_b32_e32 v77, 0x800000, v75
	v_cmp_eq_u32_e32 vcc_lo, 0, v8
	v_add_nc_u32_e32 v8, 0xffffff91, v8
	v_cndmask_b32_e64 v76, v76, 0x6f, vcc_lo
	s_delay_alu instid0(VALU_DEP_4) | instskip(NEXT) | instid1(VALU_DEP_3)
	v_cndmask_b32_e32 v75, v77, v75, vcc_lo
	v_cndmask_b32_e64 v8, v8, 0xffffff92, vcc_lo
	s_delay_alu instid0(VALU_DEP_3) | instskip(NEXT) | instid1(VALU_DEP_3)
	v_lshl_add_u32 v77, 0x200000, v76, -1
	v_lshrrev_b32_e32 v78, v76, v75
	v_lshlrev_b32_e64 v88, v76, 0x100000
	s_delay_alu instid0(VALU_DEP_4) | instskip(NEXT) | instid1(VALU_DEP_4)
	v_add_nc_u32_e32 v76, v76, v8
	v_and_b32_e32 v75, v77, v75
	s_delay_alu instid0(VALU_DEP_4) | instskip(NEXT) | instid1(VALU_DEP_2)
	v_bfe_u32 v79, v78, 21, 1
	v_cmp_eq_u32_e64 s13, v75, v88
	s_delay_alu instid0(VALU_DEP_2) | instskip(NEXT) | instid1(VALU_DEP_1)
	v_add_nc_u32_e32 v77, -1, v79
	v_cndmask_b32_e64 v75, 0, v77, s13
	v_lshrrev_b32_e32 v77, 23, v78
	s_mov_b32 s13, exec_lo
	s_delay_alu instid0(VALU_DEP_2) | instskip(NEXT) | instid1(VALU_DEP_2)
	v_add_nc_u32_e32 v75, v75, v78
	v_xor_b32_e32 v77, 1, v77
	s_delay_alu instid0(VALU_DEP_2) | instskip(NEXT) | instid1(VALU_DEP_1)
	v_and_b32_e32 v8, 0x1fffff, v75
	v_add_nc_u32_e32 v75, v8, v78
                                        ; implicit-def: $vgpr8
	s_delay_alu instid0(VALU_DEP_3)
	v_cmpx_ne_u32_e64 v76, v77
	s_xor_b32 s13, exec_lo, s13
; %bb.772:                              ;   in Loop: Header=BB4_144 Depth=3
	s_delay_alu instid0(VALU_DEP_2) | instskip(SKIP_2) | instid1(VALU_DEP_2)
	v_cmp_lt_u32_e32 vcc_lo, 0xffffff, v75
	v_sub_nc_u32_e32 v8, v76, v77
	v_cndmask_b32_e64 v76, 0, 1, vcc_lo
	v_add_co_ci_u32_e32 v8, vcc_lo, 0, v8, vcc_lo
	s_delay_alu instid0(VALU_DEP_2)
	v_lshrrev_b32_e32 v75, v76, v75
; %bb.773:                              ;   in Loop: Header=BB4_144 Depth=3
	s_and_not1_saveexec_b32 s13, s13
; %bb.774:                              ;   in Loop: Header=BB4_144 Depth=3
	s_delay_alu instid0(VALU_DEP_1)
	v_bfe_u32 v8, v75, 23, 1
; %bb.775:                              ;   in Loop: Header=BB4_144 Depth=3
	s_or_b32 exec_lo, exec_lo, s13
	v_lshrrev_b32_e32 v75, 21, v75
	s_delay_alu instid0(VALU_DEP_2) | instskip(SKIP_3) | instid1(VALU_DEP_3)
	v_cmp_gt_i32_e32 vcc_lo, 32, v8
	v_lshrrev_b32_e32 v74, 24, v74
	v_min_i32_e32 v76, 31, v8
	v_dual_mov_b32 v78, v68 :: v_dual_mov_b32 v79, v57
	v_dual_cndmask_b32 v75, 3, v75 :: v_dual_and_b32 v74, 0x80, v74
	s_delay_alu instid0(VALU_DEP_3) | instskip(SKIP_1) | instid1(VALU_DEP_3)
	v_lshlrev_b32_e32 v76, 2, v76
	v_dual_mov_b32 v88, v47 :: v_dual_mov_b32 v89, v60
	v_or_b32_e32 v8, v8, v75
	v_dual_mov_b32 v92, v58 :: v_dual_mov_b32 v91, v61
	v_dual_mov_b32 v90, v59 :: v_dual_mov_b32 v93, v62
	s_delay_alu instid0(VALU_DEP_3) | instskip(SKIP_1) | instid1(VALU_DEP_1)
	v_cmp_ne_u32_e32 vcc_lo, 0, v8
	v_dual_mov_b32 v94, v63 :: v_dual_and_b32 v77, 3, v75
	v_or3_b32 v74, v76, v74, v77
	s_delay_alu instid0(VALU_DEP_1)
	v_dual_mov_b32 v77, v56 :: v_dual_cndmask_b32 v8, 0, v74
.LBB4_776:                              ;   in Loop: Header=BB4_144 Depth=3
	s_or_b32 exec_lo, exec_lo, s36
.LBB4_777:                              ;   in Loop: Header=BB4_144 Depth=3
	s_delay_alu instid0(SALU_CYCLE_1) | instskip(SKIP_3) | instid1(VALU_DEP_1)
	s_or_b32 exec_lo, exec_lo, s35
	v_and_b32_e32 v75, 0xff, v9
	s_mov_b32 s13, 0
	s_mov_b32 s36, exec_lo
                                        ; implicit-def: $sgpr35
	v_cmpx_lt_i16_e32 0x7f, v75
	s_xor_b32 s36, exec_lo, s36
	s_cbranch_execnz .LBB4_1127
; %bb.778:                              ;   in Loop: Header=BB4_144 Depth=3
	s_or_saveexec_b32 s36, s36
	v_mov_b32_e32 v74, s35
	s_xor_b32 exec_lo, exec_lo, s36
	s_cbranch_execnz .LBB4_1130
.LBB4_779:                              ;   in Loop: Header=BB4_144 Depth=3
	s_or_b32 exec_lo, exec_lo, s36
	s_and_saveexec_b32 s35, s13
	s_cbranch_execz .LBB4_781
.LBB4_780:                              ;   in Loop: Header=BB4_144 Depth=3
	v_bfe_u32 v95, v9, 2, 5
	v_lshlrev_b32_e32 v104, 24, v9
	s_delay_alu instid0(VALU_DEP_2) | instskip(SKIP_1) | instid1(VALU_DEP_1)
	v_cmp_eq_u32_e32 vcc_lo, 0, v95
	v_and_b32_e32 v74, 3, v9
	v_clz_i32_u32_e32 v75, v74
	s_delay_alu instid0(VALU_DEP_1) | instskip(NEXT) | instid1(VALU_DEP_1)
	v_min_u32_e32 v75, 32, v75
	v_subrev_nc_u32_e32 v76, 29, v75
	v_sub_nc_u32_e32 v75, 30, v75
	s_delay_alu instid0(VALU_DEP_1) | instskip(NEXT) | instid1(VALU_DEP_1)
	v_dual_cndmask_b32 v75, v95, v75 :: v_dual_lshlrev_b32 v76, v76, v9
	v_and_b32_e32 v76, 3, v76
	s_delay_alu instid0(VALU_DEP_2) | instskip(NEXT) | instid1(VALU_DEP_2)
	v_lshl_add_u32 v75, v75, 23, 0x37800000
	v_cndmask_b32_e32 v74, v74, v76, vcc_lo
	v_and_b32_e32 v76, 0x80000000, v104
	s_delay_alu instid0(VALU_DEP_2) | instskip(NEXT) | instid1(VALU_DEP_1)
	v_lshlrev_b32_e32 v74, 21, v74
	v_or3_b32 v74, v76, v75, v74
.LBB4_781:                              ;   in Loop: Header=BB4_144 Depth=3
	s_or_b32 exec_lo, exec_lo, s35
	s_delay_alu instid0(VALU_DEP_1) | instskip(NEXT) | instid1(VALU_DEP_1)
	v_mul_f32_e32 v75, s34, v74
	v_and_b32_e32 v74, 0x7f800000, v75
	s_delay_alu instid0(VALU_DEP_1)
	v_cmp_ne_u32_e32 vcc_lo, 0x7f800000, v74
	v_mov_b32_e32 v74, 0x80
	s_and_saveexec_b32 s35, vcc_lo
	s_cbranch_execz .LBB4_789
; %bb.782:                              ;   in Loop: Header=BB4_144 Depth=3
	v_mov_b32_e32 v74, 0
	s_mov_b32 s36, exec_lo
	v_cmpx_ne_u32_e32 0, v75
	s_cbranch_execz .LBB4_788
; %bb.783:                              ;   in Loop: Header=BB4_144 Depth=3
	v_bfe_u32 v74, v75, 23, 8
	s_delay_alu instid0(VALU_DEP_1) | instskip(SKIP_1) | instid1(VALU_DEP_2)
	v_sub_nc_u32_e32 v77, 0x70, v74
	v_cmp_gt_u32_e32 vcc_lo, 0x71, v74
	v_dual_cndmask_b32 v77, 0, v77 :: v_dual_and_b32 v76, 0x7fffff, v75
	s_delay_alu instid0(VALU_DEP_1) | instskip(SKIP_2) | instid1(VALU_DEP_4)
	v_or_b32_e32 v78, 0x800000, v76
	v_cmp_eq_u32_e32 vcc_lo, 0, v74
	v_add_nc_u32_e32 v74, 0xffffff91, v74
	v_cndmask_b32_e64 v77, v77, 0x6f, vcc_lo
	s_delay_alu instid0(VALU_DEP_2) | instskip(SKIP_1) | instid1(VALU_DEP_3)
	v_cndmask_b32_e64 v74, v74, 0xffffff92, vcc_lo
	v_cndmask_b32_e32 v76, v78, v76, vcc_lo
	v_lshl_add_u32 v78, 0x200000, v77, -1
	v_lshlrev_b32_e64 v89, v77, 0x100000
	s_delay_alu instid0(VALU_DEP_3) | instskip(SKIP_1) | instid1(VALU_DEP_4)
	v_lshrrev_b32_e32 v79, v77, v76
	v_add_nc_u32_e32 v77, v77, v74
	v_and_b32_e32 v76, v78, v76
	s_delay_alu instid0(VALU_DEP_3) | instskip(NEXT) | instid1(VALU_DEP_2)
	v_bfe_u32 v88, v79, 21, 1
	v_cmp_eq_u32_e64 s13, v76, v89
	s_delay_alu instid0(VALU_DEP_2) | instskip(NEXT) | instid1(VALU_DEP_1)
	v_add_nc_u32_e32 v78, -1, v88
	v_cndmask_b32_e64 v76, 0, v78, s13
	v_lshrrev_b32_e32 v78, 23, v79
	s_mov_b32 s13, exec_lo
	s_delay_alu instid0(VALU_DEP_2) | instskip(NEXT) | instid1(VALU_DEP_2)
	v_add_nc_u32_e32 v76, v76, v79
	v_xor_b32_e32 v78, 1, v78
	s_delay_alu instid0(VALU_DEP_2) | instskip(NEXT) | instid1(VALU_DEP_1)
	v_and_b32_e32 v74, 0x1fffff, v76
	v_add_nc_u32_e32 v76, v74, v79
                                        ; implicit-def: $vgpr74
	s_delay_alu instid0(VALU_DEP_3)
	v_cmpx_ne_u32_e64 v77, v78
	s_xor_b32 s13, exec_lo, s13
; %bb.784:                              ;   in Loop: Header=BB4_144 Depth=3
	s_delay_alu instid0(VALU_DEP_2) | instskip(SKIP_2) | instid1(VALU_DEP_2)
	v_cmp_lt_u32_e32 vcc_lo, 0xffffff, v76
	v_sub_nc_u32_e32 v74, v77, v78
	v_cndmask_b32_e64 v77, 0, 1, vcc_lo
	v_add_co_ci_u32_e32 v74, vcc_lo, 0, v74, vcc_lo
	s_delay_alu instid0(VALU_DEP_2)
	v_lshrrev_b32_e32 v76, v77, v76
; %bb.785:                              ;   in Loop: Header=BB4_144 Depth=3
	s_and_not1_saveexec_b32 s13, s13
; %bb.786:                              ;   in Loop: Header=BB4_144 Depth=3
	s_delay_alu instid0(VALU_DEP_1)
	v_bfe_u32 v74, v76, 23, 1
; %bb.787:                              ;   in Loop: Header=BB4_144 Depth=3
	s_or_b32 exec_lo, exec_lo, s13
	v_lshrrev_b32_e32 v76, 21, v76
	s_delay_alu instid0(VALU_DEP_2) | instskip(SKIP_3) | instid1(VALU_DEP_3)
	v_cmp_gt_i32_e32 vcc_lo, 32, v74
	v_min_i32_e32 v77, 31, v74
	v_lshrrev_b32_e32 v75, 24, v75
	v_dual_mov_b32 v88, v47 :: v_dual_mov_b32 v79, v57
	v_dual_cndmask_b32 v76, 3, v76 :: v_dual_lshlrev_b32 v77, 2, v77
	s_delay_alu instid0(VALU_DEP_3) | instskip(SKIP_1) | instid1(VALU_DEP_3)
	v_dual_mov_b32 v92, v58 :: v_dual_and_b32 v75, 0x80, v75
	v_mov_b32_e32 v89, v60
	v_or_b32_e32 v74, v74, v76
	v_and_b32_e32 v78, 3, v76
	v_dual_mov_b32 v90, v59 :: v_dual_mov_b32 v91, v61
	v_dual_mov_b32 v93, v62 :: v_dual_mov_b32 v94, v63
	s_delay_alu instid0(VALU_DEP_4) | instskip(SKIP_1) | instid1(VALU_DEP_1)
	v_cmp_ne_u32_e32 vcc_lo, 0, v74
	v_and_b32_e32 v77, 0xfc, v77
	v_or3_b32 v75, v77, v75, v78
	v_mov_b32_e32 v78, v68
	s_delay_alu instid0(VALU_DEP_2)
	v_dual_mov_b32 v77, v56 :: v_dual_cndmask_b32 v74, 0, v75
.LBB4_788:                              ;   in Loop: Header=BB4_144 Depth=3
	s_or_b32 exec_lo, exec_lo, s36
.LBB4_789:                              ;   in Loop: Header=BB4_144 Depth=3
	s_delay_alu instid0(SALU_CYCLE_1) | instskip(SKIP_3) | instid1(VALU_DEP_1)
	s_or_b32 exec_lo, exec_lo, s35
	v_lshrrev_b16 v75, 8, v9
	s_mov_b32 s13, 0
	s_mov_b32 s36, exec_lo
                                        ; implicit-def: $sgpr35
	v_cmpx_lt_i16_e32 0x7f, v75
	s_xor_b32 s36, exec_lo, s36
	s_cbranch_execnz .LBB4_1131
; %bb.790:                              ;   in Loop: Header=BB4_144 Depth=3
	s_or_saveexec_b32 s36, s36
	v_mov_b32_e32 v76, s35
	s_xor_b32 exec_lo, exec_lo, s36
	s_cbranch_execnz .LBB4_1134
.LBB4_791:                              ;   in Loop: Header=BB4_144 Depth=3
	s_or_b32 exec_lo, exec_lo, s36
	s_and_saveexec_b32 s35, s13
	s_cbranch_execz .LBB4_793
.LBB4_792:                              ;   in Loop: Header=BB4_144 Depth=3
	v_and_b32_e32 v76, 0xffff, v75
	v_lshlrev_b32_e32 v75, 24, v75
	s_delay_alu instid0(VALU_DEP_2) | instskip(NEXT) | instid1(VALU_DEP_2)
	v_and_b32_e32 v95, 3, v76
	v_and_b32_e32 v75, 0x80000000, v75
	s_delay_alu instid0(VALU_DEP_2) | instskip(NEXT) | instid1(VALU_DEP_1)
	v_clz_i32_u32_e32 v104, v95
	v_min_u32_e32 v104, 32, v104
	s_delay_alu instid0(VALU_DEP_1) | instskip(SKIP_1) | instid1(VALU_DEP_2)
	v_subrev_nc_u32_e32 v105, 29, v104
	v_sub_nc_u32_e32 v104, 30, v104
	v_lshlrev_b32_e32 v105, v105, v76
	v_bfe_u32 v76, v76, 2, 5
	s_delay_alu instid0(VALU_DEP_1) | instskip(NEXT) | instid1(VALU_DEP_3)
	v_cmp_eq_u32_e32 vcc_lo, 0, v76
	v_dual_cndmask_b32 v76, v76, v104 :: v_dual_and_b32 v105, 3, v105
	s_delay_alu instid0(VALU_DEP_1) | instskip(NEXT) | instid1(VALU_DEP_2)
	v_cndmask_b32_e32 v95, v95, v105, vcc_lo
	v_lshl_add_u32 v76, v76, 23, 0x37800000
	s_delay_alu instid0(VALU_DEP_2) | instskip(NEXT) | instid1(VALU_DEP_1)
	v_lshlrev_b32_e32 v95, 21, v95
	v_or3_b32 v76, v75, v76, v95
.LBB4_793:                              ;   in Loop: Header=BB4_144 Depth=3
	s_or_b32 exec_lo, exec_lo, s35
	s_delay_alu instid0(VALU_DEP_1) | instskip(NEXT) | instid1(VALU_DEP_1)
	v_mul_f32_e32 v76, s34, v76
	v_and_b32_e32 v75, 0x7f800000, v76
	s_delay_alu instid0(VALU_DEP_1)
	v_cmp_ne_u32_e32 vcc_lo, 0x7f800000, v75
	v_mov_b32_e32 v75, 0x8000
	s_and_saveexec_b32 s35, vcc_lo
	s_cbranch_execz .LBB4_801
; %bb.794:                              ;   in Loop: Header=BB4_144 Depth=3
	v_mov_b32_e32 v75, 0
	s_mov_b32 s36, exec_lo
	v_cmpx_ne_u32_e32 0, v76
	s_cbranch_execz .LBB4_800
; %bb.795:                              ;   in Loop: Header=BB4_144 Depth=3
	v_bfe_u32 v75, v76, 23, 8
	s_delay_alu instid0(VALU_DEP_1) | instskip(SKIP_1) | instid1(VALU_DEP_2)
	v_sub_nc_u32_e32 v78, 0x70, v75
	v_cmp_gt_u32_e32 vcc_lo, 0x71, v75
	v_dual_cndmask_b32 v78, 0, v78 :: v_dual_and_b32 v77, 0x7fffff, v76
	s_delay_alu instid0(VALU_DEP_1) | instskip(SKIP_2) | instid1(VALU_DEP_4)
	v_or_b32_e32 v79, 0x800000, v77
	v_cmp_eq_u32_e32 vcc_lo, 0, v75
	v_add_nc_u32_e32 v75, 0xffffff91, v75
	v_cndmask_b32_e64 v78, v78, 0x6f, vcc_lo
	s_delay_alu instid0(VALU_DEP_2) | instskip(SKIP_1) | instid1(VALU_DEP_3)
	v_cndmask_b32_e64 v75, v75, 0xffffff92, vcc_lo
	v_cndmask_b32_e32 v77, v79, v77, vcc_lo
	v_lshl_add_u32 v79, 0x200000, v78, -1
	v_lshlrev_b32_e64 v90, v78, 0x100000
	s_delay_alu instid0(VALU_DEP_3) | instskip(SKIP_1) | instid1(VALU_DEP_4)
	v_lshrrev_b32_e32 v88, v78, v77
	v_add_nc_u32_e32 v78, v78, v75
	v_and_b32_e32 v77, v79, v77
	s_delay_alu instid0(VALU_DEP_3) | instskip(NEXT) | instid1(VALU_DEP_2)
	v_bfe_u32 v89, v88, 21, 1
	v_cmp_eq_u32_e64 s13, v77, v90
	s_delay_alu instid0(VALU_DEP_2) | instskip(NEXT) | instid1(VALU_DEP_1)
	v_add_nc_u32_e32 v79, -1, v89
	v_cndmask_b32_e64 v77, 0, v79, s13
	v_lshrrev_b32_e32 v79, 23, v88
	s_mov_b32 s13, exec_lo
	s_delay_alu instid0(VALU_DEP_2) | instskip(NEXT) | instid1(VALU_DEP_2)
	v_add_nc_u32_e32 v77, v77, v88
	v_xor_b32_e32 v79, 1, v79
	s_delay_alu instid0(VALU_DEP_2) | instskip(NEXT) | instid1(VALU_DEP_1)
	v_and_b32_e32 v75, 0x1fffff, v77
	v_add_nc_u32_e32 v77, v75, v88
                                        ; implicit-def: $vgpr75
	s_delay_alu instid0(VALU_DEP_3)
	v_cmpx_ne_u32_e64 v78, v79
	s_xor_b32 s13, exec_lo, s13
; %bb.796:                              ;   in Loop: Header=BB4_144 Depth=3
	s_delay_alu instid0(VALU_DEP_2) | instskip(SKIP_2) | instid1(VALU_DEP_2)
	v_cmp_lt_u32_e32 vcc_lo, 0xffffff, v77
	v_sub_nc_u32_e32 v75, v78, v79
	v_cndmask_b32_e64 v78, 0, 1, vcc_lo
	v_add_co_ci_u32_e32 v75, vcc_lo, 0, v75, vcc_lo
	s_delay_alu instid0(VALU_DEP_2)
	v_lshrrev_b32_e32 v77, v78, v77
; %bb.797:                              ;   in Loop: Header=BB4_144 Depth=3
	s_and_not1_saveexec_b32 s13, s13
; %bb.798:                              ;   in Loop: Header=BB4_144 Depth=3
	s_delay_alu instid0(VALU_DEP_1)
	v_bfe_u32 v75, v77, 23, 1
; %bb.799:                              ;   in Loop: Header=BB4_144 Depth=3
	s_or_b32 exec_lo, exec_lo, s13
	v_lshrrev_b32_e32 v77, 21, v77
	s_delay_alu instid0(VALU_DEP_2) | instskip(SKIP_3) | instid1(VALU_DEP_3)
	v_cmp_gt_i32_e32 vcc_lo, 32, v75
	v_min_i32_e32 v78, 31, v75
	v_lshrrev_b32_e32 v76, 24, v76
	v_dual_mov_b32 v88, v47 :: v_dual_mov_b32 v89, v60
	v_dual_cndmask_b32 v77, 3, v77 :: v_dual_lshlrev_b32 v78, 2, v78
	s_delay_alu instid0(VALU_DEP_3) | instskip(SKIP_1) | instid1(VALU_DEP_3)
	v_and_b32_e32 v76, 0x80, v76
	v_dual_mov_b32 v92, v58 :: v_dual_mov_b32 v91, v61
	v_or_b32_e32 v75, v75, v77
	v_and_b32_e32 v79, 3, v77
	v_dual_mov_b32 v77, v56 :: v_dual_mov_b32 v90, v59
	v_mov_b32_e32 v93, v62
	s_delay_alu instid0(VALU_DEP_4) | instskip(SKIP_2) | instid1(VALU_DEP_2)
	v_cmp_ne_u32_e32 vcc_lo, 0, v75
	v_and_b32_e32 v78, 0xfc, v78
	v_mov_b32_e32 v94, v63
	v_or3_b32 v76, v76, v78, v79
	v_dual_mov_b32 v78, v68 :: v_dual_mov_b32 v79, v57
	s_delay_alu instid0(VALU_DEP_2) | instskip(NEXT) | instid1(VALU_DEP_1)
	v_lshlrev_b32_e32 v76, 8, v76
	v_cndmask_b32_e32 v75, 0, v76, vcc_lo
.LBB4_800:                              ;   in Loop: Header=BB4_144 Depth=3
	s_or_b32 exec_lo, exec_lo, s36
.LBB4_801:                              ;   in Loop: Header=BB4_144 Depth=3
	s_delay_alu instid0(SALU_CYCLE_1) | instskip(SKIP_3) | instid1(VALU_DEP_1)
	s_or_b32 exec_lo, exec_lo, s35
	v_lshrrev_b32_e32 v76, 16, v9
	s_mov_b32 s13, 0
	s_mov_b32 s36, exec_lo
                                        ; implicit-def: $sgpr35
	v_and_b32_e32 v104, 0xff, v76
	s_delay_alu instid0(VALU_DEP_1)
	v_cmpx_lt_i16_e32 0x7f, v104
	s_xor_b32 s36, exec_lo, s36
	s_cbranch_execnz .LBB4_1135
; %bb.802:                              ;   in Loop: Header=BB4_144 Depth=3
	s_or_saveexec_b32 s36, s36
	v_mov_b32_e32 v95, s35
	s_xor_b32 exec_lo, exec_lo, s36
	s_cbranch_execnz .LBB4_1138
.LBB4_803:                              ;   in Loop: Header=BB4_144 Depth=3
	s_or_b32 exec_lo, exec_lo, s36
	s_and_saveexec_b32 s35, s13
	s_cbranch_execz .LBB4_805
.LBB4_804:                              ;   in Loop: Header=BB4_144 Depth=3
	v_bfe_u32 v95, v9, 16, 2
	v_lshlrev_b32_e32 v106, 8, v9
	s_delay_alu instid0(VALU_DEP_2) | instskip(NEXT) | instid1(VALU_DEP_1)
	v_clz_i32_u32_e32 v104, v95
	v_min_u32_e32 v104, 32, v104
	s_delay_alu instid0(VALU_DEP_1) | instskip(SKIP_1) | instid1(VALU_DEP_2)
	v_subrev_nc_u32_e32 v105, 29, v104
	v_sub_nc_u32_e32 v104, 30, v104
	v_lshlrev_b32_e32 v76, v105, v76
	v_bfe_u32 v105, v9, 18, 5
	s_delay_alu instid0(VALU_DEP_2) | instskip(NEXT) | instid1(VALU_DEP_2)
	v_and_b32_e32 v76, 3, v76
	v_cmp_eq_u32_e32 vcc_lo, 0, v105
	v_cndmask_b32_e32 v104, v105, v104, vcc_lo
	s_delay_alu instid0(VALU_DEP_3) | instskip(NEXT) | instid1(VALU_DEP_2)
	v_dual_cndmask_b32 v76, v95, v76 :: v_dual_and_b32 v95, 0x80000000, v106
	v_lshl_add_u32 v104, v104, 23, 0x37800000
	s_delay_alu instid0(VALU_DEP_2) | instskip(NEXT) | instid1(VALU_DEP_1)
	v_lshlrev_b32_e32 v76, 21, v76
	v_or3_b32 v95, v95, v104, v76
.LBB4_805:                              ;   in Loop: Header=BB4_144 Depth=3
	s_or_b32 exec_lo, exec_lo, s35
	s_delay_alu instid0(VALU_DEP_1) | instskip(NEXT) | instid1(VALU_DEP_1)
	v_mul_f32_e32 v95, s34, v95
	v_and_b32_e32 v76, 0x7f800000, v95
	s_delay_alu instid0(VALU_DEP_1)
	v_cmp_ne_u32_e32 vcc_lo, 0x7f800000, v76
	v_mov_b32_e32 v76, 0x80
	s_and_saveexec_b32 s35, vcc_lo
	s_cbranch_execz .LBB4_813
; %bb.806:                              ;   in Loop: Header=BB4_144 Depth=3
	v_mov_b32_e32 v76, 0
	s_mov_b32 s36, exec_lo
	v_cmpx_ne_u32_e32 0, v95
	s_cbranch_execz .LBB4_812
; %bb.807:                              ;   in Loop: Header=BB4_144 Depth=3
	v_bfe_u32 v76, v95, 23, 8
	s_delay_alu instid0(VALU_DEP_1) | instskip(SKIP_1) | instid1(VALU_DEP_2)
	v_sub_nc_u32_e32 v78, 0x70, v76
	v_cmp_gt_u32_e32 vcc_lo, 0x71, v76
	v_dual_cndmask_b32 v78, 0, v78 :: v_dual_and_b32 v77, 0x7fffff, v95
	s_delay_alu instid0(VALU_DEP_1) | instskip(SKIP_2) | instid1(VALU_DEP_4)
	v_or_b32_e32 v79, 0x800000, v77
	v_cmp_eq_u32_e32 vcc_lo, 0, v76
	v_add_nc_u32_e32 v76, 0xffffff91, v76
	v_cndmask_b32_e64 v78, v78, 0x6f, vcc_lo
	s_delay_alu instid0(VALU_DEP_4) | instskip(NEXT) | instid1(VALU_DEP_3)
	v_cndmask_b32_e32 v77, v79, v77, vcc_lo
	v_cndmask_b32_e64 v76, v76, 0xffffff92, vcc_lo
	s_delay_alu instid0(VALU_DEP_3) | instskip(NEXT) | instid1(VALU_DEP_3)
	v_lshl_add_u32 v79, 0x200000, v78, -1
	v_lshrrev_b32_e32 v88, v78, v77
	v_lshlrev_b32_e64 v90, v78, 0x100000
	s_delay_alu instid0(VALU_DEP_4) | instskip(NEXT) | instid1(VALU_DEP_4)
	v_add_nc_u32_e32 v78, v78, v76
	v_and_b32_e32 v77, v79, v77
	s_delay_alu instid0(VALU_DEP_4) | instskip(NEXT) | instid1(VALU_DEP_2)
	v_bfe_u32 v89, v88, 21, 1
	v_cmp_eq_u32_e64 s13, v77, v90
	s_delay_alu instid0(VALU_DEP_2) | instskip(NEXT) | instid1(VALU_DEP_1)
	v_add_nc_u32_e32 v79, -1, v89
	v_cndmask_b32_e64 v77, 0, v79, s13
	v_lshrrev_b32_e32 v79, 23, v88
	s_mov_b32 s13, exec_lo
	s_delay_alu instid0(VALU_DEP_2) | instskip(NEXT) | instid1(VALU_DEP_2)
	v_add_nc_u32_e32 v77, v77, v88
	v_xor_b32_e32 v79, 1, v79
	s_delay_alu instid0(VALU_DEP_2) | instskip(NEXT) | instid1(VALU_DEP_1)
	v_and_b32_e32 v76, 0x1fffff, v77
	v_add_nc_u32_e32 v77, v76, v88
                                        ; implicit-def: $vgpr76
	s_delay_alu instid0(VALU_DEP_3)
	v_cmpx_ne_u32_e64 v78, v79
	s_xor_b32 s13, exec_lo, s13
; %bb.808:                              ;   in Loop: Header=BB4_144 Depth=3
	s_delay_alu instid0(VALU_DEP_2) | instskip(SKIP_2) | instid1(VALU_DEP_2)
	v_cmp_lt_u32_e32 vcc_lo, 0xffffff, v77
	v_sub_nc_u32_e32 v76, v78, v79
	v_cndmask_b32_e64 v78, 0, 1, vcc_lo
	v_add_co_ci_u32_e32 v76, vcc_lo, 0, v76, vcc_lo
	s_delay_alu instid0(VALU_DEP_2)
	v_lshrrev_b32_e32 v77, v78, v77
; %bb.809:                              ;   in Loop: Header=BB4_144 Depth=3
	s_and_not1_saveexec_b32 s13, s13
; %bb.810:                              ;   in Loop: Header=BB4_144 Depth=3
	s_delay_alu instid0(VALU_DEP_1)
	v_bfe_u32 v76, v77, 23, 1
; %bb.811:                              ;   in Loop: Header=BB4_144 Depth=3
	s_or_b32 exec_lo, exec_lo, s13
	v_lshrrev_b32_e32 v77, 21, v77
	s_delay_alu instid0(VALU_DEP_2) | instskip(SKIP_4) | instid1(VALU_DEP_4)
	v_cmp_gt_i32_e32 vcc_lo, 32, v76
	v_min_i32_e32 v78, 31, v76
	v_lshrrev_b32_e32 v79, 24, v95
	v_mov_b32_e32 v92, v58
	v_dual_mov_b32 v90, v59 :: v_dual_mov_b32 v93, v62
	v_dual_cndmask_b32 v77, 3, v77 :: v_dual_lshlrev_b32 v78, 2, v78
	v_dual_mov_b32 v94, v63 :: v_dual_mov_b32 v89, v60
	v_mov_b32_e32 v91, v61
	s_delay_alu instid0(VALU_DEP_3) | instskip(SKIP_2) | instid1(VALU_DEP_3)
	v_or_b32_e32 v76, v76, v77
	v_and_b32_e32 v88, 3, v77
	v_and_b32_e32 v78, 0xfc, v78
	v_cmp_ne_u32_e32 vcc_lo, 0, v76
	v_and_b32_e32 v79, 0x80, v79
	s_delay_alu instid0(VALU_DEP_1) | instskip(SKIP_2) | instid1(VALU_DEP_3)
	v_or3_b32 v77, v78, v79, v88
	v_mov_b32_e32 v78, v68
	v_dual_mov_b32 v88, v47 :: v_dual_mov_b32 v79, v57
	v_dual_cndmask_b32 v76, 0, v77 :: v_dual_mov_b32 v77, v56
.LBB4_812:                              ;   in Loop: Header=BB4_144 Depth=3
	s_or_b32 exec_lo, exec_lo, s36
.LBB4_813:                              ;   in Loop: Header=BB4_144 Depth=3
	s_delay_alu instid0(SALU_CYCLE_1) | instskip(SKIP_3) | instid1(VALU_DEP_1)
	s_or_b32 exec_lo, exec_lo, s35
	v_lshrrev_b32_e32 v95, 24, v9
	s_mov_b32 s13, 0
	s_mov_b32 s36, exec_lo
                                        ; implicit-def: $sgpr35
	v_cmpx_lt_i16_e32 0x7f, v95
	s_xor_b32 s36, exec_lo, s36
	s_cbranch_execnz .LBB4_1139
; %bb.814:                              ;   in Loop: Header=BB4_144 Depth=3
	s_or_saveexec_b32 s36, s36
	v_mov_b32_e32 v104, s35
	s_xor_b32 exec_lo, exec_lo, s36
	s_cbranch_execnz .LBB4_1142
.LBB4_815:                              ;   in Loop: Header=BB4_144 Depth=3
	s_or_b32 exec_lo, exec_lo, s36
	s_and_saveexec_b32 s35, s13
	s_cbranch_execz .LBB4_817
.LBB4_816:                              ;   in Loop: Header=BB4_144 Depth=3
	v_bfe_u32 v104, v9, 24, 2
	s_delay_alu instid0(VALU_DEP_1) | instskip(NEXT) | instid1(VALU_DEP_1)
	v_clz_i32_u32_e32 v105, v104
	v_min_u32_e32 v105, 32, v105
	s_delay_alu instid0(VALU_DEP_1) | instskip(SKIP_1) | instid1(VALU_DEP_2)
	v_subrev_nc_u32_e32 v106, 29, v105
	v_sub_nc_u32_e32 v105, 30, v105
	v_lshlrev_b32_e32 v95, v106, v95
	v_bfe_u32 v106, v9, 26, 5
	v_and_b32_e32 v9, 0x80000000, v9
	s_delay_alu instid0(VALU_DEP_3) | instskip(NEXT) | instid1(VALU_DEP_3)
	v_and_b32_e32 v95, 3, v95
	v_cmp_eq_u32_e32 vcc_lo, 0, v106
	v_cndmask_b32_e32 v105, v106, v105, vcc_lo
	s_delay_alu instid0(VALU_DEP_3) | instskip(NEXT) | instid1(VALU_DEP_2)
	v_cndmask_b32_e32 v95, v104, v95, vcc_lo
	v_lshl_add_u32 v104, v105, 23, 0x37800000
	s_delay_alu instid0(VALU_DEP_2) | instskip(NEXT) | instid1(VALU_DEP_1)
	v_lshlrev_b32_e32 v95, 21, v95
	v_or3_b32 v104, v9, v104, v95
.LBB4_817:                              ;   in Loop: Header=BB4_144 Depth=3
	s_or_b32 exec_lo, exec_lo, s35
	s_delay_alu instid0(VALU_DEP_1) | instskip(NEXT) | instid1(VALU_DEP_1)
	v_mul_f32_e32 v95, s34, v104
	v_and_b32_e32 v9, 0x7f800000, v95
	s_delay_alu instid0(VALU_DEP_1)
	v_cmp_ne_u32_e32 vcc_lo, 0x7f800000, v9
	v_mov_b32_e32 v9, 0x8000
	s_and_saveexec_b32 s35, vcc_lo
	s_cbranch_execz .LBB4_825
; %bb.818:                              ;   in Loop: Header=BB4_144 Depth=3
	v_mov_b32_e32 v9, 0
	s_mov_b32 s36, exec_lo
	v_cmpx_ne_u32_e32 0, v95
	s_cbranch_execz .LBB4_824
; %bb.819:                              ;   in Loop: Header=BB4_144 Depth=3
	v_bfe_u32 v9, v95, 23, 8
	s_delay_alu instid0(VALU_DEP_1) | instskip(SKIP_1) | instid1(VALU_DEP_2)
	v_sub_nc_u32_e32 v78, 0x70, v9
	v_cmp_gt_u32_e32 vcc_lo, 0x71, v9
	v_dual_cndmask_b32 v78, 0, v78 :: v_dual_and_b32 v77, 0x7fffff, v95
	s_delay_alu instid0(VALU_DEP_1) | instskip(SKIP_2) | instid1(VALU_DEP_4)
	v_or_b32_e32 v79, 0x800000, v77
	v_cmp_eq_u32_e32 vcc_lo, 0, v9
	v_add_nc_u32_e32 v9, 0xffffff91, v9
	v_cndmask_b32_e64 v78, v78, 0x6f, vcc_lo
	s_delay_alu instid0(VALU_DEP_4) | instskip(NEXT) | instid1(VALU_DEP_3)
	v_cndmask_b32_e32 v77, v79, v77, vcc_lo
	v_cndmask_b32_e64 v9, v9, 0xffffff92, vcc_lo
	s_delay_alu instid0(VALU_DEP_3) | instskip(NEXT) | instid1(VALU_DEP_3)
	v_lshl_add_u32 v79, 0x200000, v78, -1
	v_lshrrev_b32_e32 v88, v78, v77
	v_lshlrev_b32_e64 v90, v78, 0x100000
	s_delay_alu instid0(VALU_DEP_4) | instskip(NEXT) | instid1(VALU_DEP_4)
	v_add_nc_u32_e32 v78, v78, v9
	v_and_b32_e32 v77, v79, v77
	s_delay_alu instid0(VALU_DEP_4) | instskip(NEXT) | instid1(VALU_DEP_2)
	v_bfe_u32 v89, v88, 21, 1
	v_cmp_eq_u32_e64 s13, v77, v90
	s_delay_alu instid0(VALU_DEP_2) | instskip(NEXT) | instid1(VALU_DEP_1)
	v_add_nc_u32_e32 v79, -1, v89
	v_cndmask_b32_e64 v77, 0, v79, s13
	v_lshrrev_b32_e32 v79, 23, v88
	s_mov_b32 s13, exec_lo
	s_delay_alu instid0(VALU_DEP_2) | instskip(NEXT) | instid1(VALU_DEP_2)
	v_add_nc_u32_e32 v77, v77, v88
	v_xor_b32_e32 v79, 1, v79
	s_delay_alu instid0(VALU_DEP_2) | instskip(NEXT) | instid1(VALU_DEP_1)
	v_and_b32_e32 v9, 0x1fffff, v77
	v_add_nc_u32_e32 v77, v9, v88
                                        ; implicit-def: $vgpr9
	s_delay_alu instid0(VALU_DEP_3)
	v_cmpx_ne_u32_e64 v78, v79
	s_xor_b32 s13, exec_lo, s13
; %bb.820:                              ;   in Loop: Header=BB4_144 Depth=3
	s_delay_alu instid0(VALU_DEP_2) | instskip(SKIP_2) | instid1(VALU_DEP_2)
	v_cmp_lt_u32_e32 vcc_lo, 0xffffff, v77
	v_sub_nc_u32_e32 v9, v78, v79
	v_cndmask_b32_e64 v78, 0, 1, vcc_lo
	v_add_co_ci_u32_e32 v9, vcc_lo, 0, v9, vcc_lo
	s_delay_alu instid0(VALU_DEP_2)
	v_lshrrev_b32_e32 v77, v78, v77
; %bb.821:                              ;   in Loop: Header=BB4_144 Depth=3
	s_and_not1_saveexec_b32 s13, s13
; %bb.822:                              ;   in Loop: Header=BB4_144 Depth=3
	s_delay_alu instid0(VALU_DEP_1)
	v_bfe_u32 v9, v77, 23, 1
; %bb.823:                              ;   in Loop: Header=BB4_144 Depth=3
	s_or_b32 exec_lo, exec_lo, s13
	v_lshrrev_b32_e32 v77, 21, v77
	s_delay_alu instid0(VALU_DEP_2) | instskip(SKIP_3) | instid1(VALU_DEP_3)
	v_cmp_gt_i32_e32 vcc_lo, 32, v9
	v_min_i32_e32 v78, 31, v9
	v_lshrrev_b32_e32 v79, 24, v95
	v_dual_mov_b32 v90, v59 :: v_dual_mov_b32 v89, v60
	v_dual_cndmask_b32 v77, 3, v77 :: v_dual_lshlrev_b32 v78, 2, v78
	s_delay_alu instid0(VALU_DEP_3) | instskip(SKIP_1) | instid1(VALU_DEP_3)
	v_and_b32_e32 v79, 0x80, v79
	v_dual_mov_b32 v91, v61 :: v_dual_mov_b32 v94, v63
	v_or_b32_e32 v9, v9, v77
	v_dual_mov_b32 v93, v62 :: v_dual_and_b32 v88, 3, v77
	v_mov_b32_e32 v92, v58
	s_delay_alu instid0(VALU_DEP_3) | instskip(SKIP_1) | instid1(VALU_DEP_1)
	v_cmp_ne_u32_e32 vcc_lo, 0, v9
	v_and_b32_e32 v78, 0xfc, v78
	v_or3_b32 v78, v79, v78, v88
	v_dual_mov_b32 v79, v57 :: v_dual_mov_b32 v88, v47
	s_delay_alu instid0(VALU_DEP_2) | instskip(NEXT) | instid1(VALU_DEP_1)
	v_dual_mov_b32 v78, v68 :: v_dual_lshlrev_b32 v77, 8, v78
	v_cndmask_b32_e32 v9, 0, v77, vcc_lo
	v_mov_b32_e32 v77, v56
.LBB4_824:                              ;   in Loop: Header=BB4_144 Depth=3
	s_or_b32 exec_lo, exec_lo, s36
.LBB4_825:                              ;   in Loop: Header=BB4_144 Depth=3
	s_delay_alu instid0(SALU_CYCLE_1) | instskip(SKIP_3) | instid1(VALU_DEP_1)
	s_or_b32 exec_lo, exec_lo, s35
	v_and_b32_e32 v104, 0xff, v10
	s_mov_b32 s13, 0
	s_mov_b32 s36, exec_lo
                                        ; implicit-def: $sgpr35
	v_cmpx_lt_i16_e32 0x7f, v104
	s_xor_b32 s36, exec_lo, s36
	s_cbranch_execnz .LBB4_1143
; %bb.826:                              ;   in Loop: Header=BB4_144 Depth=3
	s_or_saveexec_b32 s36, s36
	v_mov_b32_e32 v95, s35
	s_xor_b32 exec_lo, exec_lo, s36
	s_cbranch_execnz .LBB4_1146
.LBB4_827:                              ;   in Loop: Header=BB4_144 Depth=3
	s_or_b32 exec_lo, exec_lo, s36
	s_and_saveexec_b32 s35, s13
	s_cbranch_execz .LBB4_829
.LBB4_828:                              ;   in Loop: Header=BB4_144 Depth=3
	v_bfe_u32 v106, v10, 2, 5
	v_lshlrev_b32_e32 v107, 24, v10
	s_delay_alu instid0(VALU_DEP_2) | instskip(SKIP_1) | instid1(VALU_DEP_1)
	v_cmp_eq_u32_e32 vcc_lo, 0, v106
	v_and_b32_e32 v95, 3, v10
	v_clz_i32_u32_e32 v104, v95
	s_delay_alu instid0(VALU_DEP_1) | instskip(NEXT) | instid1(VALU_DEP_1)
	v_min_u32_e32 v104, 32, v104
	v_subrev_nc_u32_e32 v105, 29, v104
	v_sub_nc_u32_e32 v104, 30, v104
	s_delay_alu instid0(VALU_DEP_1) | instskip(NEXT) | instid1(VALU_DEP_1)
	v_dual_cndmask_b32 v104, v106, v104 :: v_dual_lshlrev_b32 v105, v105, v10
	v_and_b32_e32 v105, 3, v105
	s_delay_alu instid0(VALU_DEP_2) | instskip(NEXT) | instid1(VALU_DEP_2)
	v_lshl_add_u32 v104, v104, 23, 0x37800000
	v_cndmask_b32_e32 v95, v95, v105, vcc_lo
	v_and_b32_e32 v105, 0x80000000, v107
	s_delay_alu instid0(VALU_DEP_2) | instskip(NEXT) | instid1(VALU_DEP_1)
	v_lshlrev_b32_e32 v95, 21, v95
	v_or3_b32 v95, v105, v104, v95
.LBB4_829:                              ;   in Loop: Header=BB4_144 Depth=3
	s_or_b32 exec_lo, exec_lo, s35
	s_delay_alu instid0(VALU_DEP_1) | instskip(NEXT) | instid1(VALU_DEP_1)
	v_mul_f32_e32 v104, s34, v95
	v_and_b32_e32 v95, 0x7f800000, v104
	s_delay_alu instid0(VALU_DEP_1)
	v_cmp_ne_u32_e32 vcc_lo, 0x7f800000, v95
	v_mov_b32_e32 v95, 0x80
	s_and_saveexec_b32 s35, vcc_lo
	s_cbranch_execz .LBB4_837
; %bb.830:                              ;   in Loop: Header=BB4_144 Depth=3
	v_mov_b32_e32 v95, 0
	s_mov_b32 s36, exec_lo
	v_cmpx_ne_u32_e32 0, v104
	s_cbranch_execz .LBB4_836
; %bb.831:                              ;   in Loop: Header=BB4_144 Depth=3
	v_bfe_u32 v77, v104, 23, 8
	s_delay_alu instid0(VALU_DEP_1) | instskip(SKIP_1) | instid1(VALU_DEP_2)
	v_sub_nc_u32_e32 v79, 0x70, v77
	v_cmp_gt_u32_e32 vcc_lo, 0x71, v77
	v_dual_cndmask_b32 v79, 0, v79 :: v_dual_and_b32 v78, 0x7fffff, v104
	s_delay_alu instid0(VALU_DEP_1) | instskip(SKIP_2) | instid1(VALU_DEP_4)
	v_or_b32_e32 v88, 0x800000, v78
	v_cmp_eq_u32_e32 vcc_lo, 0, v77
	v_add_nc_u32_e32 v77, 0xffffff91, v77
	v_cndmask_b32_e64 v79, v79, 0x6f, vcc_lo
	s_delay_alu instid0(VALU_DEP_4) | instskip(NEXT) | instid1(VALU_DEP_3)
	v_cndmask_b32_e32 v78, v88, v78, vcc_lo
	v_cndmask_b32_e64 v77, v77, 0xffffff92, vcc_lo
	s_delay_alu instid0(VALU_DEP_3) | instskip(NEXT) | instid1(VALU_DEP_3)
	v_lshl_add_u32 v88, 0x200000, v79, -1
	v_lshrrev_b32_e32 v89, v79, v78
	v_lshlrev_b32_e64 v91, v79, 0x100000
	s_delay_alu instid0(VALU_DEP_4) | instskip(NEXT) | instid1(VALU_DEP_4)
	v_add_nc_u32_e32 v79, v79, v77
	v_and_b32_e32 v78, v88, v78
	s_delay_alu instid0(VALU_DEP_4) | instskip(NEXT) | instid1(VALU_DEP_2)
	v_bfe_u32 v90, v89, 21, 1
	v_cmp_eq_u32_e64 s13, v78, v91
	s_delay_alu instid0(VALU_DEP_2) | instskip(NEXT) | instid1(VALU_DEP_1)
	v_add_nc_u32_e32 v88, -1, v90
	v_cndmask_b32_e64 v78, 0, v88, s13
	v_lshrrev_b32_e32 v88, 23, v89
	s_mov_b32 s13, exec_lo
	s_delay_alu instid0(VALU_DEP_2) | instskip(NEXT) | instid1(VALU_DEP_2)
	v_add_nc_u32_e32 v78, v78, v89
	v_xor_b32_e32 v88, 1, v88
	s_delay_alu instid0(VALU_DEP_2) | instskip(NEXT) | instid1(VALU_DEP_1)
	v_and_b32_e32 v77, 0x1fffff, v78
	v_add_nc_u32_e32 v78, v77, v89
                                        ; implicit-def: $vgpr77
	s_delay_alu instid0(VALU_DEP_3)
	v_cmpx_ne_u32_e64 v79, v88
	s_xor_b32 s13, exec_lo, s13
; %bb.832:                              ;   in Loop: Header=BB4_144 Depth=3
	s_delay_alu instid0(VALU_DEP_2) | instskip(SKIP_2) | instid1(VALU_DEP_2)
	v_cmp_lt_u32_e32 vcc_lo, 0xffffff, v78
	v_sub_nc_u32_e32 v77, v79, v88
	v_cndmask_b32_e64 v79, 0, 1, vcc_lo
	v_add_co_ci_u32_e32 v77, vcc_lo, 0, v77, vcc_lo
	s_delay_alu instid0(VALU_DEP_2)
	v_lshrrev_b32_e32 v78, v79, v78
; %bb.833:                              ;   in Loop: Header=BB4_144 Depth=3
	s_and_not1_saveexec_b32 s13, s13
; %bb.834:                              ;   in Loop: Header=BB4_144 Depth=3
	s_delay_alu instid0(VALU_DEP_1)
	v_bfe_u32 v77, v78, 23, 1
; %bb.835:                              ;   in Loop: Header=BB4_144 Depth=3
	s_or_b32 exec_lo, exec_lo, s13
	v_lshrrev_b32_e32 v78, 21, v78
	s_delay_alu instid0(VALU_DEP_2) | instskip(SKIP_4) | instid1(VALU_DEP_4)
	v_cmp_gt_i32_e32 vcc_lo, 32, v77
	v_lshrrev_b32_e32 v79, 24, v104
	v_min_i32_e32 v88, 31, v77
	v_dual_mov_b32 v90, v59 :: v_dual_mov_b32 v91, v61
	v_mov_b32_e32 v94, v63
	v_dual_cndmask_b32 v78, 3, v78 :: v_dual_and_b32 v79, 0x80, v79
	v_mov_b32_e32 v93, v62
	v_mov_b32_e32 v92, v58
	s_delay_alu instid0(VALU_DEP_3) | instskip(SKIP_1) | instid1(VALU_DEP_2)
	v_or_b32_e32 v77, v77, v78
	v_and_b32_e32 v89, 3, v78
	v_cmp_ne_u32_e32 vcc_lo, 0, v77
	v_dual_mov_b32 v77, v56 :: v_dual_lshlrev_b32 v88, 2, v88
	s_delay_alu instid0(VALU_DEP_1) | instskip(SKIP_2) | instid1(VALU_DEP_3)
	v_or3_b32 v78, v88, v79, v89
	v_dual_mov_b32 v88, v47 :: v_dual_mov_b32 v79, v57
	v_mov_b32_e32 v89, v60
	v_dual_cndmask_b32 v95, 0, v78 :: v_dual_mov_b32 v78, v68
.LBB4_836:                              ;   in Loop: Header=BB4_144 Depth=3
	s_or_b32 exec_lo, exec_lo, s36
.LBB4_837:                              ;   in Loop: Header=BB4_144 Depth=3
	s_delay_alu instid0(SALU_CYCLE_1) | instskip(SKIP_3) | instid1(VALU_DEP_1)
	s_or_b32 exec_lo, exec_lo, s35
	v_lshrrev_b16 v104, 8, v10
	s_mov_b32 s13, 0
	s_mov_b32 s36, exec_lo
                                        ; implicit-def: $sgpr35
	v_cmpx_lt_i16_e32 0x7f, v104
	s_xor_b32 s36, exec_lo, s36
	s_cbranch_execnz .LBB4_1147
; %bb.838:                              ;   in Loop: Header=BB4_144 Depth=3
	s_or_saveexec_b32 s36, s36
	v_mov_b32_e32 v105, s35
	s_xor_b32 exec_lo, exec_lo, s36
	s_cbranch_execnz .LBB4_1150
.LBB4_839:                              ;   in Loop: Header=BB4_144 Depth=3
	s_or_b32 exec_lo, exec_lo, s36
	s_and_saveexec_b32 s35, s13
	s_cbranch_execz .LBB4_841
.LBB4_840:                              ;   in Loop: Header=BB4_144 Depth=3
	v_and_b32_e32 v105, 0xffff, v104
	v_lshlrev_b32_e32 v104, 24, v104
	s_delay_alu instid0(VALU_DEP_2) | instskip(NEXT) | instid1(VALU_DEP_2)
	v_and_b32_e32 v106, 3, v105
	v_and_b32_e32 v104, 0x80000000, v104
	s_delay_alu instid0(VALU_DEP_2) | instskip(NEXT) | instid1(VALU_DEP_1)
	v_clz_i32_u32_e32 v107, v106
	v_min_u32_e32 v107, 32, v107
	s_delay_alu instid0(VALU_DEP_1) | instskip(SKIP_1) | instid1(VALU_DEP_2)
	v_subrev_nc_u32_e32 v108, 29, v107
	v_sub_nc_u32_e32 v107, 30, v107
	v_lshlrev_b32_e32 v108, v108, v105
	v_bfe_u32 v105, v105, 2, 5
	s_delay_alu instid0(VALU_DEP_2) | instskip(NEXT) | instid1(VALU_DEP_2)
	v_and_b32_e32 v108, 3, v108
	v_cmp_eq_u32_e32 vcc_lo, 0, v105
	s_delay_alu instid0(VALU_DEP_2) | instskip(NEXT) | instid1(VALU_DEP_1)
	v_dual_cndmask_b32 v105, v105, v107 :: v_dual_cndmask_b32 v106, v106, v108
	v_lshl_add_u32 v105, v105, 23, 0x37800000
	s_delay_alu instid0(VALU_DEP_2) | instskip(NEXT) | instid1(VALU_DEP_1)
	v_lshlrev_b32_e32 v106, 21, v106
	v_or3_b32 v105, v104, v105, v106
.LBB4_841:                              ;   in Loop: Header=BB4_144 Depth=3
	s_or_b32 exec_lo, exec_lo, s35
	s_delay_alu instid0(VALU_DEP_1) | instskip(NEXT) | instid1(VALU_DEP_1)
	v_mul_f32_e32 v105, s34, v105
	v_and_b32_e32 v104, 0x7f800000, v105
	s_delay_alu instid0(VALU_DEP_1)
	v_cmp_ne_u32_e32 vcc_lo, 0x7f800000, v104
	v_mov_b32_e32 v104, 0x80
	s_and_saveexec_b32 s35, vcc_lo
	s_cbranch_execz .LBB4_849
; %bb.842:                              ;   in Loop: Header=BB4_144 Depth=3
	v_mov_b32_e32 v104, 0
	s_mov_b32 s36, exec_lo
	v_cmpx_ne_u32_e32 0, v105
	s_cbranch_execz .LBB4_848
; %bb.843:                              ;   in Loop: Header=BB4_144 Depth=3
	v_bfe_u32 v77, v105, 23, 8
	s_delay_alu instid0(VALU_DEP_1) | instskip(SKIP_1) | instid1(VALU_DEP_2)
	v_sub_nc_u32_e32 v79, 0x70, v77
	v_cmp_gt_u32_e32 vcc_lo, 0x71, v77
	v_dual_cndmask_b32 v79, 0, v79 :: v_dual_and_b32 v78, 0x7fffff, v105
	s_delay_alu instid0(VALU_DEP_1) | instskip(SKIP_2) | instid1(VALU_DEP_4)
	v_or_b32_e32 v88, 0x800000, v78
	v_cmp_eq_u32_e32 vcc_lo, 0, v77
	v_add_nc_u32_e32 v77, 0xffffff91, v77
	v_cndmask_b32_e64 v79, v79, 0x6f, vcc_lo
	s_delay_alu instid0(VALU_DEP_4) | instskip(NEXT) | instid1(VALU_DEP_3)
	v_cndmask_b32_e32 v78, v88, v78, vcc_lo
	v_cndmask_b32_e64 v77, v77, 0xffffff92, vcc_lo
	s_delay_alu instid0(VALU_DEP_3) | instskip(NEXT) | instid1(VALU_DEP_3)
	v_lshl_add_u32 v88, 0x200000, v79, -1
	v_lshrrev_b32_e32 v89, v79, v78
	v_lshlrev_b32_e64 v91, v79, 0x100000
	s_delay_alu instid0(VALU_DEP_4) | instskip(NEXT) | instid1(VALU_DEP_4)
	v_add_nc_u32_e32 v79, v79, v77
	v_and_b32_e32 v78, v88, v78
	s_delay_alu instid0(VALU_DEP_4) | instskip(NEXT) | instid1(VALU_DEP_2)
	v_bfe_u32 v90, v89, 21, 1
	v_cmp_eq_u32_e64 s13, v78, v91
	s_delay_alu instid0(VALU_DEP_2) | instskip(NEXT) | instid1(VALU_DEP_1)
	v_add_nc_u32_e32 v88, -1, v90
	v_cndmask_b32_e64 v78, 0, v88, s13
	v_lshrrev_b32_e32 v88, 23, v89
	s_mov_b32 s13, exec_lo
	s_delay_alu instid0(VALU_DEP_2) | instskip(NEXT) | instid1(VALU_DEP_2)
	v_add_nc_u32_e32 v78, v78, v89
	v_xor_b32_e32 v88, 1, v88
	s_delay_alu instid0(VALU_DEP_2) | instskip(NEXT) | instid1(VALU_DEP_1)
	v_and_b32_e32 v77, 0x1fffff, v78
	v_add_nc_u32_e32 v78, v77, v89
                                        ; implicit-def: $vgpr77
	s_delay_alu instid0(VALU_DEP_3)
	v_cmpx_ne_u32_e64 v79, v88
	s_xor_b32 s13, exec_lo, s13
; %bb.844:                              ;   in Loop: Header=BB4_144 Depth=3
	s_delay_alu instid0(VALU_DEP_2) | instskip(SKIP_2) | instid1(VALU_DEP_2)
	v_cmp_lt_u32_e32 vcc_lo, 0xffffff, v78
	v_sub_nc_u32_e32 v77, v79, v88
	v_cndmask_b32_e64 v79, 0, 1, vcc_lo
	v_add_co_ci_u32_e32 v77, vcc_lo, 0, v77, vcc_lo
	s_delay_alu instid0(VALU_DEP_2)
	v_lshrrev_b32_e32 v78, v79, v78
; %bb.845:                              ;   in Loop: Header=BB4_144 Depth=3
	s_and_not1_saveexec_b32 s13, s13
; %bb.846:                              ;   in Loop: Header=BB4_144 Depth=3
	s_delay_alu instid0(VALU_DEP_1)
	v_bfe_u32 v77, v78, 23, 1
; %bb.847:                              ;   in Loop: Header=BB4_144 Depth=3
	s_or_b32 exec_lo, exec_lo, s13
	v_lshrrev_b32_e32 v78, 21, v78
	s_delay_alu instid0(VALU_DEP_2) | instskip(SKIP_3) | instid1(VALU_DEP_3)
	v_cmp_gt_i32_e32 vcc_lo, 32, v77
	v_lshrrev_b32_e32 v79, 24, v105
	v_min_i32_e32 v88, 31, v77
	v_dual_mov_b32 v92, v58 :: v_dual_mov_b32 v91, v61
	v_dual_cndmask_b32 v78, 3, v78 :: v_dual_and_b32 v79, 0x80, v79
	s_delay_alu instid0(VALU_DEP_3) | instskip(SKIP_1) | instid1(VALU_DEP_3)
	v_lshlrev_b32_e32 v88, 2, v88
	v_dual_mov_b32 v90, v59 :: v_dual_mov_b32 v93, v62
	v_and_b32_e32 v89, 3, v78
	v_or_b32_e32 v77, v77, v78
	v_mov_b32_e32 v94, v63
	s_delay_alu instid0(VALU_DEP_2) | instskip(SKIP_3) | instid1(VALU_DEP_2)
	v_cmp_ne_u32_e32 vcc_lo, 0, v77
	v_mov_b32_e32 v77, v56
	v_or3_b32 v78, v88, v79, v89
	v_dual_mov_b32 v88, v47 :: v_dual_mov_b32 v89, v60
	v_dual_mov_b32 v79, v57 :: v_dual_cndmask_b32 v104, 0, v78
	v_mov_b32_e32 v78, v68
.LBB4_848:                              ;   in Loop: Header=BB4_144 Depth=3
	s_or_b32 exec_lo, exec_lo, s36
.LBB4_849:                              ;   in Loop: Header=BB4_144 Depth=3
	s_delay_alu instid0(SALU_CYCLE_1) | instskip(SKIP_3) | instid1(VALU_DEP_1)
	s_or_b32 exec_lo, exec_lo, s35
	v_lshrrev_b32_e32 v105, 16, v10
	s_mov_b32 s13, 0
	s_mov_b32 s36, exec_lo
                                        ; implicit-def: $sgpr35
	v_and_b32_e32 v107, 0xff, v105
	s_delay_alu instid0(VALU_DEP_1)
	v_cmpx_lt_i16_e32 0x7f, v107
	s_xor_b32 s36, exec_lo, s36
	s_cbranch_execnz .LBB4_1151
; %bb.850:                              ;   in Loop: Header=BB4_144 Depth=3
	s_or_saveexec_b32 s36, s36
	v_mov_b32_e32 v106, s35
	s_xor_b32 exec_lo, exec_lo, s36
	s_cbranch_execnz .LBB4_1154
.LBB4_851:                              ;   in Loop: Header=BB4_144 Depth=3
	s_or_b32 exec_lo, exec_lo, s36
	s_and_saveexec_b32 s35, s13
	s_cbranch_execz .LBB4_853
.LBB4_852:                              ;   in Loop: Header=BB4_144 Depth=3
	v_bfe_u32 v106, v10, 16, 2
	v_lshlrev_b32_e32 v109, 8, v10
	s_delay_alu instid0(VALU_DEP_2) | instskip(NEXT) | instid1(VALU_DEP_1)
	v_clz_i32_u32_e32 v107, v106
	v_min_u32_e32 v107, 32, v107
	s_delay_alu instid0(VALU_DEP_1) | instskip(SKIP_1) | instid1(VALU_DEP_2)
	v_subrev_nc_u32_e32 v108, 29, v107
	v_sub_nc_u32_e32 v107, 30, v107
	v_lshlrev_b32_e32 v105, v108, v105
	v_bfe_u32 v108, v10, 18, 5
	s_delay_alu instid0(VALU_DEP_2) | instskip(NEXT) | instid1(VALU_DEP_2)
	v_and_b32_e32 v105, 3, v105
	v_cmp_eq_u32_e32 vcc_lo, 0, v108
	v_cndmask_b32_e32 v107, v108, v107, vcc_lo
	s_delay_alu instid0(VALU_DEP_3) | instskip(SKIP_1) | instid1(VALU_DEP_3)
	v_cndmask_b32_e32 v105, v106, v105, vcc_lo
	v_and_b32_e32 v106, 0x80000000, v109
	v_lshl_add_u32 v107, v107, 23, 0x37800000
	s_delay_alu instid0(VALU_DEP_3) | instskip(NEXT) | instid1(VALU_DEP_1)
	v_lshlrev_b32_e32 v105, 21, v105
	v_or3_b32 v106, v106, v107, v105
.LBB4_853:                              ;   in Loop: Header=BB4_144 Depth=3
	s_or_b32 exec_lo, exec_lo, s35
	s_delay_alu instid0(VALU_DEP_1) | instskip(NEXT) | instid1(VALU_DEP_1)
	v_mul_f32_e32 v106, s34, v106
	v_and_b32_e32 v105, 0x7f800000, v106
	s_delay_alu instid0(VALU_DEP_1)
	v_cmp_ne_u32_e32 vcc_lo, 0x7f800000, v105
	v_mov_b32_e32 v105, 0x80
	s_and_saveexec_b32 s35, vcc_lo
	s_cbranch_execz .LBB4_861
; %bb.854:                              ;   in Loop: Header=BB4_144 Depth=3
	v_mov_b32_e32 v105, 0
	s_mov_b32 s36, exec_lo
	v_cmpx_ne_u32_e32 0, v106
	s_cbranch_execz .LBB4_860
; %bb.855:                              ;   in Loop: Header=BB4_144 Depth=3
	v_bfe_u32 v77, v106, 23, 8
	s_delay_alu instid0(VALU_DEP_1) | instskip(SKIP_1) | instid1(VALU_DEP_2)
	v_sub_nc_u32_e32 v79, 0x70, v77
	v_cmp_gt_u32_e32 vcc_lo, 0x71, v77
	v_dual_cndmask_b32 v79, 0, v79 :: v_dual_and_b32 v78, 0x7fffff, v106
	s_delay_alu instid0(VALU_DEP_1) | instskip(SKIP_2) | instid1(VALU_DEP_4)
	v_or_b32_e32 v88, 0x800000, v78
	v_cmp_eq_u32_e32 vcc_lo, 0, v77
	v_add_nc_u32_e32 v77, 0xffffff91, v77
	v_cndmask_b32_e64 v79, v79, 0x6f, vcc_lo
	s_delay_alu instid0(VALU_DEP_4) | instskip(NEXT) | instid1(VALU_DEP_3)
	v_cndmask_b32_e32 v78, v88, v78, vcc_lo
	v_cndmask_b32_e64 v77, v77, 0xffffff92, vcc_lo
	s_delay_alu instid0(VALU_DEP_3) | instskip(NEXT) | instid1(VALU_DEP_3)
	v_lshl_add_u32 v88, 0x200000, v79, -1
	v_lshrrev_b32_e32 v89, v79, v78
	v_lshlrev_b32_e64 v91, v79, 0x100000
	s_delay_alu instid0(VALU_DEP_4) | instskip(NEXT) | instid1(VALU_DEP_4)
	v_add_nc_u32_e32 v79, v79, v77
	v_and_b32_e32 v78, v88, v78
	s_delay_alu instid0(VALU_DEP_4) | instskip(NEXT) | instid1(VALU_DEP_2)
	v_bfe_u32 v90, v89, 21, 1
	v_cmp_eq_u32_e64 s13, v78, v91
	s_delay_alu instid0(VALU_DEP_2) | instskip(NEXT) | instid1(VALU_DEP_1)
	v_add_nc_u32_e32 v88, -1, v90
	v_cndmask_b32_e64 v78, 0, v88, s13
	v_lshrrev_b32_e32 v88, 23, v89
	s_mov_b32 s13, exec_lo
	s_delay_alu instid0(VALU_DEP_2) | instskip(NEXT) | instid1(VALU_DEP_2)
	v_add_nc_u32_e32 v78, v78, v89
	v_xor_b32_e32 v88, 1, v88
	s_delay_alu instid0(VALU_DEP_2) | instskip(NEXT) | instid1(VALU_DEP_1)
	v_and_b32_e32 v77, 0x1fffff, v78
	v_add_nc_u32_e32 v78, v77, v89
                                        ; implicit-def: $vgpr77
	s_delay_alu instid0(VALU_DEP_3)
	v_cmpx_ne_u32_e64 v79, v88
	s_xor_b32 s13, exec_lo, s13
; %bb.856:                              ;   in Loop: Header=BB4_144 Depth=3
	s_delay_alu instid0(VALU_DEP_2) | instskip(SKIP_2) | instid1(VALU_DEP_2)
	v_cmp_lt_u32_e32 vcc_lo, 0xffffff, v78
	v_sub_nc_u32_e32 v77, v79, v88
	v_cndmask_b32_e64 v79, 0, 1, vcc_lo
	v_add_co_ci_u32_e32 v77, vcc_lo, 0, v77, vcc_lo
	s_delay_alu instid0(VALU_DEP_2)
	v_lshrrev_b32_e32 v78, v79, v78
; %bb.857:                              ;   in Loop: Header=BB4_144 Depth=3
	s_and_not1_saveexec_b32 s13, s13
; %bb.858:                              ;   in Loop: Header=BB4_144 Depth=3
	s_delay_alu instid0(VALU_DEP_1)
	v_bfe_u32 v77, v78, 23, 1
; %bb.859:                              ;   in Loop: Header=BB4_144 Depth=3
	s_or_b32 exec_lo, exec_lo, s13
	v_lshrrev_b32_e32 v78, 21, v78
	s_delay_alu instid0(VALU_DEP_2) | instskip(SKIP_4) | instid1(VALU_DEP_4)
	v_cmp_gt_i32_e32 vcc_lo, 32, v77
	v_lshrrev_b32_e32 v79, 24, v106
	v_min_i32_e32 v88, 31, v77
	v_dual_mov_b32 v90, v59 :: v_dual_mov_b32 v91, v61
	v_mov_b32_e32 v94, v63
	v_dual_cndmask_b32 v78, 3, v78 :: v_dual_and_b32 v79, 0x80, v79
	v_mov_b32_e32 v93, v62
	v_mov_b32_e32 v92, v58
	s_delay_alu instid0(VALU_DEP_3) | instskip(SKIP_1) | instid1(VALU_DEP_2)
	v_or_b32_e32 v77, v77, v78
	v_and_b32_e32 v89, 3, v78
	v_cmp_ne_u32_e32 vcc_lo, 0, v77
	v_dual_mov_b32 v77, v56 :: v_dual_lshlrev_b32 v88, 2, v88
	s_delay_alu instid0(VALU_DEP_1) | instskip(SKIP_2) | instid1(VALU_DEP_3)
	v_or3_b32 v78, v88, v79, v89
	v_dual_mov_b32 v88, v47 :: v_dual_mov_b32 v79, v57
	v_mov_b32_e32 v89, v60
	v_dual_cndmask_b32 v105, 0, v78 :: v_dual_mov_b32 v78, v68
.LBB4_860:                              ;   in Loop: Header=BB4_144 Depth=3
	s_or_b32 exec_lo, exec_lo, s36
.LBB4_861:                              ;   in Loop: Header=BB4_144 Depth=3
	s_delay_alu instid0(SALU_CYCLE_1) | instskip(SKIP_3) | instid1(VALU_DEP_1)
	s_or_b32 exec_lo, exec_lo, s35
	v_lshrrev_b32_e32 v106, 24, v10
	s_mov_b32 s13, 0
	s_mov_b32 s36, exec_lo
                                        ; implicit-def: $sgpr35
	v_cmpx_lt_i16_e32 0x7f, v106
	s_xor_b32 s36, exec_lo, s36
	s_cbranch_execnz .LBB4_1155
; %bb.862:                              ;   in Loop: Header=BB4_144 Depth=3
	s_or_saveexec_b32 s36, s36
	v_mov_b32_e32 v107, s35
	s_xor_b32 exec_lo, exec_lo, s36
	s_cbranch_execnz .LBB4_1158
.LBB4_863:                              ;   in Loop: Header=BB4_144 Depth=3
	s_or_b32 exec_lo, exec_lo, s36
	s_and_saveexec_b32 s35, s13
	s_cbranch_execz .LBB4_865
.LBB4_864:                              ;   in Loop: Header=BB4_144 Depth=3
	v_bfe_u32 v107, v10, 24, 2
	s_delay_alu instid0(VALU_DEP_1) | instskip(NEXT) | instid1(VALU_DEP_1)
	v_clz_i32_u32_e32 v108, v107
	v_min_u32_e32 v108, 32, v108
	s_delay_alu instid0(VALU_DEP_1) | instskip(SKIP_1) | instid1(VALU_DEP_2)
	v_subrev_nc_u32_e32 v109, 29, v108
	v_sub_nc_u32_e32 v108, 30, v108
	v_lshlrev_b32_e32 v106, v109, v106
	v_bfe_u32 v109, v10, 26, 5
	v_and_b32_e32 v10, 0x80000000, v10
	s_delay_alu instid0(VALU_DEP_3) | instskip(NEXT) | instid1(VALU_DEP_3)
	v_and_b32_e32 v106, 3, v106
	v_cmp_eq_u32_e32 vcc_lo, 0, v109
	v_cndmask_b32_e32 v108, v109, v108, vcc_lo
	s_delay_alu instid0(VALU_DEP_3) | instskip(NEXT) | instid1(VALU_DEP_2)
	v_cndmask_b32_e32 v106, v107, v106, vcc_lo
	v_lshl_add_u32 v107, v108, 23, 0x37800000
	s_delay_alu instid0(VALU_DEP_2) | instskip(NEXT) | instid1(VALU_DEP_1)
	v_lshlrev_b32_e32 v106, 21, v106
	v_or3_b32 v107, v10, v107, v106
.LBB4_865:                              ;   in Loop: Header=BB4_144 Depth=3
	s_or_b32 exec_lo, exec_lo, s35
	s_delay_alu instid0(VALU_DEP_1) | instskip(NEXT) | instid1(VALU_DEP_1)
	v_mul_f32_e32 v106, s34, v107
	v_and_b32_e32 v10, 0x7f800000, v106
	s_delay_alu instid0(VALU_DEP_1)
	v_cmp_ne_u32_e32 vcc_lo, 0x7f800000, v10
	v_mov_b32_e32 v10, 0x80
	s_and_saveexec_b32 s35, vcc_lo
	s_cbranch_execz .LBB4_873
; %bb.866:                              ;   in Loop: Header=BB4_144 Depth=3
	v_mov_b32_e32 v10, 0
	s_mov_b32 s36, exec_lo
	v_cmpx_ne_u32_e32 0, v106
	s_cbranch_execz .LBB4_872
; %bb.867:                              ;   in Loop: Header=BB4_144 Depth=3
	v_bfe_u32 v10, v106, 23, 8
	v_and_b32_e32 v77, 0x7fffff, v106
	s_delay_alu instid0(VALU_DEP_2) | instskip(SKIP_1) | instid1(VALU_DEP_3)
	v_sub_nc_u32_e32 v78, 0x70, v10
	v_cmp_gt_u32_e32 vcc_lo, 0x71, v10
	v_or_b32_e32 v79, 0x800000, v77
	s_delay_alu instid0(VALU_DEP_3) | instskip(SKIP_1) | instid1(VALU_DEP_3)
	v_cndmask_b32_e32 v78, 0, v78, vcc_lo
	v_cmp_eq_u32_e32 vcc_lo, 0, v10
	v_dual_cndmask_b32 v77, v79, v77 :: v_dual_add_nc_u32 v10, 0xffffff91, v10
	s_delay_alu instid0(VALU_DEP_3) | instskip(NEXT) | instid1(VALU_DEP_2)
	v_cndmask_b32_e64 v78, v78, 0x6f, vcc_lo
	v_cndmask_b32_e64 v10, v10, 0xffffff92, vcc_lo
	s_delay_alu instid0(VALU_DEP_2) | instskip(SKIP_2) | instid1(VALU_DEP_4)
	v_lshrrev_b32_e32 v88, v78, v77
	v_lshl_add_u32 v79, 0x200000, v78, -1
	v_lshlrev_b32_e64 v90, v78, 0x100000
	v_add_nc_u32_e32 v78, v78, v10
	s_delay_alu instid0(VALU_DEP_4) | instskip(NEXT) | instid1(VALU_DEP_4)
	v_bfe_u32 v89, v88, 21, 1
	v_and_b32_e32 v77, v79, v77
	s_delay_alu instid0(VALU_DEP_2) | instskip(NEXT) | instid1(VALU_DEP_2)
	v_add_nc_u32_e32 v79, -1, v89
	v_cmp_eq_u32_e64 s13, v77, v90
	s_delay_alu instid0(VALU_DEP_1) | instskip(SKIP_2) | instid1(VALU_DEP_2)
	v_cndmask_b32_e64 v77, 0, v79, s13
	v_lshrrev_b32_e32 v79, 23, v88
	s_mov_b32 s13, exec_lo
	v_add_nc_u32_e32 v77, v77, v88
	s_delay_alu instid0(VALU_DEP_2) | instskip(NEXT) | instid1(VALU_DEP_2)
	v_xor_b32_e32 v79, 1, v79
	v_and_b32_e32 v10, 0x1fffff, v77
	s_delay_alu instid0(VALU_DEP_1) | instskip(NEXT) | instid1(VALU_DEP_3)
	v_add_nc_u32_e32 v77, v10, v88
                                        ; implicit-def: $vgpr10
	v_cmpx_ne_u32_e64 v78, v79
	s_xor_b32 s13, exec_lo, s13
; %bb.868:                              ;   in Loop: Header=BB4_144 Depth=3
	s_delay_alu instid0(VALU_DEP_2) | instskip(SKIP_2) | instid1(VALU_DEP_2)
	v_cmp_lt_u32_e32 vcc_lo, 0xffffff, v77
	v_sub_nc_u32_e32 v10, v78, v79
	v_cndmask_b32_e64 v78, 0, 1, vcc_lo
	v_add_co_ci_u32_e32 v10, vcc_lo, 0, v10, vcc_lo
	s_delay_alu instid0(VALU_DEP_2)
	v_lshrrev_b32_e32 v77, v78, v77
; %bb.869:                              ;   in Loop: Header=BB4_144 Depth=3
	s_and_not1_saveexec_b32 s13, s13
; %bb.870:                              ;   in Loop: Header=BB4_144 Depth=3
	s_delay_alu instid0(VALU_DEP_1)
	v_bfe_u32 v10, v77, 23, 1
; %bb.871:                              ;   in Loop: Header=BB4_144 Depth=3
	s_or_b32 exec_lo, exec_lo, s13
	v_lshrrev_b32_e32 v77, 21, v77
	s_delay_alu instid0(VALU_DEP_2) | instskip(SKIP_3) | instid1(VALU_DEP_3)
	v_cmp_gt_i32_e32 vcc_lo, 32, v10
	v_lshrrev_b32_e32 v78, 24, v106
	v_min_i32_e32 v79, 31, v10
	v_dual_mov_b32 v92, v58 :: v_dual_mov_b32 v91, v61
	v_dual_cndmask_b32 v77, 3, v77 :: v_dual_and_b32 v78, 0x80, v78
	v_dual_mov_b32 v90, v59 :: v_dual_mov_b32 v93, v62
	v_mov_b32_e32 v94, v63
	s_delay_alu instid0(VALU_DEP_3) | instskip(SKIP_1) | instid1(VALU_DEP_2)
	v_or_b32_e32 v10, v10, v77
	v_dual_mov_b32 v89, v60 :: v_dual_and_b32 v88, 3, v77
	v_cmp_ne_u32_e32 vcc_lo, 0, v10
	v_lshlrev_b32_e32 v79, 2, v79
	s_delay_alu instid0(VALU_DEP_1) | instskip(SKIP_2) | instid1(VALU_DEP_3)
	v_or3_b32 v77, v79, v78, v88
	v_dual_mov_b32 v78, v68 :: v_dual_mov_b32 v79, v57
	v_mov_b32_e32 v88, v47
	v_dual_cndmask_b32 v10, 0, v77 :: v_dual_mov_b32 v77, v56
.LBB4_872:                              ;   in Loop: Header=BB4_144 Depth=3
	s_or_b32 exec_lo, exec_lo, s36
.LBB4_873:                              ;   in Loop: Header=BB4_144 Depth=3
	s_delay_alu instid0(SALU_CYCLE_1) | instskip(SKIP_3) | instid1(VALU_DEP_1)
	s_or_b32 exec_lo, exec_lo, s35
	v_and_b32_e32 v107, 0xff, v11
	s_mov_b32 s13, 0
	s_mov_b32 s36, exec_lo
                                        ; implicit-def: $sgpr35
	v_cmpx_lt_i16_e32 0x7f, v107
	s_xor_b32 s36, exec_lo, s36
	s_cbranch_execnz .LBB4_1159
; %bb.874:                              ;   in Loop: Header=BB4_144 Depth=3
	s_or_saveexec_b32 s36, s36
	v_mov_b32_e32 v106, s35
	s_xor_b32 exec_lo, exec_lo, s36
	s_cbranch_execnz .LBB4_1162
.LBB4_875:                              ;   in Loop: Header=BB4_144 Depth=3
	s_or_b32 exec_lo, exec_lo, s36
	s_and_saveexec_b32 s35, s13
	s_cbranch_execz .LBB4_877
.LBB4_876:                              ;   in Loop: Header=BB4_144 Depth=3
	v_and_b32_e32 v106, 3, v11
	v_bfe_u32 v109, v11, 2, 5
	v_lshlrev_b32_e32 v110, 24, v11
	s_delay_alu instid0(VALU_DEP_3) | instskip(NEXT) | instid1(VALU_DEP_3)
	v_clz_i32_u32_e32 v107, v106
	v_cmp_eq_u32_e32 vcc_lo, 0, v109
	s_delay_alu instid0(VALU_DEP_2) | instskip(NEXT) | instid1(VALU_DEP_1)
	v_min_u32_e32 v107, 32, v107
	v_subrev_nc_u32_e32 v108, 29, v107
	v_sub_nc_u32_e32 v107, 30, v107
	s_delay_alu instid0(VALU_DEP_2) | instskip(NEXT) | instid1(VALU_DEP_1)
	v_lshlrev_b32_e32 v108, v108, v11
	v_dual_cndmask_b32 v107, v109, v107 :: v_dual_and_b32 v108, 3, v108
	s_delay_alu instid0(VALU_DEP_1) | instskip(NEXT) | instid1(VALU_DEP_2)
	v_lshl_add_u32 v107, v107, 23, 0x37800000
	v_cndmask_b32_e32 v106, v106, v108, vcc_lo
	v_and_b32_e32 v108, 0x80000000, v110
	s_delay_alu instid0(VALU_DEP_2) | instskip(NEXT) | instid1(VALU_DEP_1)
	v_lshlrev_b32_e32 v106, 21, v106
	v_or3_b32 v106, v108, v107, v106
.LBB4_877:                              ;   in Loop: Header=BB4_144 Depth=3
	s_or_b32 exec_lo, exec_lo, s35
	s_delay_alu instid0(VALU_DEP_1) | instskip(NEXT) | instid1(VALU_DEP_1)
	v_mul_f32_e32 v107, s34, v106
	v_and_b32_e32 v106, 0x7f800000, v107
	s_delay_alu instid0(VALU_DEP_1)
	v_cmp_ne_u32_e32 vcc_lo, 0x7f800000, v106
	v_mov_b32_e32 v106, 0x80
	s_and_saveexec_b32 s35, vcc_lo
	s_cbranch_execz .LBB4_885
; %bb.878:                              ;   in Loop: Header=BB4_144 Depth=3
	v_mov_b32_e32 v106, 0
	s_mov_b32 s36, exec_lo
	v_cmpx_ne_u32_e32 0, v107
	s_cbranch_execz .LBB4_884
; %bb.879:                              ;   in Loop: Header=BB4_144 Depth=3
	v_bfe_u32 v77, v107, 23, 8
	v_and_b32_e32 v78, 0x7fffff, v107
	s_delay_alu instid0(VALU_DEP_2) | instskip(SKIP_1) | instid1(VALU_DEP_3)
	v_sub_nc_u32_e32 v79, 0x70, v77
	v_cmp_gt_u32_e32 vcc_lo, 0x71, v77
	v_or_b32_e32 v88, 0x800000, v78
	s_delay_alu instid0(VALU_DEP_3) | instskip(SKIP_1) | instid1(VALU_DEP_3)
	v_cndmask_b32_e32 v79, 0, v79, vcc_lo
	v_cmp_eq_u32_e32 vcc_lo, 0, v77
	v_dual_cndmask_b32 v78, v88, v78 :: v_dual_add_nc_u32 v77, 0xffffff91, v77
	s_delay_alu instid0(VALU_DEP_3) | instskip(NEXT) | instid1(VALU_DEP_2)
	v_cndmask_b32_e64 v79, v79, 0x6f, vcc_lo
	v_cndmask_b32_e64 v77, v77, 0xffffff92, vcc_lo
	s_delay_alu instid0(VALU_DEP_2) | instskip(SKIP_2) | instid1(VALU_DEP_4)
	v_lshrrev_b32_e32 v89, v79, v78
	v_lshl_add_u32 v88, 0x200000, v79, -1
	v_lshlrev_b32_e64 v91, v79, 0x100000
	v_add_nc_u32_e32 v79, v79, v77
	s_delay_alu instid0(VALU_DEP_4) | instskip(NEXT) | instid1(VALU_DEP_4)
	v_bfe_u32 v90, v89, 21, 1
	v_and_b32_e32 v78, v88, v78
	s_delay_alu instid0(VALU_DEP_2) | instskip(NEXT) | instid1(VALU_DEP_2)
	v_add_nc_u32_e32 v88, -1, v90
	v_cmp_eq_u32_e64 s13, v78, v91
	s_delay_alu instid0(VALU_DEP_1) | instskip(SKIP_2) | instid1(VALU_DEP_2)
	v_cndmask_b32_e64 v78, 0, v88, s13
	v_lshrrev_b32_e32 v88, 23, v89
	s_mov_b32 s13, exec_lo
	v_add_nc_u32_e32 v78, v78, v89
	s_delay_alu instid0(VALU_DEP_2) | instskip(NEXT) | instid1(VALU_DEP_2)
	v_xor_b32_e32 v88, 1, v88
	v_and_b32_e32 v77, 0x1fffff, v78
	s_delay_alu instid0(VALU_DEP_1) | instskip(NEXT) | instid1(VALU_DEP_3)
	v_add_nc_u32_e32 v78, v77, v89
                                        ; implicit-def: $vgpr77
	v_cmpx_ne_u32_e64 v79, v88
	s_xor_b32 s13, exec_lo, s13
; %bb.880:                              ;   in Loop: Header=BB4_144 Depth=3
	s_delay_alu instid0(VALU_DEP_2) | instskip(SKIP_2) | instid1(VALU_DEP_2)
	v_cmp_lt_u32_e32 vcc_lo, 0xffffff, v78
	v_sub_nc_u32_e32 v77, v79, v88
	v_cndmask_b32_e64 v79, 0, 1, vcc_lo
	v_add_co_ci_u32_e32 v77, vcc_lo, 0, v77, vcc_lo
	s_delay_alu instid0(VALU_DEP_2)
	v_lshrrev_b32_e32 v78, v79, v78
; %bb.881:                              ;   in Loop: Header=BB4_144 Depth=3
	s_and_not1_saveexec_b32 s13, s13
; %bb.882:                              ;   in Loop: Header=BB4_144 Depth=3
	s_delay_alu instid0(VALU_DEP_1)
	v_bfe_u32 v77, v78, 23, 1
; %bb.883:                              ;   in Loop: Header=BB4_144 Depth=3
	s_or_b32 exec_lo, exec_lo, s13
	v_lshrrev_b32_e32 v78, 21, v78
	s_delay_alu instid0(VALU_DEP_2) | instskip(SKIP_4) | instid1(VALU_DEP_4)
	v_cmp_gt_i32_e32 vcc_lo, 32, v77
	v_min_i32_e32 v79, 31, v77
	v_lshrrev_b32_e32 v88, 24, v107
	v_mov_b32_e32 v92, v58
	v_dual_mov_b32 v90, v59 :: v_dual_mov_b32 v91, v61
	v_dual_cndmask_b32 v78, 3, v78 :: v_dual_lshlrev_b32 v79, 2, v79
	s_delay_alu instid0(VALU_DEP_4) | instskip(SKIP_1) | instid1(VALU_DEP_3)
	v_dual_mov_b32 v93, v62 :: v_dual_and_b32 v88, 0x80, v88
	v_mov_b32_e32 v94, v63
	v_or_b32_e32 v77, v77, v78
	v_and_b32_e32 v89, 3, v78
	s_delay_alu instid0(VALU_DEP_2) | instskip(SKIP_2) | instid1(VALU_DEP_2)
	v_cmp_ne_u32_e32 vcc_lo, 0, v77
	v_and_b32_e32 v79, 0xfc, v79
	v_mov_b32_e32 v77, v56
	v_or3_b32 v78, v79, v88, v89
	v_dual_mov_b32 v88, v47 :: v_dual_mov_b32 v79, v57
	s_delay_alu instid0(VALU_DEP_2)
	v_dual_mov_b32 v89, v60 :: v_dual_cndmask_b32 v106, 0, v78
	v_mov_b32_e32 v78, v68
.LBB4_884:                              ;   in Loop: Header=BB4_144 Depth=3
	s_or_b32 exec_lo, exec_lo, s36
.LBB4_885:                              ;   in Loop: Header=BB4_144 Depth=3
	s_delay_alu instid0(SALU_CYCLE_1) | instskip(SKIP_3) | instid1(VALU_DEP_1)
	s_or_b32 exec_lo, exec_lo, s35
	v_lshrrev_b16 v107, 8, v11
	s_mov_b32 s13, 0
	s_mov_b32 s36, exec_lo
                                        ; implicit-def: $sgpr35
	v_cmpx_lt_i16_e32 0x7f, v107
	s_xor_b32 s36, exec_lo, s36
	s_cbranch_execnz .LBB4_1163
; %bb.886:                              ;   in Loop: Header=BB4_144 Depth=3
	s_or_saveexec_b32 s36, s36
	v_mov_b32_e32 v108, s35
	s_xor_b32 exec_lo, exec_lo, s36
	s_cbranch_execnz .LBB4_1166
.LBB4_887:                              ;   in Loop: Header=BB4_144 Depth=3
	s_or_b32 exec_lo, exec_lo, s36
	s_and_saveexec_b32 s35, s13
	s_cbranch_execz .LBB4_889
.LBB4_888:                              ;   in Loop: Header=BB4_144 Depth=3
	v_and_b32_e32 v108, 0xffff, v107
	v_lshlrev_b32_e32 v107, 24, v107
	s_delay_alu instid0(VALU_DEP_2) | instskip(NEXT) | instid1(VALU_DEP_2)
	v_and_b32_e32 v109, 3, v108
	v_and_b32_e32 v107, 0x80000000, v107
	s_delay_alu instid0(VALU_DEP_2) | instskip(NEXT) | instid1(VALU_DEP_1)
	v_clz_i32_u32_e32 v110, v109
	v_min_u32_e32 v110, 32, v110
	s_delay_alu instid0(VALU_DEP_1) | instskip(SKIP_1) | instid1(VALU_DEP_2)
	v_subrev_nc_u32_e32 v111, 29, v110
	v_sub_nc_u32_e32 v110, 30, v110
	v_lshlrev_b32_e32 v111, v111, v108
	v_bfe_u32 v108, v108, 2, 5
	s_delay_alu instid0(VALU_DEP_2) | instskip(NEXT) | instid1(VALU_DEP_2)
	v_and_b32_e32 v111, 3, v111
	v_cmp_eq_u32_e32 vcc_lo, 0, v108
	s_delay_alu instid0(VALU_DEP_2) | instskip(NEXT) | instid1(VALU_DEP_1)
	v_dual_cndmask_b32 v108, v108, v110 :: v_dual_cndmask_b32 v109, v109, v111
	v_lshl_add_u32 v108, v108, 23, 0x37800000
	s_delay_alu instid0(VALU_DEP_2) | instskip(NEXT) | instid1(VALU_DEP_1)
	v_lshlrev_b32_e32 v109, 21, v109
	v_or3_b32 v108, v107, v108, v109
.LBB4_889:                              ;   in Loop: Header=BB4_144 Depth=3
	s_or_b32 exec_lo, exec_lo, s35
	s_delay_alu instid0(VALU_DEP_1) | instskip(NEXT) | instid1(VALU_DEP_1)
	v_mul_f32_e32 v108, s34, v108
	v_and_b32_e32 v107, 0x7f800000, v108
	s_delay_alu instid0(VALU_DEP_1)
	v_cmp_ne_u32_e32 vcc_lo, 0x7f800000, v107
	v_mov_b32_e32 v107, 0x8000
	s_and_saveexec_b32 s35, vcc_lo
	s_cbranch_execz .LBB4_897
; %bb.890:                              ;   in Loop: Header=BB4_144 Depth=3
	v_mov_b32_e32 v107, 0
	s_mov_b32 s36, exec_lo
	v_cmpx_ne_u32_e32 0, v108
	s_cbranch_execz .LBB4_896
; %bb.891:                              ;   in Loop: Header=BB4_144 Depth=3
	v_bfe_u32 v77, v108, 23, 8
	s_delay_alu instid0(VALU_DEP_1) | instskip(SKIP_1) | instid1(VALU_DEP_2)
	v_sub_nc_u32_e32 v79, 0x70, v77
	v_cmp_gt_u32_e32 vcc_lo, 0x71, v77
	v_dual_cndmask_b32 v79, 0, v79 :: v_dual_and_b32 v78, 0x7fffff, v108
	s_delay_alu instid0(VALU_DEP_1) | instskip(SKIP_2) | instid1(VALU_DEP_4)
	v_or_b32_e32 v88, 0x800000, v78
	v_cmp_eq_u32_e32 vcc_lo, 0, v77
	v_add_nc_u32_e32 v77, 0xffffff91, v77
	v_cndmask_b32_e64 v79, v79, 0x6f, vcc_lo
	s_delay_alu instid0(VALU_DEP_4) | instskip(NEXT) | instid1(VALU_DEP_3)
	v_cndmask_b32_e32 v78, v88, v78, vcc_lo
	v_cndmask_b32_e64 v77, v77, 0xffffff92, vcc_lo
	s_delay_alu instid0(VALU_DEP_3) | instskip(NEXT) | instid1(VALU_DEP_3)
	v_lshl_add_u32 v88, 0x200000, v79, -1
	v_lshrrev_b32_e32 v89, v79, v78
	v_lshlrev_b32_e64 v91, v79, 0x100000
	s_delay_alu instid0(VALU_DEP_4) | instskip(NEXT) | instid1(VALU_DEP_4)
	v_add_nc_u32_e32 v79, v79, v77
	v_and_b32_e32 v78, v88, v78
	s_delay_alu instid0(VALU_DEP_4) | instskip(NEXT) | instid1(VALU_DEP_2)
	v_bfe_u32 v90, v89, 21, 1
	v_cmp_eq_u32_e64 s13, v78, v91
	s_delay_alu instid0(VALU_DEP_2) | instskip(NEXT) | instid1(VALU_DEP_1)
	v_add_nc_u32_e32 v88, -1, v90
	v_cndmask_b32_e64 v78, 0, v88, s13
	v_lshrrev_b32_e32 v88, 23, v89
	s_mov_b32 s13, exec_lo
	s_delay_alu instid0(VALU_DEP_2) | instskip(NEXT) | instid1(VALU_DEP_2)
	v_add_nc_u32_e32 v78, v78, v89
	v_xor_b32_e32 v88, 1, v88
	s_delay_alu instid0(VALU_DEP_2) | instskip(NEXT) | instid1(VALU_DEP_1)
	v_and_b32_e32 v77, 0x1fffff, v78
	v_add_nc_u32_e32 v78, v77, v89
                                        ; implicit-def: $vgpr77
	s_delay_alu instid0(VALU_DEP_3)
	v_cmpx_ne_u32_e64 v79, v88
	s_xor_b32 s13, exec_lo, s13
; %bb.892:                              ;   in Loop: Header=BB4_144 Depth=3
	s_delay_alu instid0(VALU_DEP_2) | instskip(SKIP_2) | instid1(VALU_DEP_2)
	v_cmp_lt_u32_e32 vcc_lo, 0xffffff, v78
	v_sub_nc_u32_e32 v77, v79, v88
	v_cndmask_b32_e64 v79, 0, 1, vcc_lo
	v_add_co_ci_u32_e32 v77, vcc_lo, 0, v77, vcc_lo
	s_delay_alu instid0(VALU_DEP_2)
	v_lshrrev_b32_e32 v78, v79, v78
; %bb.893:                              ;   in Loop: Header=BB4_144 Depth=3
	s_and_not1_saveexec_b32 s13, s13
; %bb.894:                              ;   in Loop: Header=BB4_144 Depth=3
	s_delay_alu instid0(VALU_DEP_1)
	v_bfe_u32 v77, v78, 23, 1
; %bb.895:                              ;   in Loop: Header=BB4_144 Depth=3
	s_or_b32 exec_lo, exec_lo, s13
	v_lshrrev_b32_e32 v78, 21, v78
	s_delay_alu instid0(VALU_DEP_2) | instskip(SKIP_4) | instid1(VALU_DEP_4)
	v_cmp_gt_i32_e32 vcc_lo, 32, v77
	v_min_i32_e32 v79, 31, v77
	v_lshrrev_b32_e32 v88, 24, v108
	v_dual_mov_b32 v90, v59 :: v_dual_mov_b32 v91, v61
	v_mov_b32_e32 v94, v63
	v_dual_cndmask_b32 v78, 3, v78 :: v_dual_lshlrev_b32 v79, 2, v79
	v_mov_b32_e32 v93, v62
	v_mov_b32_e32 v92, v58
	s_delay_alu instid0(VALU_DEP_3) | instskip(SKIP_2) | instid1(VALU_DEP_3)
	v_or_b32_e32 v77, v77, v78
	v_and_b32_e32 v89, 3, v78
	v_and_b32_e32 v79, 0xfc, v79
	v_cmp_ne_u32_e32 vcc_lo, 0, v77
	v_dual_mov_b32 v77, v56 :: v_dual_and_b32 v88, 0x80, v88
	s_delay_alu instid0(VALU_DEP_1) | instskip(SKIP_1) | instid1(VALU_DEP_2)
	v_or3_b32 v79, v88, v79, v89
	v_dual_mov_b32 v88, v47 :: v_dual_mov_b32 v89, v60
	v_dual_mov_b32 v79, v57 :: v_dual_lshlrev_b32 v78, 8, v79
	s_delay_alu instid0(VALU_DEP_1)
	v_dual_cndmask_b32 v107, 0, v78 :: v_dual_mov_b32 v78, v68
.LBB4_896:                              ;   in Loop: Header=BB4_144 Depth=3
	s_or_b32 exec_lo, exec_lo, s36
.LBB4_897:                              ;   in Loop: Header=BB4_144 Depth=3
	s_delay_alu instid0(SALU_CYCLE_1) | instskip(SKIP_3) | instid1(VALU_DEP_1)
	s_or_b32 exec_lo, exec_lo, s35
	v_lshrrev_b32_e32 v108, 16, v11
	s_mov_b32 s13, 0
	s_mov_b32 s36, exec_lo
                                        ; implicit-def: $sgpr35
	v_and_b32_e32 v110, 0xff, v108
	s_delay_alu instid0(VALU_DEP_1)
	v_cmpx_lt_i16_e32 0x7f, v110
	s_xor_b32 s36, exec_lo, s36
	s_cbranch_execnz .LBB4_1167
; %bb.898:                              ;   in Loop: Header=BB4_144 Depth=3
	s_or_saveexec_b32 s36, s36
	v_mov_b32_e32 v109, s35
	s_xor_b32 exec_lo, exec_lo, s36
	s_cbranch_execnz .LBB4_1170
.LBB4_899:                              ;   in Loop: Header=BB4_144 Depth=3
	s_or_b32 exec_lo, exec_lo, s36
	s_and_saveexec_b32 s35, s13
	s_cbranch_execz .LBB4_901
.LBB4_900:                              ;   in Loop: Header=BB4_144 Depth=3
	v_bfe_u32 v109, v11, 16, 2
	v_lshlrev_b32_e32 v120, 8, v11
	s_delay_alu instid0(VALU_DEP_2) | instskip(NEXT) | instid1(VALU_DEP_1)
	v_clz_i32_u32_e32 v110, v109
	v_min_u32_e32 v110, 32, v110
	s_delay_alu instid0(VALU_DEP_1) | instskip(SKIP_1) | instid1(VALU_DEP_2)
	v_subrev_nc_u32_e32 v111, 29, v110
	v_sub_nc_u32_e32 v110, 30, v110
	v_lshlrev_b32_e32 v108, v111, v108
	v_bfe_u32 v111, v11, 18, 5
	s_delay_alu instid0(VALU_DEP_2) | instskip(NEXT) | instid1(VALU_DEP_2)
	v_and_b32_e32 v108, 3, v108
	v_cmp_eq_u32_e32 vcc_lo, 0, v111
	v_cndmask_b32_e32 v110, v111, v110, vcc_lo
	s_delay_alu instid0(VALU_DEP_3) | instskip(SKIP_1) | instid1(VALU_DEP_3)
	v_cndmask_b32_e32 v108, v109, v108, vcc_lo
	v_and_b32_e32 v109, 0x80000000, v120
	v_lshl_add_u32 v110, v110, 23, 0x37800000
	s_delay_alu instid0(VALU_DEP_3) | instskip(NEXT) | instid1(VALU_DEP_1)
	v_lshlrev_b32_e32 v108, 21, v108
	v_or3_b32 v109, v109, v110, v108
.LBB4_901:                              ;   in Loop: Header=BB4_144 Depth=3
	s_or_b32 exec_lo, exec_lo, s35
	s_delay_alu instid0(VALU_DEP_1) | instskip(NEXT) | instid1(VALU_DEP_1)
	v_mul_f32_e32 v109, s34, v109
	v_and_b32_e32 v108, 0x7f800000, v109
	s_delay_alu instid0(VALU_DEP_1)
	v_cmp_ne_u32_e32 vcc_lo, 0x7f800000, v108
	v_mov_b32_e32 v108, 0x80
	s_and_saveexec_b32 s35, vcc_lo
	s_cbranch_execz .LBB4_909
; %bb.902:                              ;   in Loop: Header=BB4_144 Depth=3
	v_mov_b32_e32 v108, 0
	s_mov_b32 s36, exec_lo
	v_cmpx_ne_u32_e32 0, v109
	s_cbranch_execz .LBB4_908
; %bb.903:                              ;   in Loop: Header=BB4_144 Depth=3
	v_bfe_u32 v77, v109, 23, 8
	s_delay_alu instid0(VALU_DEP_1) | instskip(SKIP_1) | instid1(VALU_DEP_2)
	v_sub_nc_u32_e32 v79, 0x70, v77
	v_cmp_gt_u32_e32 vcc_lo, 0x71, v77
	v_dual_cndmask_b32 v79, 0, v79 :: v_dual_and_b32 v78, 0x7fffff, v109
	s_delay_alu instid0(VALU_DEP_1) | instskip(SKIP_2) | instid1(VALU_DEP_4)
	v_or_b32_e32 v88, 0x800000, v78
	v_cmp_eq_u32_e32 vcc_lo, 0, v77
	v_add_nc_u32_e32 v77, 0xffffff91, v77
	v_cndmask_b32_e64 v79, v79, 0x6f, vcc_lo
	s_delay_alu instid0(VALU_DEP_4) | instskip(NEXT) | instid1(VALU_DEP_3)
	v_cndmask_b32_e32 v78, v88, v78, vcc_lo
	v_cndmask_b32_e64 v77, v77, 0xffffff92, vcc_lo
	s_delay_alu instid0(VALU_DEP_3) | instskip(NEXT) | instid1(VALU_DEP_3)
	v_lshl_add_u32 v88, 0x200000, v79, -1
	v_lshrrev_b32_e32 v89, v79, v78
	v_lshlrev_b32_e64 v91, v79, 0x100000
	s_delay_alu instid0(VALU_DEP_4) | instskip(NEXT) | instid1(VALU_DEP_4)
	v_add_nc_u32_e32 v79, v79, v77
	v_and_b32_e32 v78, v88, v78
	s_delay_alu instid0(VALU_DEP_4) | instskip(NEXT) | instid1(VALU_DEP_2)
	v_bfe_u32 v90, v89, 21, 1
	v_cmp_eq_u32_e64 s13, v78, v91
	s_delay_alu instid0(VALU_DEP_2) | instskip(NEXT) | instid1(VALU_DEP_1)
	v_add_nc_u32_e32 v88, -1, v90
	v_cndmask_b32_e64 v78, 0, v88, s13
	v_lshrrev_b32_e32 v88, 23, v89
	s_mov_b32 s13, exec_lo
	s_delay_alu instid0(VALU_DEP_2) | instskip(NEXT) | instid1(VALU_DEP_2)
	v_add_nc_u32_e32 v78, v78, v89
	v_xor_b32_e32 v88, 1, v88
	s_delay_alu instid0(VALU_DEP_2) | instskip(NEXT) | instid1(VALU_DEP_1)
	v_and_b32_e32 v77, 0x1fffff, v78
	v_add_nc_u32_e32 v78, v77, v89
                                        ; implicit-def: $vgpr77
	s_delay_alu instid0(VALU_DEP_3)
	v_cmpx_ne_u32_e64 v79, v88
	s_xor_b32 s13, exec_lo, s13
; %bb.904:                              ;   in Loop: Header=BB4_144 Depth=3
	s_delay_alu instid0(VALU_DEP_2) | instskip(SKIP_2) | instid1(VALU_DEP_2)
	v_cmp_lt_u32_e32 vcc_lo, 0xffffff, v78
	v_sub_nc_u32_e32 v77, v79, v88
	v_cndmask_b32_e64 v79, 0, 1, vcc_lo
	v_add_co_ci_u32_e32 v77, vcc_lo, 0, v77, vcc_lo
	s_delay_alu instid0(VALU_DEP_2)
	v_lshrrev_b32_e32 v78, v79, v78
; %bb.905:                              ;   in Loop: Header=BB4_144 Depth=3
	s_and_not1_saveexec_b32 s13, s13
; %bb.906:                              ;   in Loop: Header=BB4_144 Depth=3
	s_delay_alu instid0(VALU_DEP_1)
	v_bfe_u32 v77, v78, 23, 1
; %bb.907:                              ;   in Loop: Header=BB4_144 Depth=3
	s_or_b32 exec_lo, exec_lo, s13
	v_lshrrev_b32_e32 v78, 21, v78
	s_delay_alu instid0(VALU_DEP_2) | instskip(SKIP_4) | instid1(VALU_DEP_4)
	v_cmp_gt_i32_e32 vcc_lo, 32, v77
	v_min_i32_e32 v79, 31, v77
	v_lshrrev_b32_e32 v88, 24, v109
	v_mov_b32_e32 v92, v58
	v_dual_mov_b32 v90, v59 :: v_dual_mov_b32 v91, v61
	v_dual_cndmask_b32 v78, 3, v78 :: v_dual_lshlrev_b32 v79, 2, v79
	s_delay_alu instid0(VALU_DEP_4) | instskip(SKIP_1) | instid1(VALU_DEP_3)
	v_dual_mov_b32 v93, v62 :: v_dual_and_b32 v88, 0x80, v88
	v_mov_b32_e32 v94, v63
	v_or_b32_e32 v77, v77, v78
	v_and_b32_e32 v89, 3, v78
	s_delay_alu instid0(VALU_DEP_2) | instskip(SKIP_2) | instid1(VALU_DEP_2)
	v_cmp_ne_u32_e32 vcc_lo, 0, v77
	v_and_b32_e32 v79, 0xfc, v79
	v_mov_b32_e32 v77, v56
	v_or3_b32 v78, v79, v88, v89
	v_dual_mov_b32 v88, v47 :: v_dual_mov_b32 v79, v57
	s_delay_alu instid0(VALU_DEP_2)
	v_dual_mov_b32 v89, v60 :: v_dual_cndmask_b32 v108, 0, v78
	v_mov_b32_e32 v78, v68
.LBB4_908:                              ;   in Loop: Header=BB4_144 Depth=3
	s_or_b32 exec_lo, exec_lo, s36
.LBB4_909:                              ;   in Loop: Header=BB4_144 Depth=3
	s_delay_alu instid0(SALU_CYCLE_1) | instskip(SKIP_3) | instid1(VALU_DEP_1)
	s_or_b32 exec_lo, exec_lo, s35
	v_lshrrev_b32_e32 v109, 24, v11
	s_mov_b32 s13, 0
	s_mov_b32 s36, exec_lo
                                        ; implicit-def: $sgpr35
	v_cmpx_lt_i16_e32 0x7f, v109
	s_xor_b32 s36, exec_lo, s36
	s_cbranch_execnz .LBB4_1171
; %bb.910:                              ;   in Loop: Header=BB4_144 Depth=3
	s_or_saveexec_b32 s36, s36
	v_mov_b32_e32 v110, s35
	s_xor_b32 exec_lo, exec_lo, s36
	s_cbranch_execnz .LBB4_1174
.LBB4_911:                              ;   in Loop: Header=BB4_144 Depth=3
	s_or_b32 exec_lo, exec_lo, s36
	s_and_saveexec_b32 s35, s13
	s_cbranch_execz .LBB4_913
.LBB4_912:                              ;   in Loop: Header=BB4_144 Depth=3
	v_bfe_u32 v110, v11, 24, 2
	s_delay_alu instid0(VALU_DEP_1) | instskip(NEXT) | instid1(VALU_DEP_1)
	v_clz_i32_u32_e32 v111, v110
	v_min_u32_e32 v111, 32, v111
	s_delay_alu instid0(VALU_DEP_1) | instskip(SKIP_1) | instid1(VALU_DEP_2)
	v_subrev_nc_u32_e32 v120, 29, v111
	v_sub_nc_u32_e32 v111, 30, v111
	v_lshlrev_b32_e32 v109, v120, v109
	v_bfe_u32 v120, v11, 26, 5
	v_and_b32_e32 v11, 0x80000000, v11
	s_delay_alu instid0(VALU_DEP_3) | instskip(NEXT) | instid1(VALU_DEP_3)
	v_and_b32_e32 v109, 3, v109
	v_cmp_eq_u32_e32 vcc_lo, 0, v120
	v_cndmask_b32_e32 v111, v120, v111, vcc_lo
	s_delay_alu instid0(VALU_DEP_3) | instskip(NEXT) | instid1(VALU_DEP_2)
	v_cndmask_b32_e32 v109, v110, v109, vcc_lo
	v_lshl_add_u32 v110, v111, 23, 0x37800000
	s_delay_alu instid0(VALU_DEP_2) | instskip(NEXT) | instid1(VALU_DEP_1)
	v_lshlrev_b32_e32 v109, 21, v109
	v_or3_b32 v110, v11, v110, v109
.LBB4_913:                              ;   in Loop: Header=BB4_144 Depth=3
	s_or_b32 exec_lo, exec_lo, s35
	s_delay_alu instid0(VALU_DEP_1) | instskip(NEXT) | instid1(VALU_DEP_1)
	v_mul_f32_e32 v109, s34, v110
	v_and_b32_e32 v11, 0x7f800000, v109
	s_delay_alu instid0(VALU_DEP_1)
	v_cmp_ne_u32_e32 vcc_lo, 0x7f800000, v11
	v_mov_b32_e32 v11, 0x8000
	s_and_saveexec_b32 s34, vcc_lo
	s_cbranch_execz .LBB4_143
; %bb.914:                              ;   in Loop: Header=BB4_144 Depth=3
	v_mov_b32_e32 v11, 0
	s_mov_b32 s35, exec_lo
	v_cmpx_ne_u32_e32 0, v109
	s_cbranch_execz .LBB4_142
; %bb.915:                              ;   in Loop: Header=BB4_144 Depth=3
	v_bfe_u32 v11, v109, 23, 8
	s_delay_alu instid0(VALU_DEP_1) | instskip(SKIP_1) | instid1(VALU_DEP_2)
	v_sub_nc_u32_e32 v78, 0x70, v11
	v_cmp_gt_u32_e32 vcc_lo, 0x71, v11
	v_dual_cndmask_b32 v78, 0, v78 :: v_dual_and_b32 v77, 0x7fffff, v109
	s_delay_alu instid0(VALU_DEP_1) | instskip(SKIP_2) | instid1(VALU_DEP_4)
	v_or_b32_e32 v79, 0x800000, v77
	v_cmp_eq_u32_e32 vcc_lo, 0, v11
	v_add_nc_u32_e32 v11, 0xffffff91, v11
	v_cndmask_b32_e64 v78, v78, 0x6f, vcc_lo
	s_delay_alu instid0(VALU_DEP_2) | instskip(SKIP_1) | instid1(VALU_DEP_3)
	v_cndmask_b32_e64 v11, v11, 0xffffff92, vcc_lo
	v_cndmask_b32_e32 v77, v79, v77, vcc_lo
	v_lshl_add_u32 v79, 0x200000, v78, -1
	v_lshlrev_b32_e64 v90, v78, 0x100000
	s_delay_alu instid0(VALU_DEP_3) | instskip(SKIP_1) | instid1(VALU_DEP_4)
	v_lshrrev_b32_e32 v88, v78, v77
	v_add_nc_u32_e32 v78, v78, v11
	v_and_b32_e32 v77, v79, v77
	s_delay_alu instid0(VALU_DEP_3) | instskip(NEXT) | instid1(VALU_DEP_2)
	v_bfe_u32 v89, v88, 21, 1
	v_cmp_eq_u32_e64 s13, v77, v90
	s_delay_alu instid0(VALU_DEP_2) | instskip(NEXT) | instid1(VALU_DEP_1)
	v_add_nc_u32_e32 v79, -1, v89
	v_cndmask_b32_e64 v77, 0, v79, s13
	v_lshrrev_b32_e32 v79, 23, v88
	s_mov_b32 s13, exec_lo
	s_delay_alu instid0(VALU_DEP_2) | instskip(NEXT) | instid1(VALU_DEP_2)
	v_add_nc_u32_e32 v77, v77, v88
	v_xor_b32_e32 v79, 1, v79
	s_delay_alu instid0(VALU_DEP_2) | instskip(NEXT) | instid1(VALU_DEP_1)
	v_and_b32_e32 v11, 0x1fffff, v77
	v_add_nc_u32_e32 v77, v11, v88
                                        ; implicit-def: $vgpr11
	s_delay_alu instid0(VALU_DEP_3)
	v_cmpx_ne_u32_e64 v78, v79
	s_xor_b32 s13, exec_lo, s13
; %bb.916:                              ;   in Loop: Header=BB4_144 Depth=3
	s_delay_alu instid0(VALU_DEP_2) | instskip(SKIP_2) | instid1(VALU_DEP_2)
	v_cmp_lt_u32_e32 vcc_lo, 0xffffff, v77
	v_sub_nc_u32_e32 v11, v78, v79
	v_cndmask_b32_e64 v78, 0, 1, vcc_lo
	v_add_co_ci_u32_e32 v11, vcc_lo, 0, v11, vcc_lo
	s_delay_alu instid0(VALU_DEP_2)
	v_lshrrev_b32_e32 v77, v78, v77
; %bb.917:                              ;   in Loop: Header=BB4_144 Depth=3
	s_and_not1_saveexec_b32 s13, s13
	s_cbranch_execz .LBB4_141
; %bb.918:                              ;   in Loop: Header=BB4_144 Depth=3
	s_delay_alu instid0(VALU_DEP_1)
	v_bfe_u32 v11, v77, 23, 1
	s_branch .LBB4_141
.LBB4_919:                              ;   in Loop: Header=BB4_144 Depth=3
	s_mov_b32 s13, -1
	s_mov_b32 s37, exec_lo
                                        ; implicit-def: $sgpr35
	v_cmpx_eq_u16_e64 0x80, v129
; %bb.920:                              ;   in Loop: Header=BB4_144 Depth=3
	s_mov_b32 s35, 0x7f800001
	s_xor_b32 s13, exec_lo, -1
; %bb.921:                              ;   in Loop: Header=BB4_144 Depth=3
	s_or_b32 exec_lo, exec_lo, s37
	s_delay_alu instid0(SALU_CYCLE_1)
	s_and_b32 s13, s13, exec_lo
                                        ; implicit-def: $vgpr129
	s_or_saveexec_b32 s36, s36
	v_mov_b32_e32 v68, s35
	s_xor_b32 exec_lo, exec_lo, s36
	s_cbranch_execz .LBB4_155
.LBB4_922:                              ;   in Loop: Header=BB4_144 Depth=3
	v_cmp_ne_u16_e64 vcc_lo, 0, v129
	v_mov_b32_e32 v68, 0
	s_and_not1_b32 s13, s13, exec_lo
	s_delay_alu instid0(VALU_DEP_2) | instskip(NEXT) | instid1(SALU_CYCLE_1)
	s_and_b32 vcc_lo, vcc_lo, exec_lo
	s_or_b32 s13, s13, vcc_lo
	s_or_b32 exec_lo, exec_lo, s36
	s_and_saveexec_b32 s35, s13
	s_cbranch_execnz .LBB4_156
	s_branch .LBB4_157
.LBB4_923:                              ;   in Loop: Header=BB4_144 Depth=3
	s_mov_b32 s13, -1
	s_mov_b32 s37, exec_lo
                                        ; implicit-def: $sgpr35
	v_cmpx_eq_u16_e32 0x80, v68
; %bb.924:                              ;   in Loop: Header=BB4_144 Depth=3
	s_mov_b32 s35, 0x7f800001
	s_xor_b32 s13, exec_lo, -1
; %bb.925:                              ;   in Loop: Header=BB4_144 Depth=3
	s_or_b32 exec_lo, exec_lo, s37
	s_delay_alu instid0(SALU_CYCLE_1)
	s_and_b32 s13, s13, exec_lo
	s_or_saveexec_b32 s36, s36
	v_mov_b32_e32 v130, s35
	s_xor_b32 exec_lo, exec_lo, s36
	s_cbranch_execz .LBB4_167
.LBB4_926:                              ;   in Loop: Header=BB4_144 Depth=3
	v_cmp_ne_u16_e32 vcc_lo, 0, v68
	v_mov_b32_e32 v130, 0
	s_and_not1_b32 s13, s13, exec_lo
	s_and_b32 vcc_lo, vcc_lo, exec_lo
	s_delay_alu instid0(SALU_CYCLE_1)
	s_or_b32 s13, s13, vcc_lo
	s_or_b32 exec_lo, exec_lo, s36
	s_and_saveexec_b32 s35, s13
	s_cbranch_execnz .LBB4_168
	s_branch .LBB4_169
.LBB4_927:                              ;   in Loop: Header=BB4_144 Depth=3
	s_mov_b32 s13, -1
	s_mov_b32 s37, exec_lo
                                        ; implicit-def: $sgpr35
	v_cmpx_eq_u16_e64 0x80, v132
; %bb.928:                              ;   in Loop: Header=BB4_144 Depth=3
	s_mov_b32 s35, 0x7f800001
	s_xor_b32 s13, exec_lo, -1
; %bb.929:                              ;   in Loop: Header=BB4_144 Depth=3
	s_or_b32 exec_lo, exec_lo, s37
	s_delay_alu instid0(SALU_CYCLE_1)
	s_and_b32 s13, s13, exec_lo
                                        ; implicit-def: $vgpr132
	s_or_saveexec_b32 s36, s36
	v_mov_b32_e32 v131, s35
	s_xor_b32 exec_lo, exec_lo, s36
	s_cbranch_execz .LBB4_179
.LBB4_930:                              ;   in Loop: Header=BB4_144 Depth=3
	v_cmp_ne_u16_e64 vcc_lo, 0, v132
	v_mov_b32_e32 v131, 0
	s_and_not1_b32 s13, s13, exec_lo
	s_delay_alu instid0(VALU_DEP_2) | instskip(NEXT) | instid1(SALU_CYCLE_1)
	s_and_b32 vcc_lo, vcc_lo, exec_lo
	s_or_b32 s13, s13, vcc_lo
	s_or_b32 exec_lo, exec_lo, s36
	s_and_saveexec_b32 s35, s13
	s_cbranch_execnz .LBB4_180
	s_branch .LBB4_181
.LBB4_931:                              ;   in Loop: Header=BB4_144 Depth=3
	s_mov_b32 s13, -1
	s_mov_b32 s37, exec_lo
                                        ; implicit-def: $sgpr35
	v_cmpx_eq_u16_e32 0x80, v68
; %bb.932:                              ;   in Loop: Header=BB4_144 Depth=3
	s_mov_b32 s35, 0x7f800001
	s_xor_b32 s13, exec_lo, -1
; %bb.933:                              ;   in Loop: Header=BB4_144 Depth=3
	s_or_b32 exec_lo, exec_lo, s37
	s_delay_alu instid0(SALU_CYCLE_1)
	s_and_b32 s13, s13, exec_lo
	s_or_saveexec_b32 s36, s36
	v_mov_b32_e32 v132, s35
	s_xor_b32 exec_lo, exec_lo, s36
	s_cbranch_execz .LBB4_191
.LBB4_934:                              ;   in Loop: Header=BB4_144 Depth=3
	v_cmp_ne_u16_e32 vcc_lo, 0, v68
	v_mov_b32_e32 v132, 0
	s_and_not1_b32 s13, s13, exec_lo
	s_and_b32 vcc_lo, vcc_lo, exec_lo
	s_delay_alu instid0(SALU_CYCLE_1)
	s_or_b32 s13, s13, vcc_lo
	s_or_b32 exec_lo, exec_lo, s36
	s_and_saveexec_b32 s35, s13
	s_cbranch_execnz .LBB4_192
	s_branch .LBB4_193
.LBB4_935:                              ;   in Loop: Header=BB4_144 Depth=3
	s_mov_b32 s13, -1
	s_mov_b32 s37, exec_lo
                                        ; implicit-def: $sgpr35
	v_cmpx_eq_u16_e32 0x80, v68
; %bb.936:                              ;   in Loop: Header=BB4_144 Depth=3
	s_mov_b32 s35, 0x7f800001
	s_xor_b32 s13, exec_lo, -1
; %bb.937:                              ;   in Loop: Header=BB4_144 Depth=3
	s_or_b32 exec_lo, exec_lo, s37
	s_delay_alu instid0(SALU_CYCLE_1)
	s_and_b32 s13, s13, exec_lo
                                        ; implicit-def: $vgpr68
	s_or_saveexec_b32 s36, s36
	v_mov_b32_e32 v8, s35
	s_xor_b32 exec_lo, exec_lo, s36
	s_cbranch_execz .LBB4_203
.LBB4_938:                              ;   in Loop: Header=BB4_144 Depth=3
	v_cmp_ne_u16_e32 vcc_lo, 0, v68
	v_mov_b32_e32 v8, 0
	s_and_not1_b32 s13, s13, exec_lo
	s_and_b32 vcc_lo, vcc_lo, exec_lo
	s_delay_alu instid0(SALU_CYCLE_1)
	s_or_b32 s13, s13, vcc_lo
	s_or_b32 exec_lo, exec_lo, s36
	s_and_saveexec_b32 s35, s13
	s_cbranch_execnz .LBB4_204
	s_branch .LBB4_205
.LBB4_939:                              ;   in Loop: Header=BB4_144 Depth=3
	s_mov_b32 s13, -1
	s_mov_b32 s37, exec_lo
                                        ; implicit-def: $sgpr35
	v_cmpx_eq_u16_e32 0x80, v8
; %bb.940:                              ;   in Loop: Header=BB4_144 Depth=3
	s_mov_b32 s35, 0x7f800001
	s_xor_b32 s13, exec_lo, -1
; %bb.941:                              ;   in Loop: Header=BB4_144 Depth=3
	s_or_b32 exec_lo, exec_lo, s37
	s_delay_alu instid0(SALU_CYCLE_1)
	s_and_b32 s13, s13, exec_lo
	s_or_saveexec_b32 s36, s36
	v_mov_b32_e32 v68, s35
	s_xor_b32 exec_lo, exec_lo, s36
	s_cbranch_execz .LBB4_215
.LBB4_942:                              ;   in Loop: Header=BB4_144 Depth=3
	v_cmp_ne_u16_e32 vcc_lo, 0, v8
	v_mov_b32_e32 v68, 0
	s_and_not1_b32 s13, s13, exec_lo
	s_and_b32 vcc_lo, vcc_lo, exec_lo
	s_delay_alu instid0(SALU_CYCLE_1)
	s_or_b32 s13, s13, vcc_lo
	s_or_b32 exec_lo, exec_lo, s36
	s_and_saveexec_b32 s35, s13
	s_cbranch_execnz .LBB4_216
	s_branch .LBB4_217
.LBB4_943:                              ;   in Loop: Header=BB4_144 Depth=3
	s_mov_b32 s13, -1
	s_mov_b32 s37, exec_lo
                                        ; implicit-def: $sgpr35
	v_cmpx_eq_u16_e64 0x80, v135
; %bb.944:                              ;   in Loop: Header=BB4_144 Depth=3
	s_mov_b32 s35, 0x7f800001
	s_xor_b32 s13, exec_lo, -1
; %bb.945:                              ;   in Loop: Header=BB4_144 Depth=3
	s_or_b32 exec_lo, exec_lo, s37
	s_delay_alu instid0(SALU_CYCLE_1)
	s_and_b32 s13, s13, exec_lo
                                        ; implicit-def: $vgpr135
	s_or_saveexec_b32 s36, s36
	v_mov_b32_e32 v68, s35
	s_xor_b32 exec_lo, exec_lo, s36
	s_cbranch_execz .LBB4_227
.LBB4_946:                              ;   in Loop: Header=BB4_144 Depth=3
	v_cmp_ne_u16_e64 vcc_lo, 0, v135
	v_mov_b32_e32 v68, 0
	s_and_not1_b32 s13, s13, exec_lo
	s_delay_alu instid0(VALU_DEP_2) | instskip(NEXT) | instid1(SALU_CYCLE_1)
	s_and_b32 vcc_lo, vcc_lo, exec_lo
	s_or_b32 s13, s13, vcc_lo
	s_or_b32 exec_lo, exec_lo, s36
	s_and_saveexec_b32 s35, s13
	s_cbranch_execnz .LBB4_228
	s_branch .LBB4_229
.LBB4_947:                              ;   in Loop: Header=BB4_144 Depth=3
	s_mov_b32 s13, -1
	s_mov_b32 s37, exec_lo
                                        ; implicit-def: $sgpr35
	v_cmpx_eq_u16_e32 0x80, v8
; %bb.948:                              ;   in Loop: Header=BB4_144 Depth=3
	s_mov_b32 s35, 0x7f800001
	s_xor_b32 s13, exec_lo, -1
; %bb.949:                              ;   in Loop: Header=BB4_144 Depth=3
	s_or_b32 exec_lo, exec_lo, s37
	s_delay_alu instid0(SALU_CYCLE_1)
	s_and_b32 s13, s13, exec_lo
	s_or_saveexec_b32 s36, s36
	v_mov_b32_e32 v68, s35
	s_xor_b32 exec_lo, exec_lo, s36
	s_cbranch_execz .LBB4_239
.LBB4_950:                              ;   in Loop: Header=BB4_144 Depth=3
	v_cmp_ne_u16_e32 vcc_lo, 0, v8
	v_mov_b32_e32 v68, 0
	s_and_not1_b32 s13, s13, exec_lo
	s_and_b32 vcc_lo, vcc_lo, exec_lo
	s_delay_alu instid0(SALU_CYCLE_1)
	s_or_b32 s13, s13, vcc_lo
	s_or_b32 exec_lo, exec_lo, s36
	s_and_saveexec_b32 s35, s13
	s_cbranch_execnz .LBB4_240
	s_branch .LBB4_241
.LBB4_951:                              ;   in Loop: Header=BB4_144 Depth=3
	s_mov_b32 s13, -1
	s_mov_b32 s37, exec_lo
                                        ; implicit-def: $sgpr35
	v_cmpx_eq_u16_e32 0x80, v9
; %bb.952:                              ;   in Loop: Header=BB4_144 Depth=3
	s_mov_b32 s35, 0x7f800001
	s_xor_b32 s13, exec_lo, -1
; %bb.953:                              ;   in Loop: Header=BB4_144 Depth=3
	s_or_b32 exec_lo, exec_lo, s37
	s_delay_alu instid0(SALU_CYCLE_1)
	s_and_b32 s13, s13, exec_lo
                                        ; implicit-def: $vgpr9
	s_or_saveexec_b32 s36, s36
	v_mov_b32_e32 v8, s35
	s_xor_b32 exec_lo, exec_lo, s36
	s_cbranch_execz .LBB4_251
.LBB4_954:                              ;   in Loop: Header=BB4_144 Depth=3
	v_cmp_ne_u16_e32 vcc_lo, 0, v9
	v_mov_b32_e32 v8, 0
	s_and_not1_b32 s13, s13, exec_lo
	s_and_b32 vcc_lo, vcc_lo, exec_lo
	s_delay_alu instid0(SALU_CYCLE_1)
	s_or_b32 s13, s13, vcc_lo
	s_or_b32 exec_lo, exec_lo, s36
	s_and_saveexec_b32 s35, s13
	s_cbranch_execnz .LBB4_252
	s_branch .LBB4_253
.LBB4_955:                              ;   in Loop: Header=BB4_144 Depth=3
	s_mov_b32 s13, -1
	s_mov_b32 s37, exec_lo
                                        ; implicit-def: $sgpr35
	v_cmpx_eq_u16_e32 0x80, v8
; %bb.956:                              ;   in Loop: Header=BB4_144 Depth=3
	s_mov_b32 s35, 0x7f800001
	s_xor_b32 s13, exec_lo, -1
; %bb.957:                              ;   in Loop: Header=BB4_144 Depth=3
	s_or_b32 exec_lo, exec_lo, s37
	s_delay_alu instid0(SALU_CYCLE_1)
	s_and_b32 s13, s13, exec_lo
	s_or_saveexec_b32 s36, s36
	v_mov_b32_e32 v9, s35
	s_xor_b32 exec_lo, exec_lo, s36
	s_cbranch_execz .LBB4_263
.LBB4_958:                              ;   in Loop: Header=BB4_144 Depth=3
	v_cmp_ne_u16_e32 vcc_lo, 0, v8
	v_mov_b32_e32 v9, 0
	s_and_not1_b32 s13, s13, exec_lo
	s_and_b32 vcc_lo, vcc_lo, exec_lo
	s_delay_alu instid0(SALU_CYCLE_1)
	s_or_b32 s13, s13, vcc_lo
	s_or_b32 exec_lo, exec_lo, s36
	s_and_saveexec_b32 s35, s13
	s_cbranch_execnz .LBB4_264
	s_branch .LBB4_265
.LBB4_959:                              ;   in Loop: Header=BB4_144 Depth=3
	s_mov_b32 s13, -1
	s_mov_b32 s37, exec_lo
                                        ; implicit-def: $sgpr35
	v_cmpx_eq_u16_e32 0x80, v68
; %bb.960:                              ;   in Loop: Header=BB4_144 Depth=3
	s_mov_b32 s35, 0x7f800001
	s_xor_b32 s13, exec_lo, -1
; %bb.961:                              ;   in Loop: Header=BB4_144 Depth=3
	s_or_b32 exec_lo, exec_lo, s37
	s_delay_alu instid0(SALU_CYCLE_1)
	s_and_b32 s13, s13, exec_lo
                                        ; implicit-def: $vgpr68
	s_or_saveexec_b32 s36, s36
	v_mov_b32_e32 v9, s35
	s_xor_b32 exec_lo, exec_lo, s36
	s_cbranch_execz .LBB4_275
.LBB4_962:                              ;   in Loop: Header=BB4_144 Depth=3
	v_cmp_ne_u16_e32 vcc_lo, 0, v68
	v_mov_b32_e32 v9, 0
	s_and_not1_b32 s13, s13, exec_lo
	s_and_b32 vcc_lo, vcc_lo, exec_lo
	s_delay_alu instid0(SALU_CYCLE_1)
	s_or_b32 s13, s13, vcc_lo
	s_or_b32 exec_lo, exec_lo, s36
	s_and_saveexec_b32 s35, s13
	s_cbranch_execnz .LBB4_276
	s_branch .LBB4_277
.LBB4_963:                              ;   in Loop: Header=BB4_144 Depth=3
	s_mov_b32 s13, -1
	s_mov_b32 s37, exec_lo
                                        ; implicit-def: $sgpr35
	v_cmpx_eq_u16_e32 0x80, v8
; %bb.964:                              ;   in Loop: Header=BB4_144 Depth=3
	s_mov_b32 s35, 0x7f800001
	s_xor_b32 s13, exec_lo, -1
; %bb.965:                              ;   in Loop: Header=BB4_144 Depth=3
	s_or_b32 exec_lo, exec_lo, s37
	s_delay_alu instid0(SALU_CYCLE_1)
	s_and_b32 s13, s13, exec_lo
	s_or_saveexec_b32 s36, s36
	v_mov_b32_e32 v9, s35
	s_xor_b32 exec_lo, exec_lo, s36
	s_cbranch_execz .LBB4_287
.LBB4_966:                              ;   in Loop: Header=BB4_144 Depth=3
	v_cmp_ne_u16_e32 vcc_lo, 0, v8
	v_mov_b32_e32 v9, 0
	s_and_not1_b32 s13, s13, exec_lo
	s_and_b32 vcc_lo, vcc_lo, exec_lo
	s_delay_alu instid0(SALU_CYCLE_1)
	s_or_b32 s13, s13, vcc_lo
	s_or_b32 exec_lo, exec_lo, s36
	s_and_saveexec_b32 s35, s13
	s_cbranch_execnz .LBB4_288
	s_branch .LBB4_289
.LBB4_967:                              ;   in Loop: Header=BB4_144 Depth=3
	s_mov_b32 s13, -1
	s_mov_b32 s37, exec_lo
                                        ; implicit-def: $sgpr35
	v_cmpx_eq_u16_e32 0x80, v9
; %bb.968:                              ;   in Loop: Header=BB4_144 Depth=3
	s_mov_b32 s35, 0x7f800001
	s_xor_b32 s13, exec_lo, -1
; %bb.969:                              ;   in Loop: Header=BB4_144 Depth=3
	s_or_b32 exec_lo, exec_lo, s37
	s_delay_alu instid0(SALU_CYCLE_1)
	s_and_b32 s13, s13, exec_lo
                                        ; implicit-def: $vgpr9
	s_or_saveexec_b32 s36, s36
	v_mov_b32_e32 v8, s35
	s_xor_b32 exec_lo, exec_lo, s36
	s_cbranch_execz .LBB4_299
.LBB4_970:                              ;   in Loop: Header=BB4_144 Depth=3
	v_cmp_ne_u16_e32 vcc_lo, 0, v9
	v_mov_b32_e32 v8, 0
	s_and_not1_b32 s13, s13, exec_lo
	s_and_b32 vcc_lo, vcc_lo, exec_lo
	s_delay_alu instid0(SALU_CYCLE_1)
	s_or_b32 s13, s13, vcc_lo
	s_or_b32 exec_lo, exec_lo, s36
	s_and_saveexec_b32 s35, s13
	s_cbranch_execnz .LBB4_300
	s_branch .LBB4_301
.LBB4_971:                              ;   in Loop: Header=BB4_144 Depth=3
	s_mov_b32 s13, -1
	s_mov_b32 s37, exec_lo
                                        ; implicit-def: $sgpr35
	v_cmpx_eq_u16_e32 0x80, v8
; %bb.972:                              ;   in Loop: Header=BB4_144 Depth=3
	s_mov_b32 s35, 0x7f800001
	s_xor_b32 s13, exec_lo, -1
; %bb.973:                              ;   in Loop: Header=BB4_144 Depth=3
	s_or_b32 exec_lo, exec_lo, s37
	s_delay_alu instid0(SALU_CYCLE_1)
	s_and_b32 s13, s13, exec_lo
	s_or_saveexec_b32 s36, s36
	v_mov_b32_e32 v9, s35
	s_xor_b32 exec_lo, exec_lo, s36
	s_cbranch_execz .LBB4_311
.LBB4_974:                              ;   in Loop: Header=BB4_144 Depth=3
	v_cmp_ne_u16_e32 vcc_lo, 0, v8
	v_mov_b32_e32 v9, 0
	s_and_not1_b32 s13, s13, exec_lo
	s_and_b32 vcc_lo, vcc_lo, exec_lo
	s_delay_alu instid0(SALU_CYCLE_1)
	s_or_b32 s13, s13, vcc_lo
	s_or_b32 exec_lo, exec_lo, s36
	s_and_saveexec_b32 s35, s13
	s_cbranch_execnz .LBB4_312
	s_branch .LBB4_313
.LBB4_975:                              ;   in Loop: Header=BB4_144 Depth=3
	s_mov_b32 s13, -1
	s_mov_b32 s37, exec_lo
                                        ; implicit-def: $sgpr35
	v_cmpx_eq_u16_e32 0x80, v10
; %bb.976:                              ;   in Loop: Header=BB4_144 Depth=3
	s_mov_b32 s35, 0x7f800001
	s_xor_b32 s13, exec_lo, -1
; %bb.977:                              ;   in Loop: Header=BB4_144 Depth=3
	s_or_b32 exec_lo, exec_lo, s37
	s_delay_alu instid0(SALU_CYCLE_1)
	s_and_b32 s13, s13, exec_lo
                                        ; implicit-def: $vgpr10
	s_or_saveexec_b32 s36, s36
	v_mov_b32_e32 v9, s35
	s_xor_b32 exec_lo, exec_lo, s36
	s_cbranch_execz .LBB4_323
.LBB4_978:                              ;   in Loop: Header=BB4_144 Depth=3
	v_cmp_ne_u16_e32 vcc_lo, 0, v10
	v_mov_b32_e32 v9, 0
	s_and_not1_b32 s13, s13, exec_lo
	s_and_b32 vcc_lo, vcc_lo, exec_lo
	s_delay_alu instid0(SALU_CYCLE_1)
	s_or_b32 s13, s13, vcc_lo
	s_or_b32 exec_lo, exec_lo, s36
	s_and_saveexec_b32 s35, s13
	s_cbranch_execnz .LBB4_324
	s_branch .LBB4_325
.LBB4_979:                              ;   in Loop: Header=BB4_144 Depth=3
	s_mov_b32 s13, -1
	s_mov_b32 s37, exec_lo
                                        ; implicit-def: $sgpr35
	v_cmpx_eq_u16_e32 0x80, v8
; %bb.980:                              ;   in Loop: Header=BB4_144 Depth=3
	s_mov_b32 s35, 0x7f800001
	s_xor_b32 s13, exec_lo, -1
; %bb.981:                              ;   in Loop: Header=BB4_144 Depth=3
	s_or_b32 exec_lo, exec_lo, s37
	s_delay_alu instid0(SALU_CYCLE_1)
	s_and_b32 s13, s13, exec_lo
	s_or_saveexec_b32 s36, s36
	v_mov_b32_e32 v9, s35
	s_xor_b32 exec_lo, exec_lo, s36
	s_cbranch_execz .LBB4_335
.LBB4_982:                              ;   in Loop: Header=BB4_144 Depth=3
	v_cmp_ne_u16_e32 vcc_lo, 0, v8
	v_mov_b32_e32 v9, 0
	s_and_not1_b32 s13, s13, exec_lo
	s_and_b32 vcc_lo, vcc_lo, exec_lo
	s_delay_alu instid0(SALU_CYCLE_1)
	s_or_b32 s13, s13, vcc_lo
	s_or_b32 exec_lo, exec_lo, s36
	s_and_saveexec_b32 s35, s13
	s_cbranch_execnz .LBB4_336
	s_branch .LBB4_337
.LBB4_983:                              ;   in Loop: Header=BB4_144 Depth=3
	s_mov_b32 s13, -1
	s_mov_b32 s37, exec_lo
                                        ; implicit-def: $sgpr35
	v_cmpx_eq_u16_e64 0x80, v161
; %bb.984:                              ;   in Loop: Header=BB4_144 Depth=3
	s_mov_b32 s35, 0x7f800001
	s_xor_b32 s13, exec_lo, -1
; %bb.985:                              ;   in Loop: Header=BB4_144 Depth=3
	s_or_b32 exec_lo, exec_lo, s37
	s_delay_alu instid0(SALU_CYCLE_1)
	s_and_b32 s13, s13, exec_lo
                                        ; implicit-def: $vgpr161
	s_or_saveexec_b32 s36, s36
	v_mov_b32_e32 v68, s35
	s_xor_b32 exec_lo, exec_lo, s36
	s_cbranch_execz .LBB4_347
.LBB4_986:                              ;   in Loop: Header=BB4_144 Depth=3
	v_cmp_ne_u16_e64 vcc_lo, 0, v161
	v_mov_b32_e32 v68, 0
	s_and_not1_b32 s13, s13, exec_lo
	s_delay_alu instid0(VALU_DEP_2) | instskip(NEXT) | instid1(SALU_CYCLE_1)
	s_and_b32 vcc_lo, vcc_lo, exec_lo
	s_or_b32 s13, s13, vcc_lo
	s_or_b32 exec_lo, exec_lo, s36
	s_and_saveexec_b32 s35, s13
	s_cbranch_execnz .LBB4_348
	s_branch .LBB4_349
.LBB4_987:                              ;   in Loop: Header=BB4_144 Depth=3
	s_mov_b32 s13, -1
	s_mov_b32 s37, exec_lo
                                        ; implicit-def: $sgpr35
	v_cmpx_eq_u16_e32 0x80, v68
; %bb.988:                              ;   in Loop: Header=BB4_144 Depth=3
	s_mov_b32 s35, 0x7f800001
	s_xor_b32 s13, exec_lo, -1
; %bb.989:                              ;   in Loop: Header=BB4_144 Depth=3
	s_or_b32 exec_lo, exec_lo, s37
	s_delay_alu instid0(SALU_CYCLE_1)
	s_and_b32 s13, s13, exec_lo
	s_or_saveexec_b32 s36, s36
	v_mov_b32_e32 v162, s35
	s_xor_b32 exec_lo, exec_lo, s36
	s_cbranch_execz .LBB4_359
.LBB4_990:                              ;   in Loop: Header=BB4_144 Depth=3
	v_cmp_ne_u16_e32 vcc_lo, 0, v68
	v_mov_b32_e32 v162, 0
	s_and_not1_b32 s13, s13, exec_lo
	s_and_b32 vcc_lo, vcc_lo, exec_lo
	s_delay_alu instid0(SALU_CYCLE_1)
	s_or_b32 s13, s13, vcc_lo
	s_or_b32 exec_lo, exec_lo, s36
	s_and_saveexec_b32 s35, s13
	s_cbranch_execnz .LBB4_360
	s_branch .LBB4_361
.LBB4_991:                              ;   in Loop: Header=BB4_144 Depth=3
	s_mov_b32 s13, -1
	s_mov_b32 s37, exec_lo
                                        ; implicit-def: $sgpr35
	v_cmpx_eq_u16_e64 0x80, v164
; %bb.992:                              ;   in Loop: Header=BB4_144 Depth=3
	s_mov_b32 s35, 0x7f800001
	s_xor_b32 s13, exec_lo, -1
; %bb.993:                              ;   in Loop: Header=BB4_144 Depth=3
	s_or_b32 exec_lo, exec_lo, s37
	s_delay_alu instid0(SALU_CYCLE_1)
	s_and_b32 s13, s13, exec_lo
                                        ; implicit-def: $vgpr164
	s_or_saveexec_b32 s36, s36
	v_mov_b32_e32 v163, s35
	s_xor_b32 exec_lo, exec_lo, s36
	s_cbranch_execz .LBB4_371
.LBB4_994:                              ;   in Loop: Header=BB4_144 Depth=3
	v_cmp_ne_u16_e64 vcc_lo, 0, v164
	v_mov_b32_e32 v163, 0
	s_and_not1_b32 s13, s13, exec_lo
	s_delay_alu instid0(VALU_DEP_2) | instskip(NEXT) | instid1(SALU_CYCLE_1)
	s_and_b32 vcc_lo, vcc_lo, exec_lo
	s_or_b32 s13, s13, vcc_lo
	s_or_b32 exec_lo, exec_lo, s36
	s_and_saveexec_b32 s35, s13
	s_cbranch_execnz .LBB4_372
	s_branch .LBB4_373
.LBB4_995:                              ;   in Loop: Header=BB4_144 Depth=3
	s_mov_b32 s13, -1
	s_mov_b32 s37, exec_lo
                                        ; implicit-def: $sgpr35
	v_cmpx_eq_u16_e32 0x80, v68
; %bb.996:                              ;   in Loop: Header=BB4_144 Depth=3
	s_mov_b32 s35, 0x7f800001
	s_xor_b32 s13, exec_lo, -1
; %bb.997:                              ;   in Loop: Header=BB4_144 Depth=3
	s_or_b32 exec_lo, exec_lo, s37
	s_delay_alu instid0(SALU_CYCLE_1)
	s_and_b32 s13, s13, exec_lo
	s_or_saveexec_b32 s36, s36
	v_mov_b32_e32 v164, s35
	s_xor_b32 exec_lo, exec_lo, s36
	s_cbranch_execz .LBB4_383
.LBB4_998:                              ;   in Loop: Header=BB4_144 Depth=3
	v_cmp_ne_u16_e32 vcc_lo, 0, v68
	v_mov_b32_e32 v164, 0
	s_and_not1_b32 s13, s13, exec_lo
	s_and_b32 vcc_lo, vcc_lo, exec_lo
	s_delay_alu instid0(SALU_CYCLE_1)
	s_or_b32 s13, s13, vcc_lo
	s_or_b32 exec_lo, exec_lo, s36
	s_and_saveexec_b32 s35, s13
	s_cbranch_execnz .LBB4_384
	s_branch .LBB4_385
.LBB4_999:                              ;   in Loop: Header=BB4_144 Depth=3
	s_mov_b32 s13, -1
	s_mov_b32 s37, exec_lo
                                        ; implicit-def: $sgpr35
	v_cmpx_eq_u16_e32 0x80, v68
; %bb.1000:                             ;   in Loop: Header=BB4_144 Depth=3
	s_mov_b32 s35, 0x7f800001
	s_xor_b32 s13, exec_lo, -1
; %bb.1001:                             ;   in Loop: Header=BB4_144 Depth=3
	s_or_b32 exec_lo, exec_lo, s37
	s_delay_alu instid0(SALU_CYCLE_1)
	s_and_b32 s13, s13, exec_lo
                                        ; implicit-def: $vgpr68
	s_or_saveexec_b32 s36, s36
	v_mov_b32_e32 v8, s35
	s_xor_b32 exec_lo, exec_lo, s36
	s_cbranch_execz .LBB4_395
.LBB4_1002:                             ;   in Loop: Header=BB4_144 Depth=3
	v_cmp_ne_u16_e32 vcc_lo, 0, v68
	v_mov_b32_e32 v8, 0
	s_and_not1_b32 s13, s13, exec_lo
	s_and_b32 vcc_lo, vcc_lo, exec_lo
	s_delay_alu instid0(SALU_CYCLE_1)
	s_or_b32 s13, s13, vcc_lo
	s_or_b32 exec_lo, exec_lo, s36
	s_and_saveexec_b32 s35, s13
	s_cbranch_execnz .LBB4_396
	s_branch .LBB4_397
.LBB4_1003:                             ;   in Loop: Header=BB4_144 Depth=3
	s_mov_b32 s13, -1
	s_mov_b32 s37, exec_lo
                                        ; implicit-def: $sgpr35
	v_cmpx_eq_u16_e32 0x80, v8
; %bb.1004:                             ;   in Loop: Header=BB4_144 Depth=3
	s_mov_b32 s35, 0x7f800001
	s_xor_b32 s13, exec_lo, -1
; %bb.1005:                             ;   in Loop: Header=BB4_144 Depth=3
	s_or_b32 exec_lo, exec_lo, s37
	s_delay_alu instid0(SALU_CYCLE_1)
	s_and_b32 s13, s13, exec_lo
	s_or_saveexec_b32 s36, s36
	v_mov_b32_e32 v68, s35
	s_xor_b32 exec_lo, exec_lo, s36
	s_cbranch_execz .LBB4_407
.LBB4_1006:                             ;   in Loop: Header=BB4_144 Depth=3
	v_cmp_ne_u16_e32 vcc_lo, 0, v8
	v_mov_b32_e32 v68, 0
	s_and_not1_b32 s13, s13, exec_lo
	s_and_b32 vcc_lo, vcc_lo, exec_lo
	s_delay_alu instid0(SALU_CYCLE_1)
	s_or_b32 s13, s13, vcc_lo
	s_or_b32 exec_lo, exec_lo, s36
	s_and_saveexec_b32 s35, s13
	s_cbranch_execnz .LBB4_408
	s_branch .LBB4_409
.LBB4_1007:                             ;   in Loop: Header=BB4_144 Depth=3
	s_mov_b32 s13, -1
	s_mov_b32 s37, exec_lo
                                        ; implicit-def: $sgpr35
	v_cmpx_eq_u16_e64 0x80, v167
; %bb.1008:                             ;   in Loop: Header=BB4_144 Depth=3
	s_mov_b32 s35, 0x7f800001
	s_xor_b32 s13, exec_lo, -1
; %bb.1009:                             ;   in Loop: Header=BB4_144 Depth=3
	s_or_b32 exec_lo, exec_lo, s37
	s_delay_alu instid0(SALU_CYCLE_1)
	s_and_b32 s13, s13, exec_lo
                                        ; implicit-def: $vgpr167
	s_or_saveexec_b32 s36, s36
	v_mov_b32_e32 v68, s35
	s_xor_b32 exec_lo, exec_lo, s36
	s_cbranch_execz .LBB4_419
.LBB4_1010:                             ;   in Loop: Header=BB4_144 Depth=3
	v_cmp_ne_u16_e64 vcc_lo, 0, v167
	v_mov_b32_e32 v68, 0
	s_and_not1_b32 s13, s13, exec_lo
	s_delay_alu instid0(VALU_DEP_2) | instskip(NEXT) | instid1(SALU_CYCLE_1)
	s_and_b32 vcc_lo, vcc_lo, exec_lo
	s_or_b32 s13, s13, vcc_lo
	s_or_b32 exec_lo, exec_lo, s36
	s_and_saveexec_b32 s35, s13
	s_cbranch_execnz .LBB4_420
	s_branch .LBB4_421
.LBB4_1011:                             ;   in Loop: Header=BB4_144 Depth=3
	s_mov_b32 s13, -1
	s_mov_b32 s37, exec_lo
                                        ; implicit-def: $sgpr35
	v_cmpx_eq_u16_e32 0x80, v8
; %bb.1012:                             ;   in Loop: Header=BB4_144 Depth=3
	s_mov_b32 s35, 0x7f800001
	s_xor_b32 s13, exec_lo, -1
; %bb.1013:                             ;   in Loop: Header=BB4_144 Depth=3
	s_or_b32 exec_lo, exec_lo, s37
	s_delay_alu instid0(SALU_CYCLE_1)
	s_and_b32 s13, s13, exec_lo
	s_or_saveexec_b32 s36, s36
	v_mov_b32_e32 v68, s35
	s_xor_b32 exec_lo, exec_lo, s36
	s_cbranch_execz .LBB4_431
.LBB4_1014:                             ;   in Loop: Header=BB4_144 Depth=3
	v_cmp_ne_u16_e32 vcc_lo, 0, v8
	v_mov_b32_e32 v68, 0
	s_and_not1_b32 s13, s13, exec_lo
	s_and_b32 vcc_lo, vcc_lo, exec_lo
	s_delay_alu instid0(SALU_CYCLE_1)
	s_or_b32 s13, s13, vcc_lo
	s_or_b32 exec_lo, exec_lo, s36
	s_and_saveexec_b32 s35, s13
	s_cbranch_execnz .LBB4_432
	s_branch .LBB4_433
.LBB4_1015:                             ;   in Loop: Header=BB4_144 Depth=3
	s_mov_b32 s13, -1
	s_mov_b32 s37, exec_lo
                                        ; implicit-def: $sgpr35
	v_cmpx_eq_u16_e32 0x80, v9
; %bb.1016:                             ;   in Loop: Header=BB4_144 Depth=3
	s_mov_b32 s35, 0x7f800001
	s_xor_b32 s13, exec_lo, -1
; %bb.1017:                             ;   in Loop: Header=BB4_144 Depth=3
	s_or_b32 exec_lo, exec_lo, s37
	s_delay_alu instid0(SALU_CYCLE_1)
	s_and_b32 s13, s13, exec_lo
                                        ; implicit-def: $vgpr9
	s_or_saveexec_b32 s36, s36
	v_mov_b32_e32 v8, s35
	s_xor_b32 exec_lo, exec_lo, s36
	s_cbranch_execz .LBB4_443
.LBB4_1018:                             ;   in Loop: Header=BB4_144 Depth=3
	v_cmp_ne_u16_e32 vcc_lo, 0, v9
	v_mov_b32_e32 v8, 0
	s_and_not1_b32 s13, s13, exec_lo
	s_and_b32 vcc_lo, vcc_lo, exec_lo
	s_delay_alu instid0(SALU_CYCLE_1)
	s_or_b32 s13, s13, vcc_lo
	s_or_b32 exec_lo, exec_lo, s36
	s_and_saveexec_b32 s35, s13
	s_cbranch_execnz .LBB4_444
	s_branch .LBB4_445
.LBB4_1019:                             ;   in Loop: Header=BB4_144 Depth=3
	s_mov_b32 s13, -1
	s_mov_b32 s37, exec_lo
                                        ; implicit-def: $sgpr35
	v_cmpx_eq_u16_e32 0x80, v8
; %bb.1020:                             ;   in Loop: Header=BB4_144 Depth=3
	s_mov_b32 s35, 0x7f800001
	s_xor_b32 s13, exec_lo, -1
; %bb.1021:                             ;   in Loop: Header=BB4_144 Depth=3
	s_or_b32 exec_lo, exec_lo, s37
	s_delay_alu instid0(SALU_CYCLE_1)
	s_and_b32 s13, s13, exec_lo
	s_or_saveexec_b32 s36, s36
	v_mov_b32_e32 v9, s35
	s_xor_b32 exec_lo, exec_lo, s36
	s_cbranch_execz .LBB4_455
.LBB4_1022:                             ;   in Loop: Header=BB4_144 Depth=3
	v_cmp_ne_u16_e32 vcc_lo, 0, v8
	v_mov_b32_e32 v9, 0
	s_and_not1_b32 s13, s13, exec_lo
	s_and_b32 vcc_lo, vcc_lo, exec_lo
	s_delay_alu instid0(SALU_CYCLE_1)
	s_or_b32 s13, s13, vcc_lo
	s_or_b32 exec_lo, exec_lo, s36
	s_and_saveexec_b32 s35, s13
	s_cbranch_execnz .LBB4_456
	s_branch .LBB4_457
.LBB4_1023:                             ;   in Loop: Header=BB4_144 Depth=3
	s_mov_b32 s13, -1
	s_mov_b32 s37, exec_lo
                                        ; implicit-def: $sgpr35
	v_cmpx_eq_u16_e32 0x80, v68
; %bb.1024:                             ;   in Loop: Header=BB4_144 Depth=3
	s_mov_b32 s35, 0x7f800001
	s_xor_b32 s13, exec_lo, -1
; %bb.1025:                             ;   in Loop: Header=BB4_144 Depth=3
	s_or_b32 exec_lo, exec_lo, s37
	s_delay_alu instid0(SALU_CYCLE_1)
	s_and_b32 s13, s13, exec_lo
                                        ; implicit-def: $vgpr68
	s_or_saveexec_b32 s36, s36
	v_mov_b32_e32 v9, s35
	s_xor_b32 exec_lo, exec_lo, s36
	s_cbranch_execz .LBB4_467
.LBB4_1026:                             ;   in Loop: Header=BB4_144 Depth=3
	v_cmp_ne_u16_e32 vcc_lo, 0, v68
	v_mov_b32_e32 v9, 0
	s_and_not1_b32 s13, s13, exec_lo
	s_and_b32 vcc_lo, vcc_lo, exec_lo
	s_delay_alu instid0(SALU_CYCLE_1)
	s_or_b32 s13, s13, vcc_lo
	s_or_b32 exec_lo, exec_lo, s36
	s_and_saveexec_b32 s35, s13
	s_cbranch_execnz .LBB4_468
	s_branch .LBB4_469
.LBB4_1027:                             ;   in Loop: Header=BB4_144 Depth=3
	s_mov_b32 s13, -1
	s_mov_b32 s37, exec_lo
                                        ; implicit-def: $sgpr35
	v_cmpx_eq_u16_e32 0x80, v8
; %bb.1028:                             ;   in Loop: Header=BB4_144 Depth=3
	s_mov_b32 s35, 0x7f800001
	s_xor_b32 s13, exec_lo, -1
; %bb.1029:                             ;   in Loop: Header=BB4_144 Depth=3
	s_or_b32 exec_lo, exec_lo, s37
	s_delay_alu instid0(SALU_CYCLE_1)
	s_and_b32 s13, s13, exec_lo
	s_or_saveexec_b32 s36, s36
	v_mov_b32_e32 v9, s35
	s_xor_b32 exec_lo, exec_lo, s36
	s_cbranch_execz .LBB4_479
.LBB4_1030:                             ;   in Loop: Header=BB4_144 Depth=3
	v_cmp_ne_u16_e32 vcc_lo, 0, v8
	v_mov_b32_e32 v9, 0
	s_and_not1_b32 s13, s13, exec_lo
	s_and_b32 vcc_lo, vcc_lo, exec_lo
	s_delay_alu instid0(SALU_CYCLE_1)
	s_or_b32 s13, s13, vcc_lo
	s_or_b32 exec_lo, exec_lo, s36
	s_and_saveexec_b32 s35, s13
	s_cbranch_execnz .LBB4_480
	s_branch .LBB4_481
.LBB4_1031:                             ;   in Loop: Header=BB4_144 Depth=3
	s_mov_b32 s13, -1
	s_mov_b32 s37, exec_lo
                                        ; implicit-def: $sgpr35
	v_cmpx_eq_u16_e32 0x80, v9
; %bb.1032:                             ;   in Loop: Header=BB4_144 Depth=3
	s_mov_b32 s35, 0x7f800001
	s_xor_b32 s13, exec_lo, -1
; %bb.1033:                             ;   in Loop: Header=BB4_144 Depth=3
	s_or_b32 exec_lo, exec_lo, s37
	s_delay_alu instid0(SALU_CYCLE_1)
	s_and_b32 s13, s13, exec_lo
                                        ; implicit-def: $vgpr9
	s_or_saveexec_b32 s36, s36
	v_mov_b32_e32 v8, s35
	s_xor_b32 exec_lo, exec_lo, s36
	s_cbranch_execz .LBB4_491
.LBB4_1034:                             ;   in Loop: Header=BB4_144 Depth=3
	v_cmp_ne_u16_e32 vcc_lo, 0, v9
	v_mov_b32_e32 v8, 0
	s_and_not1_b32 s13, s13, exec_lo
	s_and_b32 vcc_lo, vcc_lo, exec_lo
	s_delay_alu instid0(SALU_CYCLE_1)
	s_or_b32 s13, s13, vcc_lo
	s_or_b32 exec_lo, exec_lo, s36
	s_and_saveexec_b32 s35, s13
	s_cbranch_execnz .LBB4_492
	s_branch .LBB4_493
.LBB4_1035:                             ;   in Loop: Header=BB4_144 Depth=3
	s_mov_b32 s13, -1
	s_mov_b32 s37, exec_lo
                                        ; implicit-def: $sgpr35
	v_cmpx_eq_u16_e32 0x80, v8
; %bb.1036:                             ;   in Loop: Header=BB4_144 Depth=3
	s_mov_b32 s35, 0x7f800001
	s_xor_b32 s13, exec_lo, -1
; %bb.1037:                             ;   in Loop: Header=BB4_144 Depth=3
	s_or_b32 exec_lo, exec_lo, s37
	s_delay_alu instid0(SALU_CYCLE_1)
	s_and_b32 s13, s13, exec_lo
	s_or_saveexec_b32 s36, s36
	v_mov_b32_e32 v9, s35
	s_xor_b32 exec_lo, exec_lo, s36
	s_cbranch_execz .LBB4_503
.LBB4_1038:                             ;   in Loop: Header=BB4_144 Depth=3
	v_cmp_ne_u16_e32 vcc_lo, 0, v8
	v_mov_b32_e32 v9, 0
	s_and_not1_b32 s13, s13, exec_lo
	s_and_b32 vcc_lo, vcc_lo, exec_lo
	s_delay_alu instid0(SALU_CYCLE_1)
	s_or_b32 s13, s13, vcc_lo
	s_or_b32 exec_lo, exec_lo, s36
	s_and_saveexec_b32 s35, s13
	s_cbranch_execnz .LBB4_504
	s_branch .LBB4_505
.LBB4_1039:                             ;   in Loop: Header=BB4_144 Depth=3
	s_mov_b32 s13, -1
	s_mov_b32 s37, exec_lo
                                        ; implicit-def: $sgpr35
	v_cmpx_eq_u16_e32 0x80, v10
; %bb.1040:                             ;   in Loop: Header=BB4_144 Depth=3
	s_mov_b32 s35, 0x7f800001
	s_xor_b32 s13, exec_lo, -1
; %bb.1041:                             ;   in Loop: Header=BB4_144 Depth=3
	s_or_b32 exec_lo, exec_lo, s37
	s_delay_alu instid0(SALU_CYCLE_1)
	s_and_b32 s13, s13, exec_lo
                                        ; implicit-def: $vgpr10
	s_or_saveexec_b32 s36, s36
	v_mov_b32_e32 v9, s35
	s_xor_b32 exec_lo, exec_lo, s36
	s_cbranch_execz .LBB4_515
.LBB4_1042:                             ;   in Loop: Header=BB4_144 Depth=3
	v_cmp_ne_u16_e32 vcc_lo, 0, v10
	v_mov_b32_e32 v9, 0
	s_and_not1_b32 s13, s13, exec_lo
	s_and_b32 vcc_lo, vcc_lo, exec_lo
	s_delay_alu instid0(SALU_CYCLE_1)
	s_or_b32 s13, s13, vcc_lo
	s_or_b32 exec_lo, exec_lo, s36
	s_and_saveexec_b32 s35, s13
	s_cbranch_execnz .LBB4_516
	s_branch .LBB4_517
.LBB4_1043:                             ;   in Loop: Header=BB4_144 Depth=3
	s_mov_b32 s13, -1
	s_mov_b32 s37, exec_lo
                                        ; implicit-def: $sgpr35
	v_cmpx_eq_u16_e32 0x80, v8
; %bb.1044:                             ;   in Loop: Header=BB4_144 Depth=3
	s_mov_b32 s35, 0x7f800001
	s_xor_b32 s13, exec_lo, -1
; %bb.1045:                             ;   in Loop: Header=BB4_144 Depth=3
	s_or_b32 exec_lo, exec_lo, s37
	s_delay_alu instid0(SALU_CYCLE_1)
	s_and_b32 s13, s13, exec_lo
	s_or_saveexec_b32 s36, s36
	v_mov_b32_e32 v9, s35
	s_xor_b32 exec_lo, exec_lo, s36
	s_cbranch_execz .LBB4_527
.LBB4_1046:                             ;   in Loop: Header=BB4_144 Depth=3
	v_cmp_ne_u16_e32 vcc_lo, 0, v8
	v_mov_b32_e32 v9, 0
	s_and_not1_b32 s13, s13, exec_lo
	s_and_b32 vcc_lo, vcc_lo, exec_lo
	s_delay_alu instid0(SALU_CYCLE_1)
	s_or_b32 s13, s13, vcc_lo
	s_or_b32 exec_lo, exec_lo, s36
	s_and_saveexec_b32 s35, s13
	s_cbranch_execnz .LBB4_528
	s_branch .LBB4_529
.LBB4_1047:                             ;   in Loop: Header=BB4_144 Depth=3
	s_mov_b32 s13, -1
	s_mov_b32 s37, exec_lo
                                        ; implicit-def: $sgpr35
	v_cmpx_eq_u16_e32 0x80, v41
; %bb.1048:                             ;   in Loop: Header=BB4_144 Depth=3
	s_mov_b32 s35, 0x7f800001
	s_xor_b32 s13, exec_lo, -1
; %bb.1049:                             ;   in Loop: Header=BB4_144 Depth=3
	s_or_b32 exec_lo, exec_lo, s37
	s_delay_alu instid0(SALU_CYCLE_1)
	s_and_b32 s13, s13, exec_lo
                                        ; implicit-def: $vgpr41
	s_or_saveexec_b32 s36, s36
	v_mov_b32_e32 v68, s35
	s_xor_b32 exec_lo, exec_lo, s36
	s_cbranch_execz .LBB4_539
.LBB4_1050:                             ;   in Loop: Header=BB4_144 Depth=3
	v_cmp_ne_u16_e32 vcc_lo, 0, v41
	v_mov_b32_e32 v68, 0
	s_and_not1_b32 s13, s13, exec_lo
	s_and_b32 vcc_lo, vcc_lo, exec_lo
	s_delay_alu instid0(SALU_CYCLE_1)
	s_or_b32 s13, s13, vcc_lo
	s_or_b32 exec_lo, exec_lo, s36
	s_and_saveexec_b32 s35, s13
	s_cbranch_execnz .LBB4_540
	s_branch .LBB4_541
.LBB4_1051:                             ;   in Loop: Header=BB4_144 Depth=3
	s_mov_b32 s13, -1
	s_mov_b32 s37, exec_lo
                                        ; implicit-def: $sgpr35
	v_cmpx_eq_u16_e32 0x80, v68
; %bb.1052:                             ;   in Loop: Header=BB4_144 Depth=3
	s_mov_b32 s35, 0x7f800001
	s_xor_b32 s13, exec_lo, -1
; %bb.1053:                             ;   in Loop: Header=BB4_144 Depth=3
	s_or_b32 exec_lo, exec_lo, s37
	s_delay_alu instid0(SALU_CYCLE_1)
	s_and_b32 s13, s13, exec_lo
	s_or_saveexec_b32 s36, s36
	v_mov_b32_e32 v42, s35
	s_xor_b32 exec_lo, exec_lo, s36
	s_cbranch_execz .LBB4_551
.LBB4_1054:                             ;   in Loop: Header=BB4_144 Depth=3
	v_cmp_ne_u16_e32 vcc_lo, 0, v68
	v_mov_b32_e32 v42, 0
	s_and_not1_b32 s13, s13, exec_lo
	s_and_b32 vcc_lo, vcc_lo, exec_lo
	s_delay_alu instid0(SALU_CYCLE_1)
	s_or_b32 s13, s13, vcc_lo
	s_or_b32 exec_lo, exec_lo, s36
	s_and_saveexec_b32 s35, s13
	s_cbranch_execnz .LBB4_552
	s_branch .LBB4_553
.LBB4_1055:                             ;   in Loop: Header=BB4_144 Depth=3
	s_mov_b32 s13, -1
	s_mov_b32 s37, exec_lo
                                        ; implicit-def: $sgpr35
	v_cmpx_eq_u16_e32 0x80, v44
; %bb.1056:                             ;   in Loop: Header=BB4_144 Depth=3
	s_mov_b32 s35, 0x7f800001
	s_xor_b32 s13, exec_lo, -1
; %bb.1057:                             ;   in Loop: Header=BB4_144 Depth=3
	s_or_b32 exec_lo, exec_lo, s37
	s_delay_alu instid0(SALU_CYCLE_1)
	s_and_b32 s13, s13, exec_lo
                                        ; implicit-def: $vgpr44
	s_or_saveexec_b32 s36, s36
	v_mov_b32_e32 v43, s35
	s_xor_b32 exec_lo, exec_lo, s36
	s_cbranch_execz .LBB4_563
.LBB4_1058:                             ;   in Loop: Header=BB4_144 Depth=3
	v_cmp_ne_u16_e32 vcc_lo, 0, v44
	v_mov_b32_e32 v43, 0
	s_and_not1_b32 s13, s13, exec_lo
	s_and_b32 vcc_lo, vcc_lo, exec_lo
	s_delay_alu instid0(SALU_CYCLE_1)
	s_or_b32 s13, s13, vcc_lo
	s_or_b32 exec_lo, exec_lo, s36
	s_and_saveexec_b32 s35, s13
	s_cbranch_execnz .LBB4_564
	s_branch .LBB4_565
.LBB4_1059:                             ;   in Loop: Header=BB4_144 Depth=3
	s_mov_b32 s13, -1
	s_mov_b32 s37, exec_lo
                                        ; implicit-def: $sgpr35
	v_cmpx_eq_u16_e32 0x80, v68
; %bb.1060:                             ;   in Loop: Header=BB4_144 Depth=3
	s_mov_b32 s35, 0x7f800001
	s_xor_b32 s13, exec_lo, -1
; %bb.1061:                             ;   in Loop: Header=BB4_144 Depth=3
	s_or_b32 exec_lo, exec_lo, s37
	s_delay_alu instid0(SALU_CYCLE_1)
	s_and_b32 s13, s13, exec_lo
	s_or_saveexec_b32 s36, s36
	v_mov_b32_e32 v44, s35
	s_xor_b32 exec_lo, exec_lo, s36
	s_cbranch_execz .LBB4_575
.LBB4_1062:                             ;   in Loop: Header=BB4_144 Depth=3
	v_cmp_ne_u16_e32 vcc_lo, 0, v68
	v_mov_b32_e32 v44, 0
	s_and_not1_b32 s13, s13, exec_lo
	s_and_b32 vcc_lo, vcc_lo, exec_lo
	s_delay_alu instid0(SALU_CYCLE_1)
	s_or_b32 s13, s13, vcc_lo
	s_or_b32 exec_lo, exec_lo, s36
	s_and_saveexec_b32 s35, s13
	s_cbranch_execnz .LBB4_576
	s_branch .LBB4_577
.LBB4_1063:                             ;   in Loop: Header=BB4_144 Depth=3
	s_mov_b32 s13, -1
	s_mov_b32 s37, exec_lo
                                        ; implicit-def: $sgpr35
	v_cmpx_eq_u16_e32 0x80, v68
; %bb.1064:                             ;   in Loop: Header=BB4_144 Depth=3
	s_mov_b32 s35, 0x7f800001
	s_xor_b32 s13, exec_lo, -1
; %bb.1065:                             ;   in Loop: Header=BB4_144 Depth=3
	s_or_b32 exec_lo, exec_lo, s37
	s_delay_alu instid0(SALU_CYCLE_1)
	s_and_b32 s13, s13, exec_lo
                                        ; implicit-def: $vgpr68
	s_or_saveexec_b32 s36, s36
	v_mov_b32_e32 v8, s35
	s_xor_b32 exec_lo, exec_lo, s36
	s_cbranch_execz .LBB4_587
.LBB4_1066:                             ;   in Loop: Header=BB4_144 Depth=3
	v_cmp_ne_u16_e32 vcc_lo, 0, v68
	v_mov_b32_e32 v8, 0
	s_and_not1_b32 s13, s13, exec_lo
	s_and_b32 vcc_lo, vcc_lo, exec_lo
	s_delay_alu instid0(SALU_CYCLE_1)
	s_or_b32 s13, s13, vcc_lo
	s_or_b32 exec_lo, exec_lo, s36
	s_and_saveexec_b32 s35, s13
	s_cbranch_execnz .LBB4_588
	s_branch .LBB4_589
.LBB4_1067:                             ;   in Loop: Header=BB4_144 Depth=3
	s_mov_b32 s13, -1
	s_mov_b32 s37, exec_lo
                                        ; implicit-def: $sgpr35
	v_cmpx_eq_u16_e32 0x80, v8
; %bb.1068:                             ;   in Loop: Header=BB4_144 Depth=3
	s_mov_b32 s35, 0x7f800001
	s_xor_b32 s13, exec_lo, -1
; %bb.1069:                             ;   in Loop: Header=BB4_144 Depth=3
	s_or_b32 exec_lo, exec_lo, s37
	s_delay_alu instid0(SALU_CYCLE_1)
	s_and_b32 s13, s13, exec_lo
	s_or_saveexec_b32 s36, s36
	v_mov_b32_e32 v68, s35
	s_xor_b32 exec_lo, exec_lo, s36
	s_cbranch_execz .LBB4_599
.LBB4_1070:                             ;   in Loop: Header=BB4_144 Depth=3
	v_cmp_ne_u16_e32 vcc_lo, 0, v8
	v_mov_b32_e32 v68, 0
	s_and_not1_b32 s13, s13, exec_lo
	s_and_b32 vcc_lo, vcc_lo, exec_lo
	s_delay_alu instid0(SALU_CYCLE_1)
	s_or_b32 s13, s13, vcc_lo
	s_or_b32 exec_lo, exec_lo, s36
	s_and_saveexec_b32 s35, s13
	s_cbranch_execnz .LBB4_600
	s_branch .LBB4_601
.LBB4_1071:                             ;   in Loop: Header=BB4_144 Depth=3
	s_mov_b32 s13, -1
	s_mov_b32 s37, exec_lo
                                        ; implicit-def: $sgpr35
	v_cmpx_eq_u16_e32 0x80, v47
; %bb.1072:                             ;   in Loop: Header=BB4_144 Depth=3
	s_mov_b32 s35, 0x7f800001
	s_xor_b32 s13, exec_lo, -1
; %bb.1073:                             ;   in Loop: Header=BB4_144 Depth=3
	s_or_b32 exec_lo, exec_lo, s37
	s_delay_alu instid0(SALU_CYCLE_1)
	s_and_b32 s13, s13, exec_lo
                                        ; implicit-def: $vgpr47
	s_or_saveexec_b32 s36, s36
	v_mov_b32_e32 v68, s35
	s_xor_b32 exec_lo, exec_lo, s36
	s_cbranch_execz .LBB4_611
.LBB4_1074:                             ;   in Loop: Header=BB4_144 Depth=3
	v_cmp_ne_u16_e32 vcc_lo, 0, v47
	v_mov_b32_e32 v68, 0
	s_and_not1_b32 s13, s13, exec_lo
	s_and_b32 vcc_lo, vcc_lo, exec_lo
	s_delay_alu instid0(SALU_CYCLE_1)
	s_or_b32 s13, s13, vcc_lo
	s_or_b32 exec_lo, exec_lo, s36
	s_and_saveexec_b32 s35, s13
	s_cbranch_execnz .LBB4_612
	s_branch .LBB4_613
.LBB4_1075:                             ;   in Loop: Header=BB4_144 Depth=3
	s_mov_b32 s13, -1
	s_mov_b32 s37, exec_lo
                                        ; implicit-def: $sgpr35
	v_cmpx_eq_u16_e32 0x80, v8
; %bb.1076:                             ;   in Loop: Header=BB4_144 Depth=3
	s_mov_b32 s35, 0x7f800001
	s_xor_b32 s13, exec_lo, -1
; %bb.1077:                             ;   in Loop: Header=BB4_144 Depth=3
	s_or_b32 exec_lo, exec_lo, s37
	s_delay_alu instid0(SALU_CYCLE_1)
	s_and_b32 s13, s13, exec_lo
	s_or_saveexec_b32 s36, s36
	v_mov_b32_e32 v47, s35
	s_xor_b32 exec_lo, exec_lo, s36
	s_cbranch_execz .LBB4_623
.LBB4_1078:                             ;   in Loop: Header=BB4_144 Depth=3
	v_cmp_ne_u16_e32 vcc_lo, 0, v8
	v_mov_b32_e32 v47, 0
	s_and_not1_b32 s13, s13, exec_lo
	s_and_b32 vcc_lo, vcc_lo, exec_lo
	s_delay_alu instid0(SALU_CYCLE_1)
	s_or_b32 s13, s13, vcc_lo
	s_or_b32 exec_lo, exec_lo, s36
	s_and_saveexec_b32 s35, s13
	s_cbranch_execnz .LBB4_624
	s_branch .LBB4_625
.LBB4_1079:                             ;   in Loop: Header=BB4_144 Depth=3
	s_mov_b32 s13, -1
	s_mov_b32 s37, exec_lo
                                        ; implicit-def: $sgpr35
	v_cmpx_eq_u16_e32 0x80, v9
; %bb.1080:                             ;   in Loop: Header=BB4_144 Depth=3
	s_mov_b32 s35, 0x7f800001
	s_xor_b32 s13, exec_lo, -1
; %bb.1081:                             ;   in Loop: Header=BB4_144 Depth=3
	s_or_b32 exec_lo, exec_lo, s37
	s_delay_alu instid0(SALU_CYCLE_1)
	s_and_b32 s13, s13, exec_lo
                                        ; implicit-def: $vgpr9
	s_or_saveexec_b32 s36, s36
	v_mov_b32_e32 v8, s35
	s_xor_b32 exec_lo, exec_lo, s36
	s_cbranch_execz .LBB4_635
.LBB4_1082:                             ;   in Loop: Header=BB4_144 Depth=3
	v_cmp_ne_u16_e32 vcc_lo, 0, v9
	v_mov_b32_e32 v8, 0
	s_and_not1_b32 s13, s13, exec_lo
	s_and_b32 vcc_lo, vcc_lo, exec_lo
	s_delay_alu instid0(SALU_CYCLE_1)
	s_or_b32 s13, s13, vcc_lo
	s_or_b32 exec_lo, exec_lo, s36
	s_and_saveexec_b32 s35, s13
	s_cbranch_execnz .LBB4_636
	s_branch .LBB4_637
.LBB4_1083:                             ;   in Loop: Header=BB4_144 Depth=3
	s_mov_b32 s13, -1
	s_mov_b32 s37, exec_lo
                                        ; implicit-def: $sgpr35
	v_cmpx_eq_u16_e32 0x80, v8
; %bb.1084:                             ;   in Loop: Header=BB4_144 Depth=3
	s_mov_b32 s35, 0x7f800001
	s_xor_b32 s13, exec_lo, -1
; %bb.1085:                             ;   in Loop: Header=BB4_144 Depth=3
	s_or_b32 exec_lo, exec_lo, s37
	s_delay_alu instid0(SALU_CYCLE_1)
	s_and_b32 s13, s13, exec_lo
	s_or_saveexec_b32 s36, s36
	v_mov_b32_e32 v9, s35
	s_xor_b32 exec_lo, exec_lo, s36
	s_cbranch_execz .LBB4_647
.LBB4_1086:                             ;   in Loop: Header=BB4_144 Depth=3
	v_cmp_ne_u16_e32 vcc_lo, 0, v8
	v_mov_b32_e32 v9, 0
	s_and_not1_b32 s13, s13, exec_lo
	s_and_b32 vcc_lo, vcc_lo, exec_lo
	s_delay_alu instid0(SALU_CYCLE_1)
	s_or_b32 s13, s13, vcc_lo
	s_or_b32 exec_lo, exec_lo, s36
	s_and_saveexec_b32 s35, s13
	s_cbranch_execnz .LBB4_648
	s_branch .LBB4_649
.LBB4_1087:                             ;   in Loop: Header=BB4_144 Depth=3
	s_mov_b32 s13, -1
	s_mov_b32 s37, exec_lo
                                        ; implicit-def: $sgpr35
	v_cmpx_eq_u16_e32 0x80, v58
; %bb.1088:                             ;   in Loop: Header=BB4_144 Depth=3
	s_mov_b32 s35, 0x7f800001
	s_xor_b32 s13, exec_lo, -1
; %bb.1089:                             ;   in Loop: Header=BB4_144 Depth=3
	s_or_b32 exec_lo, exec_lo, s37
	s_delay_alu instid0(SALU_CYCLE_1)
	s_and_b32 s13, s13, exec_lo
                                        ; implicit-def: $vgpr58
	s_or_saveexec_b32 s36, s36
	v_mov_b32_e32 v9, s35
	s_xor_b32 exec_lo, exec_lo, s36
	s_cbranch_execz .LBB4_659
.LBB4_1090:                             ;   in Loop: Header=BB4_144 Depth=3
	v_cmp_ne_u16_e32 vcc_lo, 0, v58
	v_mov_b32_e32 v9, 0
	s_and_not1_b32 s13, s13, exec_lo
	s_and_b32 vcc_lo, vcc_lo, exec_lo
	s_delay_alu instid0(SALU_CYCLE_1)
	s_or_b32 s13, s13, vcc_lo
	s_or_b32 exec_lo, exec_lo, s36
	s_and_saveexec_b32 s35, s13
	s_cbranch_execnz .LBB4_660
	s_branch .LBB4_661
.LBB4_1091:                             ;   in Loop: Header=BB4_144 Depth=3
	s_mov_b32 s13, -1
	s_mov_b32 s37, exec_lo
                                        ; implicit-def: $sgpr35
	v_cmpx_eq_u16_e32 0x80, v8
; %bb.1092:                             ;   in Loop: Header=BB4_144 Depth=3
	s_mov_b32 s35, 0x7f800001
	s_xor_b32 s13, exec_lo, -1
; %bb.1093:                             ;   in Loop: Header=BB4_144 Depth=3
	s_or_b32 exec_lo, exec_lo, s37
	s_delay_alu instid0(SALU_CYCLE_1)
	s_and_b32 s13, s13, exec_lo
	s_or_saveexec_b32 s36, s36
	v_mov_b32_e32 v9, s35
	s_xor_b32 exec_lo, exec_lo, s36
	s_cbranch_execz .LBB4_671
.LBB4_1094:                             ;   in Loop: Header=BB4_144 Depth=3
	v_cmp_ne_u16_e32 vcc_lo, 0, v8
	v_mov_b32_e32 v9, 0
	s_and_not1_b32 s13, s13, exec_lo
	s_and_b32 vcc_lo, vcc_lo, exec_lo
	s_delay_alu instid0(SALU_CYCLE_1)
	s_or_b32 s13, s13, vcc_lo
	s_or_b32 exec_lo, exec_lo, s36
	s_and_saveexec_b32 s35, s13
	s_cbranch_execnz .LBB4_672
	s_branch .LBB4_673
.LBB4_1095:                             ;   in Loop: Header=BB4_144 Depth=3
	s_mov_b32 s13, -1
	s_mov_b32 s37, exec_lo
                                        ; implicit-def: $sgpr35
	v_cmpx_eq_u16_e32 0x80, v9
; %bb.1096:                             ;   in Loop: Header=BB4_144 Depth=3
	s_mov_b32 s35, 0x7f800001
	s_xor_b32 s13, exec_lo, -1
; %bb.1097:                             ;   in Loop: Header=BB4_144 Depth=3
	s_or_b32 exec_lo, exec_lo, s37
	s_delay_alu instid0(SALU_CYCLE_1)
	s_and_b32 s13, s13, exec_lo
                                        ; implicit-def: $vgpr9
	s_or_saveexec_b32 s36, s36
	v_mov_b32_e32 v8, s35
	s_xor_b32 exec_lo, exec_lo, s36
	s_cbranch_execz .LBB4_683
.LBB4_1098:                             ;   in Loop: Header=BB4_144 Depth=3
	v_cmp_ne_u16_e32 vcc_lo, 0, v9
	v_mov_b32_e32 v8, 0
	s_and_not1_b32 s13, s13, exec_lo
	s_and_b32 vcc_lo, vcc_lo, exec_lo
	s_delay_alu instid0(SALU_CYCLE_1)
	s_or_b32 s13, s13, vcc_lo
	s_or_b32 exec_lo, exec_lo, s36
	s_and_saveexec_b32 s35, s13
	s_cbranch_execnz .LBB4_684
	s_branch .LBB4_685
.LBB4_1099:                             ;   in Loop: Header=BB4_144 Depth=3
	s_mov_b32 s13, -1
	s_mov_b32 s37, exec_lo
                                        ; implicit-def: $sgpr35
	v_cmpx_eq_u16_e32 0x80, v8
; %bb.1100:                             ;   in Loop: Header=BB4_144 Depth=3
	s_mov_b32 s35, 0x7f800001
	s_xor_b32 s13, exec_lo, -1
; %bb.1101:                             ;   in Loop: Header=BB4_144 Depth=3
	s_or_b32 exec_lo, exec_lo, s37
	s_delay_alu instid0(SALU_CYCLE_1)
	s_and_b32 s13, s13, exec_lo
	s_or_saveexec_b32 s36, s36
	v_mov_b32_e32 v9, s35
	s_xor_b32 exec_lo, exec_lo, s36
	s_cbranch_execz .LBB4_695
.LBB4_1102:                             ;   in Loop: Header=BB4_144 Depth=3
	v_cmp_ne_u16_e32 vcc_lo, 0, v8
	v_mov_b32_e32 v9, 0
	s_and_not1_b32 s13, s13, exec_lo
	s_and_b32 vcc_lo, vcc_lo, exec_lo
	s_delay_alu instid0(SALU_CYCLE_1)
	s_or_b32 s13, s13, vcc_lo
	s_or_b32 exec_lo, exec_lo, s36
	s_and_saveexec_b32 s35, s13
	s_cbranch_execnz .LBB4_696
	s_branch .LBB4_697
.LBB4_1103:                             ;   in Loop: Header=BB4_144 Depth=3
	s_mov_b32 s13, -1
	s_mov_b32 s37, exec_lo
                                        ; implicit-def: $sgpr35
	v_cmpx_eq_u16_e32 0x80, v10
; %bb.1104:                             ;   in Loop: Header=BB4_144 Depth=3
	s_mov_b32 s35, 0x7f800001
	s_xor_b32 s13, exec_lo, -1
; %bb.1105:                             ;   in Loop: Header=BB4_144 Depth=3
	s_or_b32 exec_lo, exec_lo, s37
	s_delay_alu instid0(SALU_CYCLE_1)
	s_and_b32 s13, s13, exec_lo
                                        ; implicit-def: $vgpr10
	s_or_saveexec_b32 s36, s36
	v_mov_b32_e32 v9, s35
	s_xor_b32 exec_lo, exec_lo, s36
	s_cbranch_execz .LBB4_707
.LBB4_1106:                             ;   in Loop: Header=BB4_144 Depth=3
	v_cmp_ne_u16_e32 vcc_lo, 0, v10
	v_mov_b32_e32 v9, 0
	s_and_not1_b32 s13, s13, exec_lo
	s_and_b32 vcc_lo, vcc_lo, exec_lo
	s_delay_alu instid0(SALU_CYCLE_1)
	s_or_b32 s13, s13, vcc_lo
	s_or_b32 exec_lo, exec_lo, s36
	s_and_saveexec_b32 s35, s13
	s_cbranch_execnz .LBB4_708
	s_branch .LBB4_709
.LBB4_1107:                             ;   in Loop: Header=BB4_144 Depth=3
	s_mov_b32 s13, -1
	s_mov_b32 s37, exec_lo
                                        ; implicit-def: $sgpr35
	v_cmpx_eq_u16_e32 0x80, v8
; %bb.1108:                             ;   in Loop: Header=BB4_144 Depth=3
	s_mov_b32 s35, 0x7f800001
	s_xor_b32 s13, exec_lo, -1
; %bb.1109:                             ;   in Loop: Header=BB4_144 Depth=3
	s_or_b32 exec_lo, exec_lo, s37
	s_delay_alu instid0(SALU_CYCLE_1)
	s_and_b32 s13, s13, exec_lo
	s_or_saveexec_b32 s36, s36
	v_mov_b32_e32 v9, s35
	s_xor_b32 exec_lo, exec_lo, s36
	s_cbranch_execz .LBB4_719
.LBB4_1110:                             ;   in Loop: Header=BB4_144 Depth=3
	v_cmp_ne_u16_e32 vcc_lo, 0, v8
	v_mov_b32_e32 v9, 0
	s_and_not1_b32 s13, s13, exec_lo
	s_and_b32 vcc_lo, vcc_lo, exec_lo
	s_delay_alu instid0(SALU_CYCLE_1)
	s_or_b32 s13, s13, vcc_lo
	s_or_b32 exec_lo, exec_lo, s36
	s_and_saveexec_b32 s35, s13
	s_cbranch_execnz .LBB4_720
	s_branch .LBB4_721
.LBB4_1111:                             ;   in Loop: Header=BB4_144 Depth=3
	s_mov_b32 s13, -1
	s_mov_b32 s37, exec_lo
                                        ; implicit-def: $sgpr35
	v_cmpx_eq_u16_e32 0x80, v65
; %bb.1112:                             ;   in Loop: Header=BB4_144 Depth=3
	s_mov_b32 s35, 0x7f800001
	s_xor_b32 s13, exec_lo, -1
; %bb.1113:                             ;   in Loop: Header=BB4_144 Depth=3
	s_or_b32 exec_lo, exec_lo, s37
	s_delay_alu instid0(SALU_CYCLE_1)
	s_and_b32 s13, s13, exec_lo
                                        ; implicit-def: $vgpr65
	s_or_saveexec_b32 s36, s36
	v_mov_b32_e32 v64, s35
	s_xor_b32 exec_lo, exec_lo, s36
	s_cbranch_execz .LBB4_731
.LBB4_1114:                             ;   in Loop: Header=BB4_144 Depth=3
	v_cmp_ne_u16_e32 vcc_lo, 0, v65
	v_mov_b32_e32 v64, 0
	s_and_not1_b32 s13, s13, exec_lo
	s_and_b32 vcc_lo, vcc_lo, exec_lo
	s_delay_alu instid0(SALU_CYCLE_1)
	s_or_b32 s13, s13, vcc_lo
	s_or_b32 exec_lo, exec_lo, s36
	s_and_saveexec_b32 s35, s13
	s_cbranch_execnz .LBB4_732
	s_branch .LBB4_733
.LBB4_1115:                             ;   in Loop: Header=BB4_144 Depth=3
	s_mov_b32 s13, -1
	s_mov_b32 s37, exec_lo
                                        ; implicit-def: $sgpr35
	v_cmpx_eq_u16_e32 0x80, v65
; %bb.1116:                             ;   in Loop: Header=BB4_144 Depth=3
	s_mov_b32 s35, 0x7f800001
	s_xor_b32 s13, exec_lo, -1
; %bb.1117:                             ;   in Loop: Header=BB4_144 Depth=3
	s_or_b32 exec_lo, exec_lo, s37
	s_delay_alu instid0(SALU_CYCLE_1)
	s_and_b32 s13, s13, exec_lo
	s_or_saveexec_b32 s36, s36
	v_mov_b32_e32 v73, s35
	s_xor_b32 exec_lo, exec_lo, s36
	s_cbranch_execz .LBB4_743
.LBB4_1118:                             ;   in Loop: Header=BB4_144 Depth=3
	v_cmp_ne_u16_e32 vcc_lo, 0, v65
	v_mov_b32_e32 v73, 0
	s_and_not1_b32 s13, s13, exec_lo
	s_and_b32 vcc_lo, vcc_lo, exec_lo
	s_delay_alu instid0(SALU_CYCLE_1)
	s_or_b32 s13, s13, vcc_lo
	s_or_b32 exec_lo, exec_lo, s36
	s_and_saveexec_b32 s35, s13
	s_cbranch_execnz .LBB4_744
	s_branch .LBB4_745
.LBB4_1119:                             ;   in Loop: Header=BB4_144 Depth=3
	s_mov_b32 s13, -1
	s_mov_b32 s37, exec_lo
                                        ; implicit-def: $sgpr35
	v_cmpx_eq_u16_e32 0x80, v75
; %bb.1120:                             ;   in Loop: Header=BB4_144 Depth=3
	s_mov_b32 s35, 0x7f800001
	s_xor_b32 s13, exec_lo, -1
; %bb.1121:                             ;   in Loop: Header=BB4_144 Depth=3
	s_or_b32 exec_lo, exec_lo, s37
	s_delay_alu instid0(SALU_CYCLE_1)
	s_and_b32 s13, s13, exec_lo
                                        ; implicit-def: $vgpr75
	s_or_saveexec_b32 s36, s36
	v_mov_b32_e32 v74, s35
	s_xor_b32 exec_lo, exec_lo, s36
	s_cbranch_execz .LBB4_755
.LBB4_1122:                             ;   in Loop: Header=BB4_144 Depth=3
	v_cmp_ne_u16_e32 vcc_lo, 0, v75
	v_mov_b32_e32 v74, 0
	s_and_not1_b32 s13, s13, exec_lo
	s_and_b32 vcc_lo, vcc_lo, exec_lo
	s_delay_alu instid0(SALU_CYCLE_1)
	s_or_b32 s13, s13, vcc_lo
	s_or_b32 exec_lo, exec_lo, s36
	s_and_saveexec_b32 s35, s13
	s_cbranch_execnz .LBB4_756
	s_branch .LBB4_757
.LBB4_1123:                             ;   in Loop: Header=BB4_144 Depth=3
	s_mov_b32 s13, -1
	s_mov_b32 s37, exec_lo
                                        ; implicit-def: $sgpr35
	v_cmpx_eq_u16_e32 0x80, v74
; %bb.1124:                             ;   in Loop: Header=BB4_144 Depth=3
	s_mov_b32 s35, 0x7f800001
	s_xor_b32 s13, exec_lo, -1
; %bb.1125:                             ;   in Loop: Header=BB4_144 Depth=3
	s_or_b32 exec_lo, exec_lo, s37
	s_delay_alu instid0(SALU_CYCLE_1)
	s_and_b32 s13, s13, exec_lo
	s_or_saveexec_b32 s36, s36
	v_mov_b32_e32 v75, s35
	s_xor_b32 exec_lo, exec_lo, s36
	s_cbranch_execz .LBB4_767
.LBB4_1126:                             ;   in Loop: Header=BB4_144 Depth=3
	v_cmp_ne_u16_e32 vcc_lo, 0, v74
	v_mov_b32_e32 v75, 0
	s_and_not1_b32 s13, s13, exec_lo
	s_and_b32 vcc_lo, vcc_lo, exec_lo
	s_delay_alu instid0(SALU_CYCLE_1)
	s_or_b32 s13, s13, vcc_lo
	s_or_b32 exec_lo, exec_lo, s36
	s_and_saveexec_b32 s35, s13
	s_cbranch_execnz .LBB4_768
	s_branch .LBB4_769
.LBB4_1127:                             ;   in Loop: Header=BB4_144 Depth=3
	s_mov_b32 s13, -1
	s_mov_b32 s37, exec_lo
                                        ; implicit-def: $sgpr35
	v_cmpx_eq_u16_e32 0x80, v75
; %bb.1128:                             ;   in Loop: Header=BB4_144 Depth=3
	s_mov_b32 s35, 0x7f800001
	s_xor_b32 s13, exec_lo, -1
; %bb.1129:                             ;   in Loop: Header=BB4_144 Depth=3
	s_or_b32 exec_lo, exec_lo, s37
	s_delay_alu instid0(SALU_CYCLE_1)
	s_and_b32 s13, s13, exec_lo
                                        ; implicit-def: $vgpr75
	s_or_saveexec_b32 s36, s36
	v_mov_b32_e32 v74, s35
	s_xor_b32 exec_lo, exec_lo, s36
	s_cbranch_execz .LBB4_779
.LBB4_1130:                             ;   in Loop: Header=BB4_144 Depth=3
	v_cmp_ne_u16_e32 vcc_lo, 0, v75
	v_mov_b32_e32 v74, 0
	s_and_not1_b32 s13, s13, exec_lo
	s_and_b32 vcc_lo, vcc_lo, exec_lo
	s_delay_alu instid0(SALU_CYCLE_1)
	s_or_b32 s13, s13, vcc_lo
	s_or_b32 exec_lo, exec_lo, s36
	s_and_saveexec_b32 s35, s13
	s_cbranch_execnz .LBB4_780
	s_branch .LBB4_781
.LBB4_1131:                             ;   in Loop: Header=BB4_144 Depth=3
	s_mov_b32 s13, -1
	s_mov_b32 s37, exec_lo
                                        ; implicit-def: $sgpr35
	v_cmpx_eq_u16_e32 0x80, v75
; %bb.1132:                             ;   in Loop: Header=BB4_144 Depth=3
	s_mov_b32 s35, 0x7f800001
	s_xor_b32 s13, exec_lo, -1
; %bb.1133:                             ;   in Loop: Header=BB4_144 Depth=3
	s_or_b32 exec_lo, exec_lo, s37
	s_delay_alu instid0(SALU_CYCLE_1)
	s_and_b32 s13, s13, exec_lo
	s_or_saveexec_b32 s36, s36
	v_mov_b32_e32 v76, s35
	s_xor_b32 exec_lo, exec_lo, s36
	s_cbranch_execz .LBB4_791
.LBB4_1134:                             ;   in Loop: Header=BB4_144 Depth=3
	v_cmp_ne_u16_e32 vcc_lo, 0, v75
	v_mov_b32_e32 v76, 0
	s_and_not1_b32 s13, s13, exec_lo
	s_and_b32 vcc_lo, vcc_lo, exec_lo
	s_delay_alu instid0(SALU_CYCLE_1)
	s_or_b32 s13, s13, vcc_lo
	s_or_b32 exec_lo, exec_lo, s36
	s_and_saveexec_b32 s35, s13
	s_cbranch_execnz .LBB4_792
	s_branch .LBB4_793
.LBB4_1135:                             ;   in Loop: Header=BB4_144 Depth=3
	s_mov_b32 s13, -1
	s_mov_b32 s37, exec_lo
                                        ; implicit-def: $sgpr35
	v_cmpx_eq_u16_e32 0x80, v104
; %bb.1136:                             ;   in Loop: Header=BB4_144 Depth=3
	s_mov_b32 s35, 0x7f800001
	s_xor_b32 s13, exec_lo, -1
; %bb.1137:                             ;   in Loop: Header=BB4_144 Depth=3
	s_or_b32 exec_lo, exec_lo, s37
	s_delay_alu instid0(SALU_CYCLE_1)
	s_and_b32 s13, s13, exec_lo
                                        ; implicit-def: $vgpr104
	s_or_saveexec_b32 s36, s36
	v_mov_b32_e32 v95, s35
	s_xor_b32 exec_lo, exec_lo, s36
	s_cbranch_execz .LBB4_803
.LBB4_1138:                             ;   in Loop: Header=BB4_144 Depth=3
	v_cmp_ne_u16_e32 vcc_lo, 0, v104
	v_mov_b32_e32 v95, 0
	s_and_not1_b32 s13, s13, exec_lo
	s_and_b32 vcc_lo, vcc_lo, exec_lo
	s_delay_alu instid0(SALU_CYCLE_1)
	s_or_b32 s13, s13, vcc_lo
	s_or_b32 exec_lo, exec_lo, s36
	s_and_saveexec_b32 s35, s13
	s_cbranch_execnz .LBB4_804
	s_branch .LBB4_805
.LBB4_1139:                             ;   in Loop: Header=BB4_144 Depth=3
	s_mov_b32 s13, -1
	s_mov_b32 s37, exec_lo
                                        ; implicit-def: $sgpr35
	v_cmpx_eq_u16_e32 0x80, v95
; %bb.1140:                             ;   in Loop: Header=BB4_144 Depth=3
	s_mov_b32 s35, 0x7f800001
	s_xor_b32 s13, exec_lo, -1
; %bb.1141:                             ;   in Loop: Header=BB4_144 Depth=3
	s_or_b32 exec_lo, exec_lo, s37
	s_delay_alu instid0(SALU_CYCLE_1)
	s_and_b32 s13, s13, exec_lo
	s_or_saveexec_b32 s36, s36
	v_mov_b32_e32 v104, s35
	s_xor_b32 exec_lo, exec_lo, s36
	s_cbranch_execz .LBB4_815
.LBB4_1142:                             ;   in Loop: Header=BB4_144 Depth=3
	v_cmp_ne_u16_e32 vcc_lo, 0, v95
	v_mov_b32_e32 v104, 0
	s_and_not1_b32 s13, s13, exec_lo
	s_and_b32 vcc_lo, vcc_lo, exec_lo
	s_delay_alu instid0(SALU_CYCLE_1)
	s_or_b32 s13, s13, vcc_lo
	s_or_b32 exec_lo, exec_lo, s36
	s_and_saveexec_b32 s35, s13
	s_cbranch_execnz .LBB4_816
	s_branch .LBB4_817
.LBB4_1143:                             ;   in Loop: Header=BB4_144 Depth=3
	s_mov_b32 s13, -1
	s_mov_b32 s37, exec_lo
                                        ; implicit-def: $sgpr35
	v_cmpx_eq_u16_e32 0x80, v104
; %bb.1144:                             ;   in Loop: Header=BB4_144 Depth=3
	s_mov_b32 s35, 0x7f800001
	s_xor_b32 s13, exec_lo, -1
; %bb.1145:                             ;   in Loop: Header=BB4_144 Depth=3
	s_or_b32 exec_lo, exec_lo, s37
	s_delay_alu instid0(SALU_CYCLE_1)
	s_and_b32 s13, s13, exec_lo
                                        ; implicit-def: $vgpr104
	s_or_saveexec_b32 s36, s36
	v_mov_b32_e32 v95, s35
	s_xor_b32 exec_lo, exec_lo, s36
	s_cbranch_execz .LBB4_827
.LBB4_1146:                             ;   in Loop: Header=BB4_144 Depth=3
	v_cmp_ne_u16_e32 vcc_lo, 0, v104
	v_mov_b32_e32 v95, 0
	s_and_not1_b32 s13, s13, exec_lo
	s_and_b32 vcc_lo, vcc_lo, exec_lo
	s_delay_alu instid0(SALU_CYCLE_1)
	s_or_b32 s13, s13, vcc_lo
	s_or_b32 exec_lo, exec_lo, s36
	s_and_saveexec_b32 s35, s13
	s_cbranch_execnz .LBB4_828
	s_branch .LBB4_829
.LBB4_1147:                             ;   in Loop: Header=BB4_144 Depth=3
	s_mov_b32 s13, -1
	s_mov_b32 s37, exec_lo
                                        ; implicit-def: $sgpr35
	v_cmpx_eq_u16_e32 0x80, v104
; %bb.1148:                             ;   in Loop: Header=BB4_144 Depth=3
	s_mov_b32 s35, 0x7f800001
	s_xor_b32 s13, exec_lo, -1
; %bb.1149:                             ;   in Loop: Header=BB4_144 Depth=3
	s_or_b32 exec_lo, exec_lo, s37
	s_delay_alu instid0(SALU_CYCLE_1)
	s_and_b32 s13, s13, exec_lo
	s_or_saveexec_b32 s36, s36
	v_mov_b32_e32 v105, s35
	s_xor_b32 exec_lo, exec_lo, s36
	s_cbranch_execz .LBB4_839
.LBB4_1150:                             ;   in Loop: Header=BB4_144 Depth=3
	v_cmp_ne_u16_e32 vcc_lo, 0, v104
	v_mov_b32_e32 v105, 0
	s_and_not1_b32 s13, s13, exec_lo
	s_and_b32 vcc_lo, vcc_lo, exec_lo
	s_delay_alu instid0(SALU_CYCLE_1)
	s_or_b32 s13, s13, vcc_lo
	s_or_b32 exec_lo, exec_lo, s36
	s_and_saveexec_b32 s35, s13
	s_cbranch_execnz .LBB4_840
	s_branch .LBB4_841
.LBB4_1151:                             ;   in Loop: Header=BB4_144 Depth=3
	s_mov_b32 s13, -1
	s_mov_b32 s37, exec_lo
                                        ; implicit-def: $sgpr35
	v_cmpx_eq_u16_e32 0x80, v107
; %bb.1152:                             ;   in Loop: Header=BB4_144 Depth=3
	s_mov_b32 s35, 0x7f800001
	s_xor_b32 s13, exec_lo, -1
; %bb.1153:                             ;   in Loop: Header=BB4_144 Depth=3
	s_or_b32 exec_lo, exec_lo, s37
	s_delay_alu instid0(SALU_CYCLE_1)
	s_and_b32 s13, s13, exec_lo
                                        ; implicit-def: $vgpr107
	s_or_saveexec_b32 s36, s36
	v_mov_b32_e32 v106, s35
	s_xor_b32 exec_lo, exec_lo, s36
	s_cbranch_execz .LBB4_851
.LBB4_1154:                             ;   in Loop: Header=BB4_144 Depth=3
	v_cmp_ne_u16_e32 vcc_lo, 0, v107
	v_mov_b32_e32 v106, 0
	s_and_not1_b32 s13, s13, exec_lo
	s_and_b32 vcc_lo, vcc_lo, exec_lo
	s_delay_alu instid0(SALU_CYCLE_1)
	s_or_b32 s13, s13, vcc_lo
	s_or_b32 exec_lo, exec_lo, s36
	s_and_saveexec_b32 s35, s13
	s_cbranch_execnz .LBB4_852
	s_branch .LBB4_853
.LBB4_1155:                             ;   in Loop: Header=BB4_144 Depth=3
	s_mov_b32 s13, -1
	s_mov_b32 s37, exec_lo
                                        ; implicit-def: $sgpr35
	v_cmpx_eq_u16_e32 0x80, v106
; %bb.1156:                             ;   in Loop: Header=BB4_144 Depth=3
	s_mov_b32 s35, 0x7f800001
	s_xor_b32 s13, exec_lo, -1
; %bb.1157:                             ;   in Loop: Header=BB4_144 Depth=3
	s_or_b32 exec_lo, exec_lo, s37
	s_delay_alu instid0(SALU_CYCLE_1)
	s_and_b32 s13, s13, exec_lo
	s_or_saveexec_b32 s36, s36
	v_mov_b32_e32 v107, s35
	s_xor_b32 exec_lo, exec_lo, s36
	s_cbranch_execz .LBB4_863
.LBB4_1158:                             ;   in Loop: Header=BB4_144 Depth=3
	v_cmp_ne_u16_e32 vcc_lo, 0, v106
	v_mov_b32_e32 v107, 0
	s_and_not1_b32 s13, s13, exec_lo
	s_and_b32 vcc_lo, vcc_lo, exec_lo
	s_delay_alu instid0(SALU_CYCLE_1)
	s_or_b32 s13, s13, vcc_lo
	s_or_b32 exec_lo, exec_lo, s36
	s_and_saveexec_b32 s35, s13
	s_cbranch_execnz .LBB4_864
	s_branch .LBB4_865
.LBB4_1159:                             ;   in Loop: Header=BB4_144 Depth=3
	s_mov_b32 s13, -1
	s_mov_b32 s37, exec_lo
                                        ; implicit-def: $sgpr35
	v_cmpx_eq_u16_e32 0x80, v107
; %bb.1160:                             ;   in Loop: Header=BB4_144 Depth=3
	s_mov_b32 s35, 0x7f800001
	s_xor_b32 s13, exec_lo, -1
; %bb.1161:                             ;   in Loop: Header=BB4_144 Depth=3
	s_or_b32 exec_lo, exec_lo, s37
	s_delay_alu instid0(SALU_CYCLE_1)
	s_and_b32 s13, s13, exec_lo
                                        ; implicit-def: $vgpr107
	s_or_saveexec_b32 s36, s36
	v_mov_b32_e32 v106, s35
	s_xor_b32 exec_lo, exec_lo, s36
	s_cbranch_execz .LBB4_875
.LBB4_1162:                             ;   in Loop: Header=BB4_144 Depth=3
	v_cmp_ne_u16_e32 vcc_lo, 0, v107
	v_mov_b32_e32 v106, 0
	s_and_not1_b32 s13, s13, exec_lo
	s_and_b32 vcc_lo, vcc_lo, exec_lo
	s_delay_alu instid0(SALU_CYCLE_1)
	s_or_b32 s13, s13, vcc_lo
	s_or_b32 exec_lo, exec_lo, s36
	s_and_saveexec_b32 s35, s13
	s_cbranch_execnz .LBB4_876
	s_branch .LBB4_877
.LBB4_1163:                             ;   in Loop: Header=BB4_144 Depth=3
	s_mov_b32 s13, -1
	s_mov_b32 s37, exec_lo
                                        ; implicit-def: $sgpr35
	v_cmpx_eq_u16_e32 0x80, v107
; %bb.1164:                             ;   in Loop: Header=BB4_144 Depth=3
	s_mov_b32 s35, 0x7f800001
	s_xor_b32 s13, exec_lo, -1
; %bb.1165:                             ;   in Loop: Header=BB4_144 Depth=3
	s_or_b32 exec_lo, exec_lo, s37
	s_delay_alu instid0(SALU_CYCLE_1)
	s_and_b32 s13, s13, exec_lo
	s_or_saveexec_b32 s36, s36
	v_mov_b32_e32 v108, s35
	s_xor_b32 exec_lo, exec_lo, s36
	s_cbranch_execz .LBB4_887
.LBB4_1166:                             ;   in Loop: Header=BB4_144 Depth=3
	v_cmp_ne_u16_e32 vcc_lo, 0, v107
	v_mov_b32_e32 v108, 0
	s_and_not1_b32 s13, s13, exec_lo
	s_and_b32 vcc_lo, vcc_lo, exec_lo
	s_delay_alu instid0(SALU_CYCLE_1)
	s_or_b32 s13, s13, vcc_lo
	s_or_b32 exec_lo, exec_lo, s36
	s_and_saveexec_b32 s35, s13
	s_cbranch_execnz .LBB4_888
	s_branch .LBB4_889
.LBB4_1167:                             ;   in Loop: Header=BB4_144 Depth=3
	s_mov_b32 s13, -1
	s_mov_b32 s37, exec_lo
                                        ; implicit-def: $sgpr35
	v_cmpx_eq_u16_e32 0x80, v110
; %bb.1168:                             ;   in Loop: Header=BB4_144 Depth=3
	s_mov_b32 s35, 0x7f800001
	s_xor_b32 s13, exec_lo, -1
; %bb.1169:                             ;   in Loop: Header=BB4_144 Depth=3
	s_or_b32 exec_lo, exec_lo, s37
	s_delay_alu instid0(SALU_CYCLE_1)
	s_and_b32 s13, s13, exec_lo
                                        ; implicit-def: $vgpr110
	s_or_saveexec_b32 s36, s36
	v_mov_b32_e32 v109, s35
	s_xor_b32 exec_lo, exec_lo, s36
	s_cbranch_execz .LBB4_899
.LBB4_1170:                             ;   in Loop: Header=BB4_144 Depth=3
	v_cmp_ne_u16_e32 vcc_lo, 0, v110
	v_mov_b32_e32 v109, 0
	s_and_not1_b32 s13, s13, exec_lo
	s_and_b32 vcc_lo, vcc_lo, exec_lo
	s_delay_alu instid0(SALU_CYCLE_1)
	s_or_b32 s13, s13, vcc_lo
	s_or_b32 exec_lo, exec_lo, s36
	s_and_saveexec_b32 s35, s13
	s_cbranch_execnz .LBB4_900
	s_branch .LBB4_901
.LBB4_1171:                             ;   in Loop: Header=BB4_144 Depth=3
	s_mov_b32 s13, -1
	s_mov_b32 s37, exec_lo
                                        ; implicit-def: $sgpr35
	v_cmpx_eq_u16_e32 0x80, v109
; %bb.1172:                             ;   in Loop: Header=BB4_144 Depth=3
	s_mov_b32 s35, 0x7f800001
	s_xor_b32 s13, exec_lo, -1
; %bb.1173:                             ;   in Loop: Header=BB4_144 Depth=3
	s_or_b32 exec_lo, exec_lo, s37
	s_delay_alu instid0(SALU_CYCLE_1)
	s_and_b32 s13, s13, exec_lo
	s_or_saveexec_b32 s36, s36
	v_mov_b32_e32 v110, s35
	s_xor_b32 exec_lo, exec_lo, s36
	s_cbranch_execz .LBB4_911
.LBB4_1174:                             ;   in Loop: Header=BB4_144 Depth=3
	v_cmp_ne_u16_e32 vcc_lo, 0, v109
	v_mov_b32_e32 v110, 0
	s_and_not1_b32 s13, s13, exec_lo
	s_and_b32 vcc_lo, vcc_lo, exec_lo
	s_delay_alu instid0(SALU_CYCLE_1)
	s_or_b32 s13, s13, vcc_lo
	s_or_b32 exec_lo, exec_lo, s36
	s_and_saveexec_b32 s35, s13
	s_cbranch_execnz .LBB4_912
	s_branch .LBB4_913
.LBB4_1175:                             ;   in Loop: Header=BB4_59 Depth=2
	s_or_b32 exec_lo, exec_lo, s30
.LBB4_1176:                             ;   in Loop: Header=BB4_59 Depth=2
	s_delay_alu instid0(SALU_CYCLE_1) | instskip(SKIP_4) | instid1(VALU_DEP_2)
	s_or_b32 exec_lo, exec_lo, s14
	v_lshlrev_b32_e32 v64, 11, v72
	v_mov_b32_e32 v54, 0
	s_mov_b32 s13, 0
	s_mov_b32 s30, exec_lo
                                        ; implicit-def: $vgpr55
                                        ; implicit-def: $vgpr65
                                        ; implicit-def: $vgpr10
	v_cmpx_ne_u32_e64 v13, v64
	s_cbranch_execz .LBB4_1450
; %bb.1177:                             ;   in Loop: Header=BB4_59 Depth=2
	v_lshlrev_b32_e32 v2, 5, v2
	v_sub_nc_u32_e32 v9, v13, v64
	s_mov_b32 s31, exec_lo
	s_delay_alu instid0(VALU_DEP_2) | instskip(NEXT) | instid1(VALU_DEP_2)
	v_sub_nc_u32_e32 v2, v84, v2
	v_ashrrev_i32_e32 v10, 31, v9
	s_delay_alu instid0(VALU_DEP_2) | instskip(NEXT) | instid1(VALU_DEP_2)
	v_ashrrev_i32_e32 v8, 31, v2
	v_lshrrev_b32_e32 v10, 23, v10
	s_delay_alu instid0(VALU_DEP_2) | instskip(NEXT) | instid1(VALU_DEP_2)
	v_lshrrev_b32_e32 v8, 27, v8
	v_add_nc_u32_e32 v10, v9, v10
	s_delay_alu instid0(VALU_DEP_2) | instskip(NEXT) | instid1(VALU_DEP_1)
	v_add_nc_u32_e32 v8, v2, v8
	v_and_b32_e32 v11, 0xffffffe0, v8
	s_delay_alu instid0(VALU_DEP_1) | instskip(NEXT) | instid1(VALU_DEP_4)
	v_sub_nc_u32_e32 v68, v2, v11
	v_and_b32_e32 v2, 0xfffffe00, v10
	v_ashrrev_i32_e32 v11, 5, v8
	v_ashrrev_i32_e32 v10, 9, v10
	s_delay_alu instid0(VALU_DEP_4) | instskip(NEXT) | instid1(VALU_DEP_4)
	v_lshlrev_b32_e32 v8, 4, v68
	v_sub_nc_u32_e32 v69, v9, v2
	s_delay_alu instid0(VALU_DEP_2) | instskip(NEXT) | instid1(VALU_DEP_2)
	v_lshl_add_u32 v8, v11, 9, v8
	v_cmp_lt_i32_e64 s13, 15, v69
	s_delay_alu instid0(VALU_DEP_2) | instskip(NEXT) | instid1(VALU_DEP_2)
	v_sub_nc_u32_e32 v65, v9, v8
	v_add_co_ci_u32_e64 v10, vcc_lo, 0, v10, s13
	s_delay_alu instid0(VALU_DEP_1) | instskip(NEXT) | instid1(VALU_DEP_3)
	v_sub_nc_u32_e32 v129, v10, v11
	v_cmpx_lt_i32_e32 15, v65
	s_cbranch_execz .LBB4_1447
; %bb.1178:                             ;   in Loop: Header=BB4_59 Depth=2
	s_cbranch_execz .LBB4_1179
; %bb.11515:
	s_getpc_b64 s[48:49]
.Lpost_getpc166:
	s_add_u32 s48, s48, (.LBB4_11111-.Lpost_getpc166)&4294967295
	s_addc_u32 s49, s49, (.LBB4_11111-.Lpost_getpc166)>>32
	s_setpc_b64 s[48:49]
.LBB4_1179:                             ;   in Loop: Header=BB4_59 Depth=2
	ds_load_b64 v[52:53], v0
	v_add_nc_u32_e32 v130, v8, v64
	s_delay_alu instid0(VALU_DEP_1) | instskip(SKIP_3) | instid1(VALU_DEP_2)
	v_ashrrev_i32_e32 v131, 31, v130
	s_waitcnt lgkmcnt(0)
	v_readfirstlane_b32 s14, v52
	v_and_b32_e32 v132, 0xff, v52
	s_and_b32 vcc_lo, s14, 3
	s_bfe_u32 s36, s14, 0x50002
	s_clz_i32_u32 s34, vcc_lo
	s_delay_alu instid0(SALU_CYCLE_1) | instskip(NEXT) | instid1(SALU_CYCLE_1)
	s_min_u32 s34, s34, 32
	s_sub_i32 s35, s34, 29
	s_sub_i32 s34, 30, s34
	s_lshl_b32 s35, s14, s35
	s_delay_alu instid0(SALU_CYCLE_1)
	s_and_b32 s35, s35, 3
	s_cmp_eq_u32 s36, 0
	s_cselect_b32 s34, s34, s36
	s_cselect_b32 vcc_lo, s35, vcc_lo
	s_lshl_b32 s14, s14, 24
	s_lshl_b32 s34, s34, 23
	s_and_b32 s14, s14, 0x80000000
	s_add_i32 s34, s34, 0x37800000
	s_lshl_b32 vcc_lo, vcc_lo, 21
	s_or_b32 s14, s14, s34
	s_mov_b32 s34, 0
	s_or_b32 s35, s14, vcc_lo
	s_branch .LBB4_1183
.LBB4_1180:                             ;   in Loop: Header=BB4_1183 Depth=3
	s_or_b32 exec_lo, exec_lo, s14
	s_delay_alu instid0(VALU_DEP_1) | instskip(NEXT) | instid1(VALU_DEP_2)
	v_lshrrev_b32_e32 v162, 21, v162
	v_cmp_gt_i32_e32 vcc_lo, 32, v161
	v_min_i32_e32 v163, 31, v161
	v_lshrrev_b32_e32 v11, 24, v11
	s_delay_alu instid0(VALU_DEP_2) | instskip(NEXT) | instid1(VALU_DEP_2)
	v_dual_cndmask_b32 v162, 3, v162 :: v_dual_lshlrev_b32 v163, 2, v163
	v_and_b32_e32 v11, 0x80, v11
	s_delay_alu instid0(VALU_DEP_2) | instskip(NEXT) | instid1(VALU_DEP_3)
	v_or_b32_e32 v161, v161, v162
	v_and_b32_e32 v163, 0xfc, v163
	s_delay_alu instid0(VALU_DEP_2) | instskip(SKIP_1) | instid1(VALU_DEP_1)
	v_cmp_ne_u32_e32 vcc_lo, 0, v161
	v_and_b32_e32 v164, 3, v162
	v_or3_b32 v11, v11, v163, v164
	s_delay_alu instid0(VALU_DEP_1) | instskip(NEXT) | instid1(VALU_DEP_1)
	v_lshlrev_b32_e32 v11, 8, v11
	v_cndmask_b32_e32 v161, 0, v11, vcc_lo
.LBB4_1181:                             ;   in Loop: Header=BB4_1183 Depth=3
	s_or_b32 exec_lo, exec_lo, s37
.LBB4_1182:                             ;   in Loop: Header=BB4_1183 Depth=3
	s_delay_alu instid0(SALU_CYCLE_1)
	s_or_b32 exec_lo, exec_lo, s36
	v_or_b32_e32 v9, v9, v146
	v_and_b32_e32 v11, 0xff, v135
	v_lshlrev_b32_e32 v134, 8, v134
	v_and_b32_e32 v135, 0xff, v149
	v_lshlrev_b32_e32 v146, 8, v148
	v_or_b32_e32 v148, v161, v160
	v_sub_nc_u32_e32 v65, v65, v85
	v_lshlrev_b32_e32 v8, 24, v8
	v_lshlrev_b32_e32 v9, 16, v9
	;; [unrolled: 1-line block ×3, first 2 shown]
	v_perm_b32 v133, v134, v133, 0xc0c0500
	v_lshlrev_b32_e32 v10, 24, v10
	v_lshlrev_b32_e32 v134, 16, v135
	v_perm_b32 v135, v146, v147, 0xc0c0500
	v_lshlrev_b32_e32 v146, 16, v148
	v_cmp_gt_i32_e32 vcc_lo, 16, v65
	v_add_co_u32 v130, s14, v130, v101
	v_or3_b32 v9, v145, v144, v9
	v_or3_b32 v8, v8, v11, v133
	;; [unrolled: 1-line block ×4, first 2 shown]
	v_sub_nc_u32_e32 v129, v129, v81
	v_add_co_ci_u32_e64 v131, s14, v131, v102, s14
	s_or_b32 s34, vcc_lo, s34
	global_store_b128 v[54:55], v[8:11], off glc slc dlc
	s_and_not1_b32 exec_lo, exec_lo, s34
	s_cbranch_execz .LBB4_1446
.LBB4_1183:                             ;   Parent Loop BB4_51 Depth=1
                                        ;     Parent Loop BB4_59 Depth=2
                                        ; =>    This Inner Loop Header: Depth=3
	v_cmp_gt_i16_e64 vcc_lo, 0x80, v132
	s_delay_alu instid0(VALU_DEP_1)
	s_and_b32 vcc_lo, exec_lo, vcc_lo
	s_cbranch_vccnz .LBB4_1187
; %bb.1184:                             ;   in Loop: Header=BB4_1183 Depth=3
	v_cmp_eq_u16_e64 vcc_lo, 0x80, v132
	s_mov_b32 s14, -1
                                        ; implicit-def: $sgpr36
	s_delay_alu instid0(VALU_DEP_1)
	s_and_b32 vcc_lo, exec_lo, vcc_lo
	s_cbranch_vccz .LBB4_1186
; %bb.1185:                             ;   in Loop: Header=BB4_1183 Depth=3
	s_mov_b32 s14, 0
	s_mov_b32 s36, 0x7f800001
.LBB4_1186:                             ;   in Loop: Header=BB4_1183 Depth=3
	s_mov_b32 vcc_lo, 0
	s_branch .LBB4_1188
.LBB4_1187:                             ;   in Loop: Header=BB4_1183 Depth=3
	s_mov_b32 vcc_lo, -1
	s_mov_b32 s14, 0
                                        ; implicit-def: $sgpr36
.LBB4_1188:                             ;   in Loop: Header=BB4_1183 Depth=3
	s_and_b32 vcc_lo, exec_lo, vcc_lo
	s_cbranch_vccz .LBB4_1190
; %bb.1189:                             ;   in Loop: Header=BB4_1183 Depth=3
	v_cmp_ne_u16_e64 s14, 0, v132
	s_mov_b32 s36, 0
.LBB4_1190:                             ;   in Loop: Header=BB4_1183 Depth=3
	s_delay_alu instid0(VALU_DEP_1)
	s_and_not1_b32 vcc_lo, exec_lo, s14
	s_cbranch_vccnz .LBB4_1192
; %bb.1191:                             ;   in Loop: Header=BB4_1183 Depth=3
	s_mov_b32 s36, s35
.LBB4_1192:                             ;   in Loop: Header=BB4_1183 Depth=3
	v_add_co_u32 v54, vcc_lo, v52, v130
	v_add_co_ci_u32_e32 v55, vcc_lo, v53, v131, vcc_lo
	s_mov_b32 s14, 0
	s_mov_b32 s38, exec_lo
                                        ; implicit-def: $sgpr37
	global_load_b128 v[8:11], v[54:55], off slc dlc
	s_waitcnt vmcnt(0)
	v_and_b32_e32 v134, 0xff, v8
	s_delay_alu instid0(VALU_DEP_1)
	v_cmpx_lt_i16_e64 0x7f, v134
	s_xor_b32 s38, exec_lo, s38
	s_cbranch_execnz .LBB4_1382
; %bb.1193:                             ;   in Loop: Header=BB4_1183 Depth=3
	s_or_saveexec_b32 s38, s38
	v_mov_b32_e32 v133, s37
	s_xor_b32 exec_lo, exec_lo, s38
	s_cbranch_execnz .LBB4_1385
.LBB4_1194:                             ;   in Loop: Header=BB4_1183 Depth=3
	s_or_b32 exec_lo, exec_lo, s38
	s_and_saveexec_b32 s37, s14
	s_cbranch_execz .LBB4_1196
.LBB4_1195:                             ;   in Loop: Header=BB4_1183 Depth=3
	v_bfe_u32 v144, v8, 2, 5
	v_lshlrev_b32_e32 v145, 24, v8
	s_delay_alu instid0(VALU_DEP_2) | instskip(SKIP_1) | instid1(VALU_DEP_1)
	v_cmp_eq_u32_e32 vcc_lo, 0, v144
	v_and_b32_e32 v133, 3, v8
	v_clz_i32_u32_e32 v134, v133
	s_delay_alu instid0(VALU_DEP_1) | instskip(NEXT) | instid1(VALU_DEP_1)
	v_min_u32_e32 v134, 32, v134
	v_subrev_nc_u32_e32 v135, 29, v134
	v_sub_nc_u32_e32 v134, 30, v134
	s_delay_alu instid0(VALU_DEP_1) | instskip(NEXT) | instid1(VALU_DEP_1)
	v_dual_cndmask_b32 v134, v144, v134 :: v_dual_lshlrev_b32 v135, v135, v8
	v_and_b32_e32 v135, 3, v135
	s_delay_alu instid0(VALU_DEP_2) | instskip(NEXT) | instid1(VALU_DEP_2)
	v_lshl_add_u32 v134, v134, 23, 0x37800000
	v_cndmask_b32_e32 v133, v133, v135, vcc_lo
	v_and_b32_e32 v135, 0x80000000, v145
	s_delay_alu instid0(VALU_DEP_2) | instskip(NEXT) | instid1(VALU_DEP_1)
	v_lshlrev_b32_e32 v133, 21, v133
	v_or3_b32 v133, v135, v134, v133
.LBB4_1196:                             ;   in Loop: Header=BB4_1183 Depth=3
	s_or_b32 exec_lo, exec_lo, s37
	s_delay_alu instid0(VALU_DEP_1) | instskip(NEXT) | instid1(VALU_DEP_1)
	v_mul_f32_e32 v134, s36, v133
	v_and_b32_e32 v133, 0x7f800000, v134
	s_delay_alu instid0(VALU_DEP_1)
	v_cmp_ne_u32_e32 vcc_lo, 0x7f800000, v133
	v_mov_b32_e32 v133, 0x80
	s_and_saveexec_b32 s37, vcc_lo
	s_cbranch_execz .LBB4_1204
; %bb.1197:                             ;   in Loop: Header=BB4_1183 Depth=3
	v_mov_b32_e32 v133, 0
	s_mov_b32 s38, exec_lo
	v_cmpx_ne_u32_e32 0, v134
	s_cbranch_execz .LBB4_1203
; %bb.1198:                             ;   in Loop: Header=BB4_1183 Depth=3
	v_bfe_u32 v133, v134, 23, 8
	s_delay_alu instid0(VALU_DEP_1) | instskip(SKIP_1) | instid1(VALU_DEP_2)
	v_sub_nc_u32_e32 v144, 0x70, v133
	v_cmp_gt_u32_e32 vcc_lo, 0x71, v133
	v_dual_cndmask_b32 v144, 0, v144 :: v_dual_and_b32 v135, 0x7fffff, v134
	s_delay_alu instid0(VALU_DEP_1) | instskip(SKIP_2) | instid1(VALU_DEP_4)
	v_or_b32_e32 v145, 0x800000, v135
	v_cmp_eq_u32_e32 vcc_lo, 0, v133
	v_add_nc_u32_e32 v133, 0xffffff91, v133
	v_cndmask_b32_e64 v144, v144, 0x6f, vcc_lo
	s_delay_alu instid0(VALU_DEP_2) | instskip(SKIP_1) | instid1(VALU_DEP_3)
	v_cndmask_b32_e64 v133, v133, 0xffffff92, vcc_lo
	v_cndmask_b32_e32 v135, v145, v135, vcc_lo
	v_lshl_add_u32 v145, 0x200000, v144, -1
	v_lshlrev_b32_e64 v148, v144, 0x100000
	s_delay_alu instid0(VALU_DEP_3) | instskip(SKIP_1) | instid1(VALU_DEP_4)
	v_lshrrev_b32_e32 v146, v144, v135
	v_add_nc_u32_e32 v144, v144, v133
	v_and_b32_e32 v135, v145, v135
	s_delay_alu instid0(VALU_DEP_3) | instskip(NEXT) | instid1(VALU_DEP_2)
	v_bfe_u32 v147, v146, 21, 1
	v_cmp_eq_u32_e64 s14, v135, v148
	s_delay_alu instid0(VALU_DEP_2) | instskip(NEXT) | instid1(VALU_DEP_1)
	v_add_nc_u32_e32 v145, -1, v147
	v_cndmask_b32_e64 v135, 0, v145, s14
	v_lshrrev_b32_e32 v145, 23, v146
	s_mov_b32 s14, exec_lo
	s_delay_alu instid0(VALU_DEP_2) | instskip(NEXT) | instid1(VALU_DEP_2)
	v_add_nc_u32_e32 v135, v135, v146
	v_xor_b32_e32 v145, 1, v145
	s_delay_alu instid0(VALU_DEP_2) | instskip(NEXT) | instid1(VALU_DEP_1)
	v_and_b32_e32 v133, 0x1fffff, v135
	v_add_nc_u32_e32 v135, v133, v146
                                        ; implicit-def: $vgpr133
	s_delay_alu instid0(VALU_DEP_3)
	v_cmpx_ne_u32_e64 v144, v145
	s_xor_b32 s14, exec_lo, s14
; %bb.1199:                             ;   in Loop: Header=BB4_1183 Depth=3
	s_delay_alu instid0(VALU_DEP_2) | instskip(SKIP_2) | instid1(VALU_DEP_2)
	v_cmp_lt_u32_e32 vcc_lo, 0xffffff, v135
	v_sub_nc_u32_e32 v133, v144, v145
	v_cndmask_b32_e64 v144, 0, 1, vcc_lo
	v_add_co_ci_u32_e32 v133, vcc_lo, 0, v133, vcc_lo
	s_delay_alu instid0(VALU_DEP_2)
	v_lshrrev_b32_e32 v135, v144, v135
; %bb.1200:                             ;   in Loop: Header=BB4_1183 Depth=3
	s_and_not1_saveexec_b32 s14, s14
; %bb.1201:                             ;   in Loop: Header=BB4_1183 Depth=3
	s_delay_alu instid0(VALU_DEP_1)
	v_bfe_u32 v133, v135, 23, 1
; %bb.1202:                             ;   in Loop: Header=BB4_1183 Depth=3
	s_or_b32 exec_lo, exec_lo, s14
	v_lshrrev_b32_e32 v135, 21, v135
	s_delay_alu instid0(VALU_DEP_2) | instskip(SKIP_2) | instid1(VALU_DEP_2)
	v_cmp_gt_i32_e32 vcc_lo, 32, v133
	v_lshrrev_b32_e32 v134, 24, v134
	v_min_i32_e32 v144, 31, v133
	v_dual_cndmask_b32 v135, 3, v135 :: v_dual_and_b32 v134, 0x80, v134
	s_delay_alu instid0(VALU_DEP_1) | instskip(SKIP_1) | instid1(VALU_DEP_2)
	v_or_b32_e32 v133, v133, v135
	v_and_b32_e32 v145, 3, v135
	v_cmp_ne_u32_e32 vcc_lo, 0, v133
	v_lshlrev_b32_e32 v144, 2, v144
	s_delay_alu instid0(VALU_DEP_1) | instskip(NEXT) | instid1(VALU_DEP_1)
	v_or3_b32 v134, v144, v134, v145
	v_cndmask_b32_e32 v133, 0, v134, vcc_lo
.LBB4_1203:                             ;   in Loop: Header=BB4_1183 Depth=3
	s_or_b32 exec_lo, exec_lo, s38
.LBB4_1204:                             ;   in Loop: Header=BB4_1183 Depth=3
	s_delay_alu instid0(SALU_CYCLE_1) | instskip(SKIP_3) | instid1(VALU_DEP_1)
	s_or_b32 exec_lo, exec_lo, s37
	v_lshrrev_b16 v134, 8, v8
	s_mov_b32 s14, 0
	s_mov_b32 s38, exec_lo
                                        ; implicit-def: $sgpr37
	v_cmpx_lt_i16_e64 0x7f, v134
	s_xor_b32 s38, exec_lo, s38
	s_cbranch_execnz .LBB4_1386
; %bb.1205:                             ;   in Loop: Header=BB4_1183 Depth=3
	s_or_saveexec_b32 s38, s38
	v_mov_b32_e32 v135, s37
	s_xor_b32 exec_lo, exec_lo, s38
	s_cbranch_execnz .LBB4_1389
.LBB4_1206:                             ;   in Loop: Header=BB4_1183 Depth=3
	s_or_b32 exec_lo, exec_lo, s38
	s_and_saveexec_b32 s37, s14
	s_cbranch_execz .LBB4_1208
.LBB4_1207:                             ;   in Loop: Header=BB4_1183 Depth=3
	v_and_b32_e32 v135, 0xffff, v134
	v_lshlrev_b32_e32 v134, 24, v134
	s_delay_alu instid0(VALU_DEP_2) | instskip(NEXT) | instid1(VALU_DEP_2)
	v_and_b32_e32 v144, 3, v135
	v_and_b32_e32 v134, 0x80000000, v134
	s_delay_alu instid0(VALU_DEP_2) | instskip(NEXT) | instid1(VALU_DEP_1)
	v_clz_i32_u32_e32 v145, v144
	v_min_u32_e32 v145, 32, v145
	s_delay_alu instid0(VALU_DEP_1) | instskip(SKIP_1) | instid1(VALU_DEP_2)
	v_subrev_nc_u32_e32 v146, 29, v145
	v_sub_nc_u32_e32 v145, 30, v145
	v_lshlrev_b32_e32 v146, v146, v135
	v_bfe_u32 v135, v135, 2, 5
	s_delay_alu instid0(VALU_DEP_2) | instskip(NEXT) | instid1(VALU_DEP_2)
	v_and_b32_e32 v146, 3, v146
	v_cmp_eq_u32_e32 vcc_lo, 0, v135
	s_delay_alu instid0(VALU_DEP_2) | instskip(NEXT) | instid1(VALU_DEP_1)
	v_dual_cndmask_b32 v135, v135, v145 :: v_dual_cndmask_b32 v144, v144, v146
	v_lshl_add_u32 v135, v135, 23, 0x37800000
	s_delay_alu instid0(VALU_DEP_2) | instskip(NEXT) | instid1(VALU_DEP_1)
	v_lshlrev_b32_e32 v144, 21, v144
	v_or3_b32 v135, v134, v135, v144
.LBB4_1208:                             ;   in Loop: Header=BB4_1183 Depth=3
	s_or_b32 exec_lo, exec_lo, s37
	s_delay_alu instid0(VALU_DEP_1) | instskip(NEXT) | instid1(VALU_DEP_1)
	v_mul_f32_e32 v135, s36, v135
	v_and_b32_e32 v134, 0x7f800000, v135
	s_delay_alu instid0(VALU_DEP_1)
	v_cmp_ne_u32_e32 vcc_lo, 0x7f800000, v134
	v_mov_b32_e32 v134, 0x80
	s_and_saveexec_b32 s37, vcc_lo
	s_cbranch_execz .LBB4_1216
; %bb.1209:                             ;   in Loop: Header=BB4_1183 Depth=3
	v_mov_b32_e32 v134, 0
	s_mov_b32 s38, exec_lo
	v_cmpx_ne_u32_e32 0, v135
	s_cbranch_execz .LBB4_1215
; %bb.1210:                             ;   in Loop: Header=BB4_1183 Depth=3
	v_bfe_u32 v134, v135, 23, 8
	s_delay_alu instid0(VALU_DEP_1) | instskip(SKIP_1) | instid1(VALU_DEP_2)
	v_sub_nc_u32_e32 v145, 0x70, v134
	v_cmp_gt_u32_e32 vcc_lo, 0x71, v134
	v_dual_cndmask_b32 v145, 0, v145 :: v_dual_and_b32 v144, 0x7fffff, v135
	s_delay_alu instid0(VALU_DEP_1) | instskip(SKIP_2) | instid1(VALU_DEP_4)
	v_or_b32_e32 v146, 0x800000, v144
	v_cmp_eq_u32_e32 vcc_lo, 0, v134
	v_add_nc_u32_e32 v134, 0xffffff91, v134
	v_cndmask_b32_e64 v145, v145, 0x6f, vcc_lo
	s_delay_alu instid0(VALU_DEP_2) | instskip(SKIP_1) | instid1(VALU_DEP_3)
	v_cndmask_b32_e64 v134, v134, 0xffffff92, vcc_lo
	v_cndmask_b32_e32 v144, v146, v144, vcc_lo
	v_lshl_add_u32 v146, 0x200000, v145, -1
	v_lshlrev_b32_e64 v149, v145, 0x100000
	s_delay_alu instid0(VALU_DEP_3) | instskip(SKIP_1) | instid1(VALU_DEP_4)
	v_lshrrev_b32_e32 v147, v145, v144
	v_add_nc_u32_e32 v145, v145, v134
	v_and_b32_e32 v144, v146, v144
	s_delay_alu instid0(VALU_DEP_3) | instskip(NEXT) | instid1(VALU_DEP_2)
	v_bfe_u32 v148, v147, 21, 1
	v_cmp_eq_u32_e64 s14, v144, v149
	s_delay_alu instid0(VALU_DEP_2) | instskip(NEXT) | instid1(VALU_DEP_1)
	v_add_nc_u32_e32 v146, -1, v148
	v_cndmask_b32_e64 v144, 0, v146, s14
	v_lshrrev_b32_e32 v146, 23, v147
	s_mov_b32 s14, exec_lo
	s_delay_alu instid0(VALU_DEP_2) | instskip(NEXT) | instid1(VALU_DEP_2)
	v_add_nc_u32_e32 v144, v144, v147
	v_xor_b32_e32 v146, 1, v146
	s_delay_alu instid0(VALU_DEP_2) | instskip(NEXT) | instid1(VALU_DEP_1)
	v_and_b32_e32 v134, 0x1fffff, v144
	v_add_nc_u32_e32 v144, v134, v147
                                        ; implicit-def: $vgpr134
	s_delay_alu instid0(VALU_DEP_3)
	v_cmpx_ne_u32_e64 v145, v146
	s_xor_b32 s14, exec_lo, s14
; %bb.1211:                             ;   in Loop: Header=BB4_1183 Depth=3
	s_delay_alu instid0(VALU_DEP_2) | instskip(SKIP_2) | instid1(VALU_DEP_2)
	v_cmp_lt_u32_e32 vcc_lo, 0xffffff, v144
	v_sub_nc_u32_e32 v134, v145, v146
	v_cndmask_b32_e64 v145, 0, 1, vcc_lo
	v_add_co_ci_u32_e32 v134, vcc_lo, 0, v134, vcc_lo
	s_delay_alu instid0(VALU_DEP_2)
	v_lshrrev_b32_e32 v144, v145, v144
; %bb.1212:                             ;   in Loop: Header=BB4_1183 Depth=3
	s_and_not1_saveexec_b32 s14, s14
; %bb.1213:                             ;   in Loop: Header=BB4_1183 Depth=3
	s_delay_alu instid0(VALU_DEP_1)
	v_bfe_u32 v134, v144, 23, 1
; %bb.1214:                             ;   in Loop: Header=BB4_1183 Depth=3
	s_or_b32 exec_lo, exec_lo, s14
	v_lshrrev_b32_e32 v144, 21, v144
	s_delay_alu instid0(VALU_DEP_2) | instskip(SKIP_2) | instid1(VALU_DEP_2)
	v_cmp_gt_i32_e32 vcc_lo, 32, v134
	v_lshrrev_b32_e32 v135, 24, v135
	v_min_i32_e32 v145, 31, v134
	v_dual_cndmask_b32 v144, 3, v144 :: v_dual_and_b32 v135, 0x80, v135
	s_delay_alu instid0(VALU_DEP_1) | instskip(SKIP_1) | instid1(VALU_DEP_2)
	v_or_b32_e32 v134, v134, v144
	v_and_b32_e32 v146, 3, v144
	v_cmp_ne_u32_e32 vcc_lo, 0, v134
	v_lshlrev_b32_e32 v145, 2, v145
	s_delay_alu instid0(VALU_DEP_1) | instskip(NEXT) | instid1(VALU_DEP_1)
	v_or3_b32 v135, v145, v135, v146
	v_cndmask_b32_e32 v134, 0, v135, vcc_lo
.LBB4_1215:                             ;   in Loop: Header=BB4_1183 Depth=3
	s_or_b32 exec_lo, exec_lo, s38
.LBB4_1216:                             ;   in Loop: Header=BB4_1183 Depth=3
	s_delay_alu instid0(SALU_CYCLE_1) | instskip(SKIP_3) | instid1(VALU_DEP_1)
	s_or_b32 exec_lo, exec_lo, s37
	v_lshrrev_b32_e32 v135, 16, v8
	s_mov_b32 s14, 0
	s_mov_b32 s38, exec_lo
                                        ; implicit-def: $sgpr37
	v_and_b32_e32 v145, 0xff, v135
	s_delay_alu instid0(VALU_DEP_1)
	v_cmpx_lt_i16_e64 0x7f, v145
	s_xor_b32 s38, exec_lo, s38
	s_cbranch_execnz .LBB4_1390
; %bb.1217:                             ;   in Loop: Header=BB4_1183 Depth=3
	s_or_saveexec_b32 s38, s38
	v_mov_b32_e32 v144, s37
	s_xor_b32 exec_lo, exec_lo, s38
	s_cbranch_execnz .LBB4_1393
.LBB4_1218:                             ;   in Loop: Header=BB4_1183 Depth=3
	s_or_b32 exec_lo, exec_lo, s38
	s_and_saveexec_b32 s37, s14
	s_cbranch_execz .LBB4_1220
.LBB4_1219:                             ;   in Loop: Header=BB4_1183 Depth=3
	v_bfe_u32 v144, v8, 16, 2
	v_lshlrev_b32_e32 v147, 8, v8
	s_delay_alu instid0(VALU_DEP_2) | instskip(NEXT) | instid1(VALU_DEP_1)
	v_clz_i32_u32_e32 v145, v144
	v_min_u32_e32 v145, 32, v145
	s_delay_alu instid0(VALU_DEP_1) | instskip(SKIP_1) | instid1(VALU_DEP_2)
	v_subrev_nc_u32_e32 v146, 29, v145
	v_sub_nc_u32_e32 v145, 30, v145
	v_lshlrev_b32_e32 v135, v146, v135
	v_bfe_u32 v146, v8, 18, 5
	s_delay_alu instid0(VALU_DEP_2) | instskip(NEXT) | instid1(VALU_DEP_2)
	v_and_b32_e32 v135, 3, v135
	v_cmp_eq_u32_e32 vcc_lo, 0, v146
	v_cndmask_b32_e32 v145, v146, v145, vcc_lo
	s_delay_alu instid0(VALU_DEP_3) | instskip(SKIP_1) | instid1(VALU_DEP_3)
	v_cndmask_b32_e32 v135, v144, v135, vcc_lo
	v_and_b32_e32 v144, 0x80000000, v147
	v_lshl_add_u32 v145, v145, 23, 0x37800000
	s_delay_alu instid0(VALU_DEP_3) | instskip(NEXT) | instid1(VALU_DEP_1)
	v_lshlrev_b32_e32 v135, 21, v135
	v_or3_b32 v144, v144, v145, v135
.LBB4_1220:                             ;   in Loop: Header=BB4_1183 Depth=3
	s_or_b32 exec_lo, exec_lo, s37
	s_delay_alu instid0(VALU_DEP_1) | instskip(NEXT) | instid1(VALU_DEP_1)
	v_mul_f32_e32 v144, s36, v144
	v_and_b32_e32 v135, 0x7f800000, v144
	s_delay_alu instid0(VALU_DEP_1)
	v_cmp_ne_u32_e32 vcc_lo, 0x7f800000, v135
	v_mov_b32_e32 v135, 0x80
	s_and_saveexec_b32 s37, vcc_lo
	s_cbranch_execz .LBB4_1228
; %bb.1221:                             ;   in Loop: Header=BB4_1183 Depth=3
	v_mov_b32_e32 v135, 0
	s_mov_b32 s38, exec_lo
	v_cmpx_ne_u32_e32 0, v144
	s_cbranch_execz .LBB4_1227
; %bb.1222:                             ;   in Loop: Header=BB4_1183 Depth=3
	v_bfe_u32 v135, v144, 23, 8
	s_delay_alu instid0(VALU_DEP_1) | instskip(SKIP_1) | instid1(VALU_DEP_2)
	v_sub_nc_u32_e32 v146, 0x70, v135
	v_cmp_gt_u32_e32 vcc_lo, 0x71, v135
	v_dual_cndmask_b32 v146, 0, v146 :: v_dual_and_b32 v145, 0x7fffff, v144
	s_delay_alu instid0(VALU_DEP_1) | instskip(SKIP_2) | instid1(VALU_DEP_4)
	v_or_b32_e32 v147, 0x800000, v145
	v_cmp_eq_u32_e32 vcc_lo, 0, v135
	v_add_nc_u32_e32 v135, 0xffffff91, v135
	v_cndmask_b32_e64 v146, v146, 0x6f, vcc_lo
	s_delay_alu instid0(VALU_DEP_2) | instskip(SKIP_1) | instid1(VALU_DEP_3)
	v_cndmask_b32_e64 v135, v135, 0xffffff92, vcc_lo
	v_cndmask_b32_e32 v145, v147, v145, vcc_lo
	v_lshl_add_u32 v147, 0x200000, v146, -1
	v_lshlrev_b32_e64 v150, v146, 0x100000
	s_delay_alu instid0(VALU_DEP_3) | instskip(SKIP_1) | instid1(VALU_DEP_4)
	v_lshrrev_b32_e32 v148, v146, v145
	v_add_nc_u32_e32 v146, v146, v135
	v_and_b32_e32 v145, v147, v145
	s_delay_alu instid0(VALU_DEP_3) | instskip(NEXT) | instid1(VALU_DEP_2)
	v_bfe_u32 v149, v148, 21, 1
	v_cmp_eq_u32_e64 s14, v145, v150
	s_delay_alu instid0(VALU_DEP_2) | instskip(NEXT) | instid1(VALU_DEP_1)
	v_add_nc_u32_e32 v147, -1, v149
	v_cndmask_b32_e64 v145, 0, v147, s14
	v_lshrrev_b32_e32 v147, 23, v148
	s_mov_b32 s14, exec_lo
	s_delay_alu instid0(VALU_DEP_2) | instskip(NEXT) | instid1(VALU_DEP_2)
	v_add_nc_u32_e32 v145, v145, v148
	v_xor_b32_e32 v147, 1, v147
	s_delay_alu instid0(VALU_DEP_2) | instskip(NEXT) | instid1(VALU_DEP_1)
	v_and_b32_e32 v135, 0x1fffff, v145
	v_add_nc_u32_e32 v145, v135, v148
                                        ; implicit-def: $vgpr135
	s_delay_alu instid0(VALU_DEP_3)
	v_cmpx_ne_u32_e64 v146, v147
	s_xor_b32 s14, exec_lo, s14
; %bb.1223:                             ;   in Loop: Header=BB4_1183 Depth=3
	s_delay_alu instid0(VALU_DEP_2) | instskip(SKIP_2) | instid1(VALU_DEP_2)
	v_cmp_lt_u32_e32 vcc_lo, 0xffffff, v145
	v_sub_nc_u32_e32 v135, v146, v147
	v_cndmask_b32_e64 v146, 0, 1, vcc_lo
	v_add_co_ci_u32_e32 v135, vcc_lo, 0, v135, vcc_lo
	s_delay_alu instid0(VALU_DEP_2)
	v_lshrrev_b32_e32 v145, v146, v145
; %bb.1224:                             ;   in Loop: Header=BB4_1183 Depth=3
	s_and_not1_saveexec_b32 s14, s14
; %bb.1225:                             ;   in Loop: Header=BB4_1183 Depth=3
	s_delay_alu instid0(VALU_DEP_1)
	v_bfe_u32 v135, v145, 23, 1
; %bb.1226:                             ;   in Loop: Header=BB4_1183 Depth=3
	s_or_b32 exec_lo, exec_lo, s14
	v_lshrrev_b32_e32 v145, 21, v145
	s_delay_alu instid0(VALU_DEP_2) | instskip(SKIP_2) | instid1(VALU_DEP_2)
	v_cmp_gt_i32_e32 vcc_lo, 32, v135
	v_lshrrev_b32_e32 v144, 24, v144
	v_min_i32_e32 v146, 31, v135
	v_dual_cndmask_b32 v145, 3, v145 :: v_dual_and_b32 v144, 0x80, v144
	s_delay_alu instid0(VALU_DEP_1) | instskip(SKIP_1) | instid1(VALU_DEP_2)
	v_or_b32_e32 v135, v135, v145
	v_and_b32_e32 v147, 3, v145
	v_cmp_ne_u32_e32 vcc_lo, 0, v135
	v_lshlrev_b32_e32 v146, 2, v146
	s_delay_alu instid0(VALU_DEP_1) | instskip(NEXT) | instid1(VALU_DEP_1)
	v_or3_b32 v144, v146, v144, v147
	v_cndmask_b32_e32 v135, 0, v144, vcc_lo
.LBB4_1227:                             ;   in Loop: Header=BB4_1183 Depth=3
	s_or_b32 exec_lo, exec_lo, s38
.LBB4_1228:                             ;   in Loop: Header=BB4_1183 Depth=3
	s_delay_alu instid0(SALU_CYCLE_1) | instskip(SKIP_3) | instid1(VALU_DEP_1)
	s_or_b32 exec_lo, exec_lo, s37
	v_lshrrev_b32_e32 v144, 24, v8
	s_mov_b32 s14, 0
	s_mov_b32 s38, exec_lo
                                        ; implicit-def: $sgpr37
	v_cmpx_lt_i16_e64 0x7f, v144
	s_xor_b32 s38, exec_lo, s38
	s_cbranch_execnz .LBB4_1394
; %bb.1229:                             ;   in Loop: Header=BB4_1183 Depth=3
	s_or_saveexec_b32 s38, s38
	v_mov_b32_e32 v145, s37
	s_xor_b32 exec_lo, exec_lo, s38
	s_cbranch_execnz .LBB4_1397
.LBB4_1230:                             ;   in Loop: Header=BB4_1183 Depth=3
	s_or_b32 exec_lo, exec_lo, s38
	s_and_saveexec_b32 s37, s14
	s_cbranch_execz .LBB4_1232
.LBB4_1231:                             ;   in Loop: Header=BB4_1183 Depth=3
	v_bfe_u32 v145, v8, 24, 2
	s_delay_alu instid0(VALU_DEP_1) | instskip(NEXT) | instid1(VALU_DEP_1)
	v_clz_i32_u32_e32 v146, v145
	v_min_u32_e32 v146, 32, v146
	s_delay_alu instid0(VALU_DEP_1) | instskip(SKIP_1) | instid1(VALU_DEP_2)
	v_subrev_nc_u32_e32 v147, 29, v146
	v_sub_nc_u32_e32 v146, 30, v146
	v_lshlrev_b32_e32 v144, v147, v144
	v_bfe_u32 v147, v8, 26, 5
	v_and_b32_e32 v8, 0x80000000, v8
	s_delay_alu instid0(VALU_DEP_3) | instskip(NEXT) | instid1(VALU_DEP_3)
	v_and_b32_e32 v144, 3, v144
	v_cmp_eq_u32_e32 vcc_lo, 0, v147
	v_cndmask_b32_e32 v146, v147, v146, vcc_lo
	s_delay_alu instid0(VALU_DEP_3) | instskip(NEXT) | instid1(VALU_DEP_2)
	v_cndmask_b32_e32 v144, v145, v144, vcc_lo
	v_lshl_add_u32 v145, v146, 23, 0x37800000
	s_delay_alu instid0(VALU_DEP_2) | instskip(NEXT) | instid1(VALU_DEP_1)
	v_lshlrev_b32_e32 v144, 21, v144
	v_or3_b32 v145, v8, v145, v144
.LBB4_1232:                             ;   in Loop: Header=BB4_1183 Depth=3
	s_or_b32 exec_lo, exec_lo, s37
	s_delay_alu instid0(VALU_DEP_1) | instskip(NEXT) | instid1(VALU_DEP_1)
	v_mul_f32_e32 v144, s36, v145
	v_and_b32_e32 v8, 0x7f800000, v144
	s_delay_alu instid0(VALU_DEP_1)
	v_cmp_ne_u32_e32 vcc_lo, 0x7f800000, v8
	v_mov_b32_e32 v8, 0x80
	s_and_saveexec_b32 s37, vcc_lo
	s_cbranch_execz .LBB4_1240
; %bb.1233:                             ;   in Loop: Header=BB4_1183 Depth=3
	v_mov_b32_e32 v8, 0
	s_mov_b32 s38, exec_lo
	v_cmpx_ne_u32_e32 0, v144
	s_cbranch_execz .LBB4_1239
; %bb.1234:                             ;   in Loop: Header=BB4_1183 Depth=3
	v_bfe_u32 v8, v144, 23, 8
	s_delay_alu instid0(VALU_DEP_1) | instskip(SKIP_1) | instid1(VALU_DEP_2)
	v_sub_nc_u32_e32 v146, 0x70, v8
	v_cmp_gt_u32_e32 vcc_lo, 0x71, v8
	v_dual_cndmask_b32 v146, 0, v146 :: v_dual_and_b32 v145, 0x7fffff, v144
	s_delay_alu instid0(VALU_DEP_1) | instskip(SKIP_2) | instid1(VALU_DEP_4)
	v_or_b32_e32 v147, 0x800000, v145
	v_cmp_eq_u32_e32 vcc_lo, 0, v8
	v_add_nc_u32_e32 v8, 0xffffff91, v8
	v_cndmask_b32_e64 v146, v146, 0x6f, vcc_lo
	s_delay_alu instid0(VALU_DEP_4) | instskip(NEXT) | instid1(VALU_DEP_3)
	v_cndmask_b32_e32 v145, v147, v145, vcc_lo
	v_cndmask_b32_e64 v8, v8, 0xffffff92, vcc_lo
	s_delay_alu instid0(VALU_DEP_3) | instskip(NEXT) | instid1(VALU_DEP_3)
	v_lshl_add_u32 v147, 0x200000, v146, -1
	v_lshrrev_b32_e32 v148, v146, v145
	v_lshlrev_b32_e64 v150, v146, 0x100000
	s_delay_alu instid0(VALU_DEP_4) | instskip(NEXT) | instid1(VALU_DEP_4)
	v_add_nc_u32_e32 v146, v146, v8
	v_and_b32_e32 v145, v147, v145
	s_delay_alu instid0(VALU_DEP_4) | instskip(NEXT) | instid1(VALU_DEP_2)
	v_bfe_u32 v149, v148, 21, 1
	v_cmp_eq_u32_e64 s14, v145, v150
	s_delay_alu instid0(VALU_DEP_2) | instskip(NEXT) | instid1(VALU_DEP_1)
	v_add_nc_u32_e32 v147, -1, v149
	v_cndmask_b32_e64 v145, 0, v147, s14
	v_lshrrev_b32_e32 v147, 23, v148
	s_mov_b32 s14, exec_lo
	s_delay_alu instid0(VALU_DEP_2) | instskip(NEXT) | instid1(VALU_DEP_2)
	v_add_nc_u32_e32 v145, v145, v148
	v_xor_b32_e32 v147, 1, v147
	s_delay_alu instid0(VALU_DEP_2) | instskip(NEXT) | instid1(VALU_DEP_1)
	v_and_b32_e32 v8, 0x1fffff, v145
	v_add_nc_u32_e32 v145, v8, v148
                                        ; implicit-def: $vgpr8
	s_delay_alu instid0(VALU_DEP_3)
	v_cmpx_ne_u32_e64 v146, v147
	s_xor_b32 s14, exec_lo, s14
; %bb.1235:                             ;   in Loop: Header=BB4_1183 Depth=3
	s_delay_alu instid0(VALU_DEP_2) | instskip(SKIP_2) | instid1(VALU_DEP_2)
	v_cmp_lt_u32_e32 vcc_lo, 0xffffff, v145
	v_sub_nc_u32_e32 v8, v146, v147
	v_cndmask_b32_e64 v146, 0, 1, vcc_lo
	v_add_co_ci_u32_e32 v8, vcc_lo, 0, v8, vcc_lo
	s_delay_alu instid0(VALU_DEP_2)
	v_lshrrev_b32_e32 v145, v146, v145
; %bb.1236:                             ;   in Loop: Header=BB4_1183 Depth=3
	s_and_not1_saveexec_b32 s14, s14
; %bb.1237:                             ;   in Loop: Header=BB4_1183 Depth=3
	s_delay_alu instid0(VALU_DEP_1)
	v_bfe_u32 v8, v145, 23, 1
; %bb.1238:                             ;   in Loop: Header=BB4_1183 Depth=3
	s_or_b32 exec_lo, exec_lo, s14
	v_lshrrev_b32_e32 v145, 21, v145
	s_delay_alu instid0(VALU_DEP_2) | instskip(SKIP_2) | instid1(VALU_DEP_2)
	v_cmp_gt_i32_e32 vcc_lo, 32, v8
	v_lshrrev_b32_e32 v144, 24, v144
	v_min_i32_e32 v146, 31, v8
	v_dual_cndmask_b32 v145, 3, v145 :: v_dual_and_b32 v144, 0x80, v144
	s_delay_alu instid0(VALU_DEP_2) | instskip(NEXT) | instid1(VALU_DEP_2)
	v_lshlrev_b32_e32 v146, 2, v146
	v_or_b32_e32 v8, v8, v145
	s_delay_alu instid0(VALU_DEP_1) | instskip(SKIP_1) | instid1(VALU_DEP_1)
	v_cmp_ne_u32_e32 vcc_lo, 0, v8
	v_and_b32_e32 v147, 3, v145
	v_or3_b32 v144, v146, v144, v147
	s_delay_alu instid0(VALU_DEP_1)
	v_cndmask_b32_e32 v8, 0, v144, vcc_lo
.LBB4_1239:                             ;   in Loop: Header=BB4_1183 Depth=3
	s_or_b32 exec_lo, exec_lo, s38
.LBB4_1240:                             ;   in Loop: Header=BB4_1183 Depth=3
	s_delay_alu instid0(SALU_CYCLE_1) | instskip(SKIP_3) | instid1(VALU_DEP_1)
	s_or_b32 exec_lo, exec_lo, s37
	v_and_b32_e32 v145, 0xff, v9
	s_mov_b32 s14, 0
	s_mov_b32 s38, exec_lo
                                        ; implicit-def: $sgpr37
	v_cmpx_lt_i16_e64 0x7f, v145
	s_xor_b32 s38, exec_lo, s38
	s_cbranch_execnz .LBB4_1398
; %bb.1241:                             ;   in Loop: Header=BB4_1183 Depth=3
	s_or_saveexec_b32 s38, s38
	v_mov_b32_e32 v144, s37
	s_xor_b32 exec_lo, exec_lo, s38
	s_cbranch_execnz .LBB4_1401
.LBB4_1242:                             ;   in Loop: Header=BB4_1183 Depth=3
	s_or_b32 exec_lo, exec_lo, s38
	s_and_saveexec_b32 s37, s14
	s_cbranch_execz .LBB4_1244
.LBB4_1243:                             ;   in Loop: Header=BB4_1183 Depth=3
	v_and_b32_e32 v144, 3, v9
	v_bfe_u32 v147, v9, 2, 5
	v_lshlrev_b32_e32 v148, 24, v9
	s_delay_alu instid0(VALU_DEP_3) | instskip(NEXT) | instid1(VALU_DEP_3)
	v_clz_i32_u32_e32 v145, v144
	v_cmp_eq_u32_e32 vcc_lo, 0, v147
	s_delay_alu instid0(VALU_DEP_2) | instskip(NEXT) | instid1(VALU_DEP_1)
	v_min_u32_e32 v145, 32, v145
	v_subrev_nc_u32_e32 v146, 29, v145
	v_sub_nc_u32_e32 v145, 30, v145
	s_delay_alu instid0(VALU_DEP_2) | instskip(NEXT) | instid1(VALU_DEP_1)
	v_lshlrev_b32_e32 v146, v146, v9
	v_dual_cndmask_b32 v145, v147, v145 :: v_dual_and_b32 v146, 3, v146
	s_delay_alu instid0(VALU_DEP_1) | instskip(NEXT) | instid1(VALU_DEP_2)
	v_lshl_add_u32 v145, v145, 23, 0x37800000
	v_cndmask_b32_e32 v144, v144, v146, vcc_lo
	v_and_b32_e32 v146, 0x80000000, v148
	s_delay_alu instid0(VALU_DEP_2) | instskip(NEXT) | instid1(VALU_DEP_1)
	v_lshlrev_b32_e32 v144, 21, v144
	v_or3_b32 v144, v146, v145, v144
.LBB4_1244:                             ;   in Loop: Header=BB4_1183 Depth=3
	s_or_b32 exec_lo, exec_lo, s37
	s_delay_alu instid0(VALU_DEP_1) | instskip(NEXT) | instid1(VALU_DEP_1)
	v_mul_f32_e32 v145, s36, v144
	v_and_b32_e32 v144, 0x7f800000, v145
	s_delay_alu instid0(VALU_DEP_1)
	v_cmp_ne_u32_e32 vcc_lo, 0x7f800000, v144
	v_mov_b32_e32 v144, 0x80
	s_and_saveexec_b32 s37, vcc_lo
	s_cbranch_execz .LBB4_1252
; %bb.1245:                             ;   in Loop: Header=BB4_1183 Depth=3
	v_mov_b32_e32 v144, 0
	s_mov_b32 s38, exec_lo
	v_cmpx_ne_u32_e32 0, v145
	s_cbranch_execz .LBB4_1251
; %bb.1246:                             ;   in Loop: Header=BB4_1183 Depth=3
	v_bfe_u32 v144, v145, 23, 8
	s_delay_alu instid0(VALU_DEP_1) | instskip(SKIP_1) | instid1(VALU_DEP_2)
	v_sub_nc_u32_e32 v147, 0x70, v144
	v_cmp_gt_u32_e32 vcc_lo, 0x71, v144
	v_dual_cndmask_b32 v147, 0, v147 :: v_dual_and_b32 v146, 0x7fffff, v145
	s_delay_alu instid0(VALU_DEP_1) | instskip(SKIP_2) | instid1(VALU_DEP_4)
	v_or_b32_e32 v148, 0x800000, v146
	v_cmp_eq_u32_e32 vcc_lo, 0, v144
	v_add_nc_u32_e32 v144, 0xffffff91, v144
	v_cndmask_b32_e64 v147, v147, 0x6f, vcc_lo
	s_delay_alu instid0(VALU_DEP_2) | instskip(SKIP_1) | instid1(VALU_DEP_3)
	v_cndmask_b32_e64 v144, v144, 0xffffff92, vcc_lo
	v_cndmask_b32_e32 v146, v148, v146, vcc_lo
	v_lshl_add_u32 v148, 0x200000, v147, -1
	v_lshlrev_b32_e64 v151, v147, 0x100000
	s_delay_alu instid0(VALU_DEP_3) | instskip(SKIP_1) | instid1(VALU_DEP_4)
	v_lshrrev_b32_e32 v149, v147, v146
	v_add_nc_u32_e32 v147, v147, v144
	v_and_b32_e32 v146, v148, v146
	s_delay_alu instid0(VALU_DEP_3) | instskip(NEXT) | instid1(VALU_DEP_2)
	v_bfe_u32 v150, v149, 21, 1
	v_cmp_eq_u32_e64 s14, v146, v151
	s_delay_alu instid0(VALU_DEP_2) | instskip(NEXT) | instid1(VALU_DEP_1)
	v_add_nc_u32_e32 v148, -1, v150
	v_cndmask_b32_e64 v146, 0, v148, s14
	v_lshrrev_b32_e32 v148, 23, v149
	s_mov_b32 s14, exec_lo
	s_delay_alu instid0(VALU_DEP_2) | instskip(NEXT) | instid1(VALU_DEP_2)
	v_add_nc_u32_e32 v146, v146, v149
	v_xor_b32_e32 v148, 1, v148
	s_delay_alu instid0(VALU_DEP_2) | instskip(NEXT) | instid1(VALU_DEP_1)
	v_and_b32_e32 v144, 0x1fffff, v146
	v_add_nc_u32_e32 v146, v144, v149
                                        ; implicit-def: $vgpr144
	s_delay_alu instid0(VALU_DEP_3)
	v_cmpx_ne_u32_e64 v147, v148
	s_xor_b32 s14, exec_lo, s14
; %bb.1247:                             ;   in Loop: Header=BB4_1183 Depth=3
	s_delay_alu instid0(VALU_DEP_2) | instskip(SKIP_2) | instid1(VALU_DEP_2)
	v_cmp_lt_u32_e32 vcc_lo, 0xffffff, v146
	v_sub_nc_u32_e32 v144, v147, v148
	v_cndmask_b32_e64 v147, 0, 1, vcc_lo
	v_add_co_ci_u32_e32 v144, vcc_lo, 0, v144, vcc_lo
	s_delay_alu instid0(VALU_DEP_2)
	v_lshrrev_b32_e32 v146, v147, v146
; %bb.1248:                             ;   in Loop: Header=BB4_1183 Depth=3
	s_and_not1_saveexec_b32 s14, s14
; %bb.1249:                             ;   in Loop: Header=BB4_1183 Depth=3
	s_delay_alu instid0(VALU_DEP_1)
	v_bfe_u32 v144, v146, 23, 1
; %bb.1250:                             ;   in Loop: Header=BB4_1183 Depth=3
	s_or_b32 exec_lo, exec_lo, s14
	v_lshrrev_b32_e32 v146, 21, v146
	s_delay_alu instid0(VALU_DEP_2) | instskip(SKIP_2) | instid1(VALU_DEP_2)
	v_cmp_gt_i32_e32 vcc_lo, 32, v144
	v_min_i32_e32 v147, 31, v144
	v_lshrrev_b32_e32 v145, 24, v145
	v_dual_cndmask_b32 v146, 3, v146 :: v_dual_lshlrev_b32 v147, 2, v147
	s_delay_alu instid0(VALU_DEP_2) | instskip(NEXT) | instid1(VALU_DEP_2)
	v_and_b32_e32 v145, 0x80, v145
	v_or_b32_e32 v144, v144, v146
	v_and_b32_e32 v148, 3, v146
	s_delay_alu instid0(VALU_DEP_2) | instskip(SKIP_1) | instid1(VALU_DEP_1)
	v_cmp_ne_u32_e32 vcc_lo, 0, v144
	v_and_b32_e32 v147, 0xfc, v147
	v_or3_b32 v145, v147, v145, v148
	s_delay_alu instid0(VALU_DEP_1)
	v_cndmask_b32_e32 v144, 0, v145, vcc_lo
.LBB4_1251:                             ;   in Loop: Header=BB4_1183 Depth=3
	s_or_b32 exec_lo, exec_lo, s38
.LBB4_1252:                             ;   in Loop: Header=BB4_1183 Depth=3
	s_delay_alu instid0(SALU_CYCLE_1) | instskip(SKIP_3) | instid1(VALU_DEP_1)
	s_or_b32 exec_lo, exec_lo, s37
	v_lshrrev_b16 v145, 8, v9
	s_mov_b32 s14, 0
	s_mov_b32 s38, exec_lo
                                        ; implicit-def: $sgpr37
	v_cmpx_lt_i16_e64 0x7f, v145
	s_xor_b32 s38, exec_lo, s38
	s_cbranch_execnz .LBB4_1402
; %bb.1253:                             ;   in Loop: Header=BB4_1183 Depth=3
	s_or_saveexec_b32 s38, s38
	v_mov_b32_e32 v146, s37
	s_xor_b32 exec_lo, exec_lo, s38
	s_cbranch_execnz .LBB4_1405
.LBB4_1254:                             ;   in Loop: Header=BB4_1183 Depth=3
	s_or_b32 exec_lo, exec_lo, s38
	s_and_saveexec_b32 s37, s14
	s_cbranch_execz .LBB4_1256
.LBB4_1255:                             ;   in Loop: Header=BB4_1183 Depth=3
	v_and_b32_e32 v146, 0xffff, v145
	v_lshlrev_b32_e32 v145, 24, v145
	s_delay_alu instid0(VALU_DEP_2) | instskip(NEXT) | instid1(VALU_DEP_2)
	v_and_b32_e32 v147, 3, v146
	v_and_b32_e32 v145, 0x80000000, v145
	s_delay_alu instid0(VALU_DEP_2) | instskip(NEXT) | instid1(VALU_DEP_1)
	v_clz_i32_u32_e32 v148, v147
	v_min_u32_e32 v148, 32, v148
	s_delay_alu instid0(VALU_DEP_1) | instskip(SKIP_1) | instid1(VALU_DEP_2)
	v_subrev_nc_u32_e32 v149, 29, v148
	v_sub_nc_u32_e32 v148, 30, v148
	v_lshlrev_b32_e32 v149, v149, v146
	v_bfe_u32 v146, v146, 2, 5
	s_delay_alu instid0(VALU_DEP_2) | instskip(NEXT) | instid1(VALU_DEP_2)
	v_and_b32_e32 v149, 3, v149
	v_cmp_eq_u32_e32 vcc_lo, 0, v146
	s_delay_alu instid0(VALU_DEP_2) | instskip(NEXT) | instid1(VALU_DEP_1)
	v_dual_cndmask_b32 v146, v146, v148 :: v_dual_cndmask_b32 v147, v147, v149
	v_lshl_add_u32 v146, v146, 23, 0x37800000
	s_delay_alu instid0(VALU_DEP_2) | instskip(NEXT) | instid1(VALU_DEP_1)
	v_lshlrev_b32_e32 v147, 21, v147
	v_or3_b32 v146, v145, v146, v147
.LBB4_1256:                             ;   in Loop: Header=BB4_1183 Depth=3
	s_or_b32 exec_lo, exec_lo, s37
	s_delay_alu instid0(VALU_DEP_1) | instskip(NEXT) | instid1(VALU_DEP_1)
	v_mul_f32_e32 v146, s36, v146
	v_and_b32_e32 v145, 0x7f800000, v146
	s_delay_alu instid0(VALU_DEP_1)
	v_cmp_ne_u32_e32 vcc_lo, 0x7f800000, v145
	v_mov_b32_e32 v145, 0x8000
	s_and_saveexec_b32 s37, vcc_lo
	s_cbranch_execz .LBB4_1264
; %bb.1257:                             ;   in Loop: Header=BB4_1183 Depth=3
	v_mov_b32_e32 v145, 0
	s_mov_b32 s38, exec_lo
	v_cmpx_ne_u32_e32 0, v146
	s_cbranch_execz .LBB4_1263
; %bb.1258:                             ;   in Loop: Header=BB4_1183 Depth=3
	v_bfe_u32 v145, v146, 23, 8
	s_delay_alu instid0(VALU_DEP_1) | instskip(SKIP_1) | instid1(VALU_DEP_2)
	v_sub_nc_u32_e32 v148, 0x70, v145
	v_cmp_gt_u32_e32 vcc_lo, 0x71, v145
	v_dual_cndmask_b32 v148, 0, v148 :: v_dual_and_b32 v147, 0x7fffff, v146
	s_delay_alu instid0(VALU_DEP_1) | instskip(SKIP_2) | instid1(VALU_DEP_4)
	v_or_b32_e32 v149, 0x800000, v147
	v_cmp_eq_u32_e32 vcc_lo, 0, v145
	v_add_nc_u32_e32 v145, 0xffffff91, v145
	v_cndmask_b32_e64 v148, v148, 0x6f, vcc_lo
	s_delay_alu instid0(VALU_DEP_2) | instskip(SKIP_1) | instid1(VALU_DEP_3)
	v_cndmask_b32_e64 v145, v145, 0xffffff92, vcc_lo
	v_cndmask_b32_e32 v147, v149, v147, vcc_lo
	v_lshl_add_u32 v149, 0x200000, v148, -1
	v_lshlrev_b32_e64 v160, v148, 0x100000
	s_delay_alu instid0(VALU_DEP_3) | instskip(SKIP_1) | instid1(VALU_DEP_4)
	v_lshrrev_b32_e32 v150, v148, v147
	v_add_nc_u32_e32 v148, v148, v145
	v_and_b32_e32 v147, v149, v147
	s_delay_alu instid0(VALU_DEP_3) | instskip(NEXT) | instid1(VALU_DEP_2)
	v_bfe_u32 v151, v150, 21, 1
	v_cmp_eq_u32_e64 s14, v147, v160
	s_delay_alu instid0(VALU_DEP_2) | instskip(NEXT) | instid1(VALU_DEP_1)
	v_add_nc_u32_e32 v149, -1, v151
	v_cndmask_b32_e64 v147, 0, v149, s14
	v_lshrrev_b32_e32 v149, 23, v150
	s_mov_b32 s14, exec_lo
	s_delay_alu instid0(VALU_DEP_2) | instskip(NEXT) | instid1(VALU_DEP_2)
	v_add_nc_u32_e32 v147, v147, v150
	v_xor_b32_e32 v149, 1, v149
	s_delay_alu instid0(VALU_DEP_2) | instskip(NEXT) | instid1(VALU_DEP_1)
	v_and_b32_e32 v145, 0x1fffff, v147
	v_add_nc_u32_e32 v147, v145, v150
                                        ; implicit-def: $vgpr145
	s_delay_alu instid0(VALU_DEP_3)
	v_cmpx_ne_u32_e64 v148, v149
	s_xor_b32 s14, exec_lo, s14
; %bb.1259:                             ;   in Loop: Header=BB4_1183 Depth=3
	s_delay_alu instid0(VALU_DEP_2) | instskip(SKIP_2) | instid1(VALU_DEP_2)
	v_cmp_lt_u32_e32 vcc_lo, 0xffffff, v147
	v_sub_nc_u32_e32 v145, v148, v149
	v_cndmask_b32_e64 v148, 0, 1, vcc_lo
	v_add_co_ci_u32_e32 v145, vcc_lo, 0, v145, vcc_lo
	s_delay_alu instid0(VALU_DEP_2)
	v_lshrrev_b32_e32 v147, v148, v147
; %bb.1260:                             ;   in Loop: Header=BB4_1183 Depth=3
	s_and_not1_saveexec_b32 s14, s14
; %bb.1261:                             ;   in Loop: Header=BB4_1183 Depth=3
	s_delay_alu instid0(VALU_DEP_1)
	v_bfe_u32 v145, v147, 23, 1
; %bb.1262:                             ;   in Loop: Header=BB4_1183 Depth=3
	s_or_b32 exec_lo, exec_lo, s14
	v_lshrrev_b32_e32 v147, 21, v147
	s_delay_alu instid0(VALU_DEP_2) | instskip(SKIP_2) | instid1(VALU_DEP_2)
	v_cmp_gt_i32_e32 vcc_lo, 32, v145
	v_min_i32_e32 v148, 31, v145
	v_lshrrev_b32_e32 v146, 24, v146
	v_dual_cndmask_b32 v147, 3, v147 :: v_dual_lshlrev_b32 v148, 2, v148
	s_delay_alu instid0(VALU_DEP_2) | instskip(NEXT) | instid1(VALU_DEP_2)
	v_and_b32_e32 v146, 0x80, v146
	v_or_b32_e32 v145, v145, v147
	v_and_b32_e32 v149, 3, v147
	s_delay_alu instid0(VALU_DEP_2) | instskip(SKIP_1) | instid1(VALU_DEP_1)
	v_cmp_ne_u32_e32 vcc_lo, 0, v145
	v_and_b32_e32 v148, 0xfc, v148
	v_or3_b32 v146, v146, v148, v149
	s_delay_alu instid0(VALU_DEP_1) | instskip(NEXT) | instid1(VALU_DEP_1)
	v_lshlrev_b32_e32 v146, 8, v146
	v_cndmask_b32_e32 v145, 0, v146, vcc_lo
.LBB4_1263:                             ;   in Loop: Header=BB4_1183 Depth=3
	s_or_b32 exec_lo, exec_lo, s38
.LBB4_1264:                             ;   in Loop: Header=BB4_1183 Depth=3
	s_delay_alu instid0(SALU_CYCLE_1) | instskip(SKIP_3) | instid1(VALU_DEP_1)
	s_or_b32 exec_lo, exec_lo, s37
	v_lshrrev_b32_e32 v146, 16, v9
	s_mov_b32 s14, 0
	s_mov_b32 s38, exec_lo
                                        ; implicit-def: $sgpr37
	v_and_b32_e32 v148, 0xff, v146
	s_delay_alu instid0(VALU_DEP_1)
	v_cmpx_lt_i16_e64 0x7f, v148
	s_xor_b32 s38, exec_lo, s38
	s_cbranch_execnz .LBB4_1406
; %bb.1265:                             ;   in Loop: Header=BB4_1183 Depth=3
	s_or_saveexec_b32 s38, s38
	v_mov_b32_e32 v147, s37
	s_xor_b32 exec_lo, exec_lo, s38
	s_cbranch_execnz .LBB4_1409
.LBB4_1266:                             ;   in Loop: Header=BB4_1183 Depth=3
	s_or_b32 exec_lo, exec_lo, s38
	s_and_saveexec_b32 s37, s14
	s_cbranch_execz .LBB4_1268
.LBB4_1267:                             ;   in Loop: Header=BB4_1183 Depth=3
	v_bfe_u32 v147, v9, 16, 2
	v_lshlrev_b32_e32 v150, 8, v9
	s_delay_alu instid0(VALU_DEP_2) | instskip(NEXT) | instid1(VALU_DEP_1)
	v_clz_i32_u32_e32 v148, v147
	v_min_u32_e32 v148, 32, v148
	s_delay_alu instid0(VALU_DEP_1) | instskip(SKIP_1) | instid1(VALU_DEP_2)
	v_subrev_nc_u32_e32 v149, 29, v148
	v_sub_nc_u32_e32 v148, 30, v148
	v_lshlrev_b32_e32 v146, v149, v146
	v_bfe_u32 v149, v9, 18, 5
	s_delay_alu instid0(VALU_DEP_2) | instskip(NEXT) | instid1(VALU_DEP_2)
	v_and_b32_e32 v146, 3, v146
	v_cmp_eq_u32_e32 vcc_lo, 0, v149
	v_cndmask_b32_e32 v148, v149, v148, vcc_lo
	s_delay_alu instid0(VALU_DEP_3) | instskip(SKIP_1) | instid1(VALU_DEP_3)
	v_cndmask_b32_e32 v146, v147, v146, vcc_lo
	v_and_b32_e32 v147, 0x80000000, v150
	v_lshl_add_u32 v148, v148, 23, 0x37800000
	s_delay_alu instid0(VALU_DEP_3) | instskip(NEXT) | instid1(VALU_DEP_1)
	v_lshlrev_b32_e32 v146, 21, v146
	v_or3_b32 v147, v147, v148, v146
.LBB4_1268:                             ;   in Loop: Header=BB4_1183 Depth=3
	s_or_b32 exec_lo, exec_lo, s37
	s_delay_alu instid0(VALU_DEP_1) | instskip(NEXT) | instid1(VALU_DEP_1)
	v_mul_f32_e32 v147, s36, v147
	v_and_b32_e32 v146, 0x7f800000, v147
	s_delay_alu instid0(VALU_DEP_1)
	v_cmp_ne_u32_e32 vcc_lo, 0x7f800000, v146
	v_mov_b32_e32 v146, 0x80
	s_and_saveexec_b32 s37, vcc_lo
	s_cbranch_execz .LBB4_1276
; %bb.1269:                             ;   in Loop: Header=BB4_1183 Depth=3
	v_mov_b32_e32 v146, 0
	s_mov_b32 s38, exec_lo
	v_cmpx_ne_u32_e32 0, v147
	s_cbranch_execz .LBB4_1275
; %bb.1270:                             ;   in Loop: Header=BB4_1183 Depth=3
	v_bfe_u32 v146, v147, 23, 8
	s_delay_alu instid0(VALU_DEP_1) | instskip(SKIP_1) | instid1(VALU_DEP_2)
	v_sub_nc_u32_e32 v149, 0x70, v146
	v_cmp_gt_u32_e32 vcc_lo, 0x71, v146
	v_dual_cndmask_b32 v149, 0, v149 :: v_dual_and_b32 v148, 0x7fffff, v147
	s_delay_alu instid0(VALU_DEP_1) | instskip(SKIP_2) | instid1(VALU_DEP_4)
	v_or_b32_e32 v150, 0x800000, v148
	v_cmp_eq_u32_e32 vcc_lo, 0, v146
	v_add_nc_u32_e32 v146, 0xffffff91, v146
	v_cndmask_b32_e64 v149, v149, 0x6f, vcc_lo
	s_delay_alu instid0(VALU_DEP_2) | instskip(SKIP_1) | instid1(VALU_DEP_3)
	v_cndmask_b32_e64 v146, v146, 0xffffff92, vcc_lo
	v_cndmask_b32_e32 v148, v150, v148, vcc_lo
	v_lshl_add_u32 v150, 0x200000, v149, -1
	v_lshlrev_b32_e64 v161, v149, 0x100000
	s_delay_alu instid0(VALU_DEP_3) | instskip(SKIP_1) | instid1(VALU_DEP_4)
	v_lshrrev_b32_e32 v151, v149, v148
	v_add_nc_u32_e32 v149, v149, v146
	v_and_b32_e32 v148, v150, v148
	s_delay_alu instid0(VALU_DEP_3) | instskip(NEXT) | instid1(VALU_DEP_2)
	v_bfe_u32 v160, v151, 21, 1
	v_cmp_eq_u32_e64 s14, v148, v161
	s_delay_alu instid0(VALU_DEP_2) | instskip(NEXT) | instid1(VALU_DEP_1)
	v_add_nc_u32_e32 v150, -1, v160
	v_cndmask_b32_e64 v148, 0, v150, s14
	v_lshrrev_b32_e32 v150, 23, v151
	s_mov_b32 s14, exec_lo
	s_delay_alu instid0(VALU_DEP_2) | instskip(NEXT) | instid1(VALU_DEP_2)
	v_add_nc_u32_e32 v148, v148, v151
	v_xor_b32_e32 v150, 1, v150
	s_delay_alu instid0(VALU_DEP_2) | instskip(NEXT) | instid1(VALU_DEP_1)
	v_and_b32_e32 v146, 0x1fffff, v148
	v_add_nc_u32_e32 v148, v146, v151
                                        ; implicit-def: $vgpr146
	s_delay_alu instid0(VALU_DEP_3)
	v_cmpx_ne_u32_e64 v149, v150
	s_xor_b32 s14, exec_lo, s14
; %bb.1271:                             ;   in Loop: Header=BB4_1183 Depth=3
	s_delay_alu instid0(VALU_DEP_2) | instskip(SKIP_2) | instid1(VALU_DEP_2)
	v_cmp_lt_u32_e32 vcc_lo, 0xffffff, v148
	v_sub_nc_u32_e32 v146, v149, v150
	v_cndmask_b32_e64 v149, 0, 1, vcc_lo
	v_add_co_ci_u32_e32 v146, vcc_lo, 0, v146, vcc_lo
	s_delay_alu instid0(VALU_DEP_2)
	v_lshrrev_b32_e32 v148, v149, v148
; %bb.1272:                             ;   in Loop: Header=BB4_1183 Depth=3
	s_and_not1_saveexec_b32 s14, s14
; %bb.1273:                             ;   in Loop: Header=BB4_1183 Depth=3
	s_delay_alu instid0(VALU_DEP_1)
	v_bfe_u32 v146, v148, 23, 1
; %bb.1274:                             ;   in Loop: Header=BB4_1183 Depth=3
	s_or_b32 exec_lo, exec_lo, s14
	v_lshrrev_b32_e32 v148, 21, v148
	s_delay_alu instid0(VALU_DEP_2) | instskip(SKIP_2) | instid1(VALU_DEP_2)
	v_cmp_gt_i32_e32 vcc_lo, 32, v146
	v_min_i32_e32 v149, 31, v146
	v_lshrrev_b32_e32 v147, 24, v147
	v_dual_cndmask_b32 v148, 3, v148 :: v_dual_lshlrev_b32 v149, 2, v149
	s_delay_alu instid0(VALU_DEP_2) | instskip(NEXT) | instid1(VALU_DEP_2)
	v_and_b32_e32 v147, 0x80, v147
	v_or_b32_e32 v146, v146, v148
	v_and_b32_e32 v150, 3, v148
	s_delay_alu instid0(VALU_DEP_2) | instskip(SKIP_1) | instid1(VALU_DEP_1)
	v_cmp_ne_u32_e32 vcc_lo, 0, v146
	v_and_b32_e32 v149, 0xfc, v149
	v_or3_b32 v147, v149, v147, v150
	s_delay_alu instid0(VALU_DEP_1)
	v_cndmask_b32_e32 v146, 0, v147, vcc_lo
.LBB4_1275:                             ;   in Loop: Header=BB4_1183 Depth=3
	s_or_b32 exec_lo, exec_lo, s38
.LBB4_1276:                             ;   in Loop: Header=BB4_1183 Depth=3
	s_delay_alu instid0(SALU_CYCLE_1) | instskip(SKIP_3) | instid1(VALU_DEP_1)
	s_or_b32 exec_lo, exec_lo, s37
	v_lshrrev_b32_e32 v147, 24, v9
	s_mov_b32 s14, 0
	s_mov_b32 s38, exec_lo
                                        ; implicit-def: $sgpr37
	v_cmpx_lt_i16_e64 0x7f, v147
	s_xor_b32 s38, exec_lo, s38
	s_cbranch_execnz .LBB4_1410
; %bb.1277:                             ;   in Loop: Header=BB4_1183 Depth=3
	s_or_saveexec_b32 s38, s38
	v_mov_b32_e32 v148, s37
	s_xor_b32 exec_lo, exec_lo, s38
	s_cbranch_execnz .LBB4_1413
.LBB4_1278:                             ;   in Loop: Header=BB4_1183 Depth=3
	s_or_b32 exec_lo, exec_lo, s38
	s_and_saveexec_b32 s37, s14
	s_cbranch_execz .LBB4_1280
.LBB4_1279:                             ;   in Loop: Header=BB4_1183 Depth=3
	v_bfe_u32 v148, v9, 24, 2
	s_delay_alu instid0(VALU_DEP_1) | instskip(NEXT) | instid1(VALU_DEP_1)
	v_clz_i32_u32_e32 v149, v148
	v_min_u32_e32 v149, 32, v149
	s_delay_alu instid0(VALU_DEP_1) | instskip(SKIP_1) | instid1(VALU_DEP_2)
	v_subrev_nc_u32_e32 v150, 29, v149
	v_sub_nc_u32_e32 v149, 30, v149
	v_lshlrev_b32_e32 v147, v150, v147
	v_bfe_u32 v150, v9, 26, 5
	v_and_b32_e32 v9, 0x80000000, v9
	s_delay_alu instid0(VALU_DEP_3) | instskip(NEXT) | instid1(VALU_DEP_3)
	v_and_b32_e32 v147, 3, v147
	v_cmp_eq_u32_e32 vcc_lo, 0, v150
	v_cndmask_b32_e32 v149, v150, v149, vcc_lo
	s_delay_alu instid0(VALU_DEP_3) | instskip(NEXT) | instid1(VALU_DEP_2)
	v_cndmask_b32_e32 v147, v148, v147, vcc_lo
	v_lshl_add_u32 v148, v149, 23, 0x37800000
	s_delay_alu instid0(VALU_DEP_2) | instskip(NEXT) | instid1(VALU_DEP_1)
	v_lshlrev_b32_e32 v147, 21, v147
	v_or3_b32 v148, v9, v148, v147
.LBB4_1280:                             ;   in Loop: Header=BB4_1183 Depth=3
	s_or_b32 exec_lo, exec_lo, s37
	s_delay_alu instid0(VALU_DEP_1) | instskip(NEXT) | instid1(VALU_DEP_1)
	v_mul_f32_e32 v147, s36, v148
	v_and_b32_e32 v9, 0x7f800000, v147
	s_delay_alu instid0(VALU_DEP_1)
	v_cmp_ne_u32_e32 vcc_lo, 0x7f800000, v9
	v_mov_b32_e32 v9, 0x8000
	s_and_saveexec_b32 s37, vcc_lo
	s_cbranch_execz .LBB4_1288
; %bb.1281:                             ;   in Loop: Header=BB4_1183 Depth=3
	v_mov_b32_e32 v9, 0
	s_mov_b32 s38, exec_lo
	v_cmpx_ne_u32_e32 0, v147
	s_cbranch_execz .LBB4_1287
; %bb.1282:                             ;   in Loop: Header=BB4_1183 Depth=3
	v_bfe_u32 v9, v147, 23, 8
	s_delay_alu instid0(VALU_DEP_1) | instskip(SKIP_1) | instid1(VALU_DEP_2)
	v_sub_nc_u32_e32 v149, 0x70, v9
	v_cmp_gt_u32_e32 vcc_lo, 0x71, v9
	v_dual_cndmask_b32 v149, 0, v149 :: v_dual_and_b32 v148, 0x7fffff, v147
	s_delay_alu instid0(VALU_DEP_1) | instskip(SKIP_2) | instid1(VALU_DEP_4)
	v_or_b32_e32 v150, 0x800000, v148
	v_cmp_eq_u32_e32 vcc_lo, 0, v9
	v_add_nc_u32_e32 v9, 0xffffff91, v9
	v_cndmask_b32_e64 v149, v149, 0x6f, vcc_lo
	s_delay_alu instid0(VALU_DEP_4) | instskip(NEXT) | instid1(VALU_DEP_3)
	v_cndmask_b32_e32 v148, v150, v148, vcc_lo
	v_cndmask_b32_e64 v9, v9, 0xffffff92, vcc_lo
	s_delay_alu instid0(VALU_DEP_3) | instskip(NEXT) | instid1(VALU_DEP_3)
	v_lshl_add_u32 v150, 0x200000, v149, -1
	v_lshrrev_b32_e32 v151, v149, v148
	v_lshlrev_b32_e64 v161, v149, 0x100000
	s_delay_alu instid0(VALU_DEP_4) | instskip(NEXT) | instid1(VALU_DEP_4)
	v_add_nc_u32_e32 v149, v149, v9
	v_and_b32_e32 v148, v150, v148
	s_delay_alu instid0(VALU_DEP_4) | instskip(NEXT) | instid1(VALU_DEP_2)
	v_bfe_u32 v160, v151, 21, 1
	v_cmp_eq_u32_e64 s14, v148, v161
	s_delay_alu instid0(VALU_DEP_2) | instskip(NEXT) | instid1(VALU_DEP_1)
	v_add_nc_u32_e32 v150, -1, v160
	v_cndmask_b32_e64 v148, 0, v150, s14
	v_lshrrev_b32_e32 v150, 23, v151
	s_mov_b32 s14, exec_lo
	s_delay_alu instid0(VALU_DEP_2) | instskip(NEXT) | instid1(VALU_DEP_2)
	v_add_nc_u32_e32 v148, v148, v151
	v_xor_b32_e32 v150, 1, v150
	s_delay_alu instid0(VALU_DEP_2) | instskip(NEXT) | instid1(VALU_DEP_1)
	v_and_b32_e32 v9, 0x1fffff, v148
	v_add_nc_u32_e32 v148, v9, v151
                                        ; implicit-def: $vgpr9
	s_delay_alu instid0(VALU_DEP_3)
	v_cmpx_ne_u32_e64 v149, v150
	s_xor_b32 s14, exec_lo, s14
; %bb.1283:                             ;   in Loop: Header=BB4_1183 Depth=3
	s_delay_alu instid0(VALU_DEP_2) | instskip(SKIP_2) | instid1(VALU_DEP_2)
	v_cmp_lt_u32_e32 vcc_lo, 0xffffff, v148
	v_sub_nc_u32_e32 v9, v149, v150
	v_cndmask_b32_e64 v149, 0, 1, vcc_lo
	v_add_co_ci_u32_e32 v9, vcc_lo, 0, v9, vcc_lo
	s_delay_alu instid0(VALU_DEP_2)
	v_lshrrev_b32_e32 v148, v149, v148
; %bb.1284:                             ;   in Loop: Header=BB4_1183 Depth=3
	s_and_not1_saveexec_b32 s14, s14
; %bb.1285:                             ;   in Loop: Header=BB4_1183 Depth=3
	s_delay_alu instid0(VALU_DEP_1)
	v_bfe_u32 v9, v148, 23, 1
; %bb.1286:                             ;   in Loop: Header=BB4_1183 Depth=3
	s_or_b32 exec_lo, exec_lo, s14
	v_lshrrev_b32_e32 v148, 21, v148
	s_delay_alu instid0(VALU_DEP_2) | instskip(SKIP_2) | instid1(VALU_DEP_2)
	v_cmp_gt_i32_e32 vcc_lo, 32, v9
	v_min_i32_e32 v149, 31, v9
	v_lshrrev_b32_e32 v147, 24, v147
	v_dual_cndmask_b32 v148, 3, v148 :: v_dual_lshlrev_b32 v149, 2, v149
	s_delay_alu instid0(VALU_DEP_2) | instskip(NEXT) | instid1(VALU_DEP_2)
	v_and_b32_e32 v147, 0x80, v147
	v_or_b32_e32 v9, v9, v148
	s_delay_alu instid0(VALU_DEP_3) | instskip(NEXT) | instid1(VALU_DEP_2)
	v_and_b32_e32 v149, 0xfc, v149
	v_cmp_ne_u32_e32 vcc_lo, 0, v9
	v_and_b32_e32 v150, 3, v148
	s_delay_alu instid0(VALU_DEP_1) | instskip(NEXT) | instid1(VALU_DEP_1)
	v_or3_b32 v147, v147, v149, v150
	v_lshlrev_b32_e32 v147, 8, v147
	s_delay_alu instid0(VALU_DEP_1)
	v_cndmask_b32_e32 v9, 0, v147, vcc_lo
.LBB4_1287:                             ;   in Loop: Header=BB4_1183 Depth=3
	s_or_b32 exec_lo, exec_lo, s38
.LBB4_1288:                             ;   in Loop: Header=BB4_1183 Depth=3
	s_delay_alu instid0(SALU_CYCLE_1) | instskip(SKIP_3) | instid1(VALU_DEP_1)
	s_or_b32 exec_lo, exec_lo, s37
	v_and_b32_e32 v148, 0xff, v10
	s_mov_b32 s14, 0
	s_mov_b32 s38, exec_lo
                                        ; implicit-def: $sgpr37
	v_cmpx_lt_i16_e64 0x7f, v148
	s_xor_b32 s38, exec_lo, s38
	s_cbranch_execnz .LBB4_1414
; %bb.1289:                             ;   in Loop: Header=BB4_1183 Depth=3
	s_or_saveexec_b32 s38, s38
	v_mov_b32_e32 v147, s37
	s_xor_b32 exec_lo, exec_lo, s38
	s_cbranch_execnz .LBB4_1417
.LBB4_1290:                             ;   in Loop: Header=BB4_1183 Depth=3
	s_or_b32 exec_lo, exec_lo, s38
	s_and_saveexec_b32 s37, s14
	s_cbranch_execz .LBB4_1292
.LBB4_1291:                             ;   in Loop: Header=BB4_1183 Depth=3
	v_bfe_u32 v150, v10, 2, 5
	v_lshlrev_b32_e32 v151, 24, v10
	s_delay_alu instid0(VALU_DEP_2) | instskip(SKIP_1) | instid1(VALU_DEP_1)
	v_cmp_eq_u32_e32 vcc_lo, 0, v150
	v_and_b32_e32 v147, 3, v10
	v_clz_i32_u32_e32 v148, v147
	s_delay_alu instid0(VALU_DEP_1) | instskip(NEXT) | instid1(VALU_DEP_1)
	v_min_u32_e32 v148, 32, v148
	v_subrev_nc_u32_e32 v149, 29, v148
	v_sub_nc_u32_e32 v148, 30, v148
	s_delay_alu instid0(VALU_DEP_1) | instskip(NEXT) | instid1(VALU_DEP_1)
	v_dual_cndmask_b32 v148, v150, v148 :: v_dual_lshlrev_b32 v149, v149, v10
	v_and_b32_e32 v149, 3, v149
	s_delay_alu instid0(VALU_DEP_2) | instskip(NEXT) | instid1(VALU_DEP_2)
	v_lshl_add_u32 v148, v148, 23, 0x37800000
	v_cndmask_b32_e32 v147, v147, v149, vcc_lo
	v_and_b32_e32 v149, 0x80000000, v151
	s_delay_alu instid0(VALU_DEP_2) | instskip(NEXT) | instid1(VALU_DEP_1)
	v_lshlrev_b32_e32 v147, 21, v147
	v_or3_b32 v147, v149, v148, v147
.LBB4_1292:                             ;   in Loop: Header=BB4_1183 Depth=3
	s_or_b32 exec_lo, exec_lo, s37
	s_delay_alu instid0(VALU_DEP_1) | instskip(NEXT) | instid1(VALU_DEP_1)
	v_mul_f32_e32 v148, s36, v147
	v_and_b32_e32 v147, 0x7f800000, v148
	s_delay_alu instid0(VALU_DEP_1)
	v_cmp_ne_u32_e32 vcc_lo, 0x7f800000, v147
	v_mov_b32_e32 v147, 0x80
	s_and_saveexec_b32 s37, vcc_lo
	s_cbranch_execz .LBB4_1300
; %bb.1293:                             ;   in Loop: Header=BB4_1183 Depth=3
	v_mov_b32_e32 v147, 0
	s_mov_b32 s38, exec_lo
	v_cmpx_ne_u32_e32 0, v148
	s_cbranch_execz .LBB4_1299
; %bb.1294:                             ;   in Loop: Header=BB4_1183 Depth=3
	v_bfe_u32 v147, v148, 23, 8
	s_delay_alu instid0(VALU_DEP_1) | instskip(SKIP_1) | instid1(VALU_DEP_2)
	v_sub_nc_u32_e32 v150, 0x70, v147
	v_cmp_gt_u32_e32 vcc_lo, 0x71, v147
	v_dual_cndmask_b32 v150, 0, v150 :: v_dual_and_b32 v149, 0x7fffff, v148
	s_delay_alu instid0(VALU_DEP_1) | instskip(SKIP_2) | instid1(VALU_DEP_4)
	v_or_b32_e32 v151, 0x800000, v149
	v_cmp_eq_u32_e32 vcc_lo, 0, v147
	v_add_nc_u32_e32 v147, 0xffffff91, v147
	v_cndmask_b32_e64 v150, v150, 0x6f, vcc_lo
	s_delay_alu instid0(VALU_DEP_2) | instskip(SKIP_1) | instid1(VALU_DEP_3)
	v_cndmask_b32_e64 v147, v147, 0xffffff92, vcc_lo
	v_cndmask_b32_e32 v149, v151, v149, vcc_lo
	v_lshl_add_u32 v151, 0x200000, v150, -1
	v_lshlrev_b32_e64 v162, v150, 0x100000
	s_delay_alu instid0(VALU_DEP_3) | instskip(SKIP_1) | instid1(VALU_DEP_4)
	v_lshrrev_b32_e32 v160, v150, v149
	v_add_nc_u32_e32 v150, v150, v147
	v_and_b32_e32 v149, v151, v149
	s_delay_alu instid0(VALU_DEP_3) | instskip(NEXT) | instid1(VALU_DEP_2)
	v_bfe_u32 v161, v160, 21, 1
	v_cmp_eq_u32_e64 s14, v149, v162
	s_delay_alu instid0(VALU_DEP_2) | instskip(NEXT) | instid1(VALU_DEP_1)
	v_add_nc_u32_e32 v151, -1, v161
	v_cndmask_b32_e64 v149, 0, v151, s14
	v_lshrrev_b32_e32 v151, 23, v160
	s_mov_b32 s14, exec_lo
	s_delay_alu instid0(VALU_DEP_2) | instskip(NEXT) | instid1(VALU_DEP_2)
	v_add_nc_u32_e32 v149, v149, v160
	v_xor_b32_e32 v151, 1, v151
	s_delay_alu instid0(VALU_DEP_2) | instskip(NEXT) | instid1(VALU_DEP_1)
	v_and_b32_e32 v147, 0x1fffff, v149
	v_add_nc_u32_e32 v149, v147, v160
                                        ; implicit-def: $vgpr147
	s_delay_alu instid0(VALU_DEP_3)
	v_cmpx_ne_u32_e64 v150, v151
	s_xor_b32 s14, exec_lo, s14
; %bb.1295:                             ;   in Loop: Header=BB4_1183 Depth=3
	s_delay_alu instid0(VALU_DEP_2) | instskip(SKIP_2) | instid1(VALU_DEP_2)
	v_cmp_lt_u32_e32 vcc_lo, 0xffffff, v149
	v_sub_nc_u32_e32 v147, v150, v151
	v_cndmask_b32_e64 v150, 0, 1, vcc_lo
	v_add_co_ci_u32_e32 v147, vcc_lo, 0, v147, vcc_lo
	s_delay_alu instid0(VALU_DEP_2)
	v_lshrrev_b32_e32 v149, v150, v149
; %bb.1296:                             ;   in Loop: Header=BB4_1183 Depth=3
	s_and_not1_saveexec_b32 s14, s14
; %bb.1297:                             ;   in Loop: Header=BB4_1183 Depth=3
	s_delay_alu instid0(VALU_DEP_1)
	v_bfe_u32 v147, v149, 23, 1
; %bb.1298:                             ;   in Loop: Header=BB4_1183 Depth=3
	s_or_b32 exec_lo, exec_lo, s14
	v_lshrrev_b32_e32 v149, 21, v149
	s_delay_alu instid0(VALU_DEP_2) | instskip(SKIP_2) | instid1(VALU_DEP_2)
	v_cmp_gt_i32_e32 vcc_lo, 32, v147
	v_lshrrev_b32_e32 v148, 24, v148
	v_min_i32_e32 v150, 31, v147
	v_dual_cndmask_b32 v149, 3, v149 :: v_dual_and_b32 v148, 0x80, v148
	s_delay_alu instid0(VALU_DEP_1) | instskip(SKIP_1) | instid1(VALU_DEP_2)
	v_or_b32_e32 v147, v147, v149
	v_and_b32_e32 v151, 3, v149
	v_cmp_ne_u32_e32 vcc_lo, 0, v147
	v_lshlrev_b32_e32 v150, 2, v150
	s_delay_alu instid0(VALU_DEP_1) | instskip(NEXT) | instid1(VALU_DEP_1)
	v_or3_b32 v148, v150, v148, v151
	v_cndmask_b32_e32 v147, 0, v148, vcc_lo
.LBB4_1299:                             ;   in Loop: Header=BB4_1183 Depth=3
	s_or_b32 exec_lo, exec_lo, s38
.LBB4_1300:                             ;   in Loop: Header=BB4_1183 Depth=3
	s_delay_alu instid0(SALU_CYCLE_1) | instskip(SKIP_3) | instid1(VALU_DEP_1)
	s_or_b32 exec_lo, exec_lo, s37
	v_lshrrev_b16 v148, 8, v10
	s_mov_b32 s14, 0
	s_mov_b32 s38, exec_lo
                                        ; implicit-def: $sgpr37
	v_cmpx_lt_i16_e64 0x7f, v148
	s_xor_b32 s38, exec_lo, s38
	s_cbranch_execnz .LBB4_1418
; %bb.1301:                             ;   in Loop: Header=BB4_1183 Depth=3
	s_or_saveexec_b32 s38, s38
	v_mov_b32_e32 v149, s37
	s_xor_b32 exec_lo, exec_lo, s38
	s_cbranch_execnz .LBB4_1421
.LBB4_1302:                             ;   in Loop: Header=BB4_1183 Depth=3
	s_or_b32 exec_lo, exec_lo, s38
	s_and_saveexec_b32 s37, s14
	s_cbranch_execz .LBB4_1304
.LBB4_1303:                             ;   in Loop: Header=BB4_1183 Depth=3
	v_and_b32_e32 v149, 0xffff, v148
	v_lshlrev_b32_e32 v148, 24, v148
	s_delay_alu instid0(VALU_DEP_2) | instskip(NEXT) | instid1(VALU_DEP_2)
	v_and_b32_e32 v150, 3, v149
	v_and_b32_e32 v148, 0x80000000, v148
	s_delay_alu instid0(VALU_DEP_2) | instskip(NEXT) | instid1(VALU_DEP_1)
	v_clz_i32_u32_e32 v151, v150
	v_min_u32_e32 v151, 32, v151
	s_delay_alu instid0(VALU_DEP_1) | instskip(SKIP_1) | instid1(VALU_DEP_2)
	v_subrev_nc_u32_e32 v160, 29, v151
	v_sub_nc_u32_e32 v151, 30, v151
	v_lshlrev_b32_e32 v160, v160, v149
	v_bfe_u32 v149, v149, 2, 5
	s_delay_alu instid0(VALU_DEP_2) | instskip(NEXT) | instid1(VALU_DEP_2)
	v_and_b32_e32 v160, 3, v160
	v_cmp_eq_u32_e32 vcc_lo, 0, v149
	s_delay_alu instid0(VALU_DEP_2) | instskip(NEXT) | instid1(VALU_DEP_1)
	v_dual_cndmask_b32 v149, v149, v151 :: v_dual_cndmask_b32 v150, v150, v160
	v_lshl_add_u32 v149, v149, 23, 0x37800000
	s_delay_alu instid0(VALU_DEP_2) | instskip(NEXT) | instid1(VALU_DEP_1)
	v_lshlrev_b32_e32 v150, 21, v150
	v_or3_b32 v149, v148, v149, v150
.LBB4_1304:                             ;   in Loop: Header=BB4_1183 Depth=3
	s_or_b32 exec_lo, exec_lo, s37
	s_delay_alu instid0(VALU_DEP_1) | instskip(NEXT) | instid1(VALU_DEP_1)
	v_mul_f32_e32 v149, s36, v149
	v_and_b32_e32 v148, 0x7f800000, v149
	s_delay_alu instid0(VALU_DEP_1)
	v_cmp_ne_u32_e32 vcc_lo, 0x7f800000, v148
	v_mov_b32_e32 v148, 0x80
	s_and_saveexec_b32 s37, vcc_lo
	s_cbranch_execz .LBB4_1312
; %bb.1305:                             ;   in Loop: Header=BB4_1183 Depth=3
	v_mov_b32_e32 v148, 0
	s_mov_b32 s38, exec_lo
	v_cmpx_ne_u32_e32 0, v149
	s_cbranch_execz .LBB4_1311
; %bb.1306:                             ;   in Loop: Header=BB4_1183 Depth=3
	v_bfe_u32 v148, v149, 23, 8
	s_delay_alu instid0(VALU_DEP_1) | instskip(SKIP_1) | instid1(VALU_DEP_2)
	v_sub_nc_u32_e32 v151, 0x70, v148
	v_cmp_gt_u32_e32 vcc_lo, 0x71, v148
	v_dual_cndmask_b32 v151, 0, v151 :: v_dual_and_b32 v150, 0x7fffff, v149
	s_delay_alu instid0(VALU_DEP_1) | instskip(SKIP_2) | instid1(VALU_DEP_4)
	v_or_b32_e32 v160, 0x800000, v150
	v_cmp_eq_u32_e32 vcc_lo, 0, v148
	v_add_nc_u32_e32 v148, 0xffffff91, v148
	v_cndmask_b32_e64 v151, v151, 0x6f, vcc_lo
	s_delay_alu instid0(VALU_DEP_2) | instskip(SKIP_1) | instid1(VALU_DEP_3)
	v_cndmask_b32_e64 v148, v148, 0xffffff92, vcc_lo
	v_cndmask_b32_e32 v150, v160, v150, vcc_lo
	v_lshl_add_u32 v160, 0x200000, v151, -1
	v_lshlrev_b32_e64 v163, v151, 0x100000
	s_delay_alu instid0(VALU_DEP_3) | instskip(SKIP_1) | instid1(VALU_DEP_4)
	v_lshrrev_b32_e32 v161, v151, v150
	v_add_nc_u32_e32 v151, v151, v148
	v_and_b32_e32 v150, v160, v150
	s_delay_alu instid0(VALU_DEP_3) | instskip(NEXT) | instid1(VALU_DEP_2)
	v_bfe_u32 v162, v161, 21, 1
	v_cmp_eq_u32_e64 s14, v150, v163
	s_delay_alu instid0(VALU_DEP_2) | instskip(NEXT) | instid1(VALU_DEP_1)
	v_add_nc_u32_e32 v160, -1, v162
	v_cndmask_b32_e64 v150, 0, v160, s14
	v_lshrrev_b32_e32 v160, 23, v161
	s_mov_b32 s14, exec_lo
	s_delay_alu instid0(VALU_DEP_2) | instskip(NEXT) | instid1(VALU_DEP_2)
	v_add_nc_u32_e32 v150, v150, v161
	v_xor_b32_e32 v160, 1, v160
	s_delay_alu instid0(VALU_DEP_2) | instskip(NEXT) | instid1(VALU_DEP_1)
	v_and_b32_e32 v148, 0x1fffff, v150
	v_add_nc_u32_e32 v150, v148, v161
                                        ; implicit-def: $vgpr148
	s_delay_alu instid0(VALU_DEP_3)
	v_cmpx_ne_u32_e64 v151, v160
	s_xor_b32 s14, exec_lo, s14
; %bb.1307:                             ;   in Loop: Header=BB4_1183 Depth=3
	s_delay_alu instid0(VALU_DEP_2) | instskip(SKIP_2) | instid1(VALU_DEP_2)
	v_cmp_lt_u32_e32 vcc_lo, 0xffffff, v150
	v_sub_nc_u32_e32 v148, v151, v160
	v_cndmask_b32_e64 v151, 0, 1, vcc_lo
	v_add_co_ci_u32_e32 v148, vcc_lo, 0, v148, vcc_lo
	s_delay_alu instid0(VALU_DEP_2)
	v_lshrrev_b32_e32 v150, v151, v150
; %bb.1308:                             ;   in Loop: Header=BB4_1183 Depth=3
	s_and_not1_saveexec_b32 s14, s14
; %bb.1309:                             ;   in Loop: Header=BB4_1183 Depth=3
	s_delay_alu instid0(VALU_DEP_1)
	v_bfe_u32 v148, v150, 23, 1
; %bb.1310:                             ;   in Loop: Header=BB4_1183 Depth=3
	s_or_b32 exec_lo, exec_lo, s14
	v_lshrrev_b32_e32 v150, 21, v150
	s_delay_alu instid0(VALU_DEP_2) | instskip(SKIP_2) | instid1(VALU_DEP_2)
	v_cmp_gt_i32_e32 vcc_lo, 32, v148
	v_lshrrev_b32_e32 v149, 24, v149
	v_min_i32_e32 v151, 31, v148
	v_dual_cndmask_b32 v150, 3, v150 :: v_dual_and_b32 v149, 0x80, v149
	s_delay_alu instid0(VALU_DEP_1) | instskip(SKIP_1) | instid1(VALU_DEP_2)
	v_or_b32_e32 v148, v148, v150
	v_and_b32_e32 v160, 3, v150
	v_cmp_ne_u32_e32 vcc_lo, 0, v148
	v_lshlrev_b32_e32 v151, 2, v151
	s_delay_alu instid0(VALU_DEP_1) | instskip(NEXT) | instid1(VALU_DEP_1)
	v_or3_b32 v149, v151, v149, v160
	v_cndmask_b32_e32 v148, 0, v149, vcc_lo
.LBB4_1311:                             ;   in Loop: Header=BB4_1183 Depth=3
	s_or_b32 exec_lo, exec_lo, s38
.LBB4_1312:                             ;   in Loop: Header=BB4_1183 Depth=3
	s_delay_alu instid0(SALU_CYCLE_1) | instskip(SKIP_3) | instid1(VALU_DEP_1)
	s_or_b32 exec_lo, exec_lo, s37
	v_lshrrev_b32_e32 v149, 16, v10
	s_mov_b32 s14, 0
	s_mov_b32 s38, exec_lo
                                        ; implicit-def: $sgpr37
	v_and_b32_e32 v151, 0xff, v149
	s_delay_alu instid0(VALU_DEP_1)
	v_cmpx_lt_i16_e64 0x7f, v151
	s_xor_b32 s38, exec_lo, s38
	s_cbranch_execnz .LBB4_1422
; %bb.1313:                             ;   in Loop: Header=BB4_1183 Depth=3
	s_or_saveexec_b32 s38, s38
	v_mov_b32_e32 v150, s37
	s_xor_b32 exec_lo, exec_lo, s38
	s_cbranch_execnz .LBB4_1425
.LBB4_1314:                             ;   in Loop: Header=BB4_1183 Depth=3
	s_or_b32 exec_lo, exec_lo, s38
	s_and_saveexec_b32 s37, s14
	s_cbranch_execz .LBB4_1316
.LBB4_1315:                             ;   in Loop: Header=BB4_1183 Depth=3
	v_bfe_u32 v150, v10, 16, 2
	v_lshlrev_b32_e32 v161, 8, v10
	s_delay_alu instid0(VALU_DEP_2) | instskip(NEXT) | instid1(VALU_DEP_1)
	v_clz_i32_u32_e32 v151, v150
	v_min_u32_e32 v151, 32, v151
	s_delay_alu instid0(VALU_DEP_1) | instskip(SKIP_1) | instid1(VALU_DEP_2)
	v_subrev_nc_u32_e32 v160, 29, v151
	v_sub_nc_u32_e32 v151, 30, v151
	v_lshlrev_b32_e32 v149, v160, v149
	v_bfe_u32 v160, v10, 18, 5
	s_delay_alu instid0(VALU_DEP_2) | instskip(NEXT) | instid1(VALU_DEP_2)
	v_and_b32_e32 v149, 3, v149
	v_cmp_eq_u32_e32 vcc_lo, 0, v160
	v_cndmask_b32_e32 v151, v160, v151, vcc_lo
	s_delay_alu instid0(VALU_DEP_3) | instskip(SKIP_1) | instid1(VALU_DEP_3)
	v_cndmask_b32_e32 v149, v150, v149, vcc_lo
	v_and_b32_e32 v150, 0x80000000, v161
	v_lshl_add_u32 v151, v151, 23, 0x37800000
	s_delay_alu instid0(VALU_DEP_3) | instskip(NEXT) | instid1(VALU_DEP_1)
	v_lshlrev_b32_e32 v149, 21, v149
	v_or3_b32 v150, v150, v151, v149
.LBB4_1316:                             ;   in Loop: Header=BB4_1183 Depth=3
	s_or_b32 exec_lo, exec_lo, s37
	s_delay_alu instid0(VALU_DEP_1) | instskip(NEXT) | instid1(VALU_DEP_1)
	v_mul_f32_e32 v150, s36, v150
	v_and_b32_e32 v149, 0x7f800000, v150
	s_delay_alu instid0(VALU_DEP_1)
	v_cmp_ne_u32_e32 vcc_lo, 0x7f800000, v149
	v_mov_b32_e32 v149, 0x80
	s_and_saveexec_b32 s37, vcc_lo
	s_cbranch_execz .LBB4_1324
; %bb.1317:                             ;   in Loop: Header=BB4_1183 Depth=3
	v_mov_b32_e32 v149, 0
	s_mov_b32 s38, exec_lo
	v_cmpx_ne_u32_e32 0, v150
	s_cbranch_execz .LBB4_1323
; %bb.1318:                             ;   in Loop: Header=BB4_1183 Depth=3
	v_bfe_u32 v149, v150, 23, 8
	s_delay_alu instid0(VALU_DEP_1) | instskip(SKIP_1) | instid1(VALU_DEP_2)
	v_sub_nc_u32_e32 v160, 0x70, v149
	v_cmp_gt_u32_e32 vcc_lo, 0x71, v149
	v_dual_cndmask_b32 v160, 0, v160 :: v_dual_and_b32 v151, 0x7fffff, v150
	s_delay_alu instid0(VALU_DEP_1) | instskip(SKIP_2) | instid1(VALU_DEP_4)
	v_or_b32_e32 v161, 0x800000, v151
	v_cmp_eq_u32_e32 vcc_lo, 0, v149
	v_add_nc_u32_e32 v149, 0xffffff91, v149
	v_cndmask_b32_e64 v160, v160, 0x6f, vcc_lo
	s_delay_alu instid0(VALU_DEP_2) | instskip(SKIP_1) | instid1(VALU_DEP_3)
	v_cndmask_b32_e64 v149, v149, 0xffffff92, vcc_lo
	v_cndmask_b32_e32 v151, v161, v151, vcc_lo
	v_lshl_add_u32 v161, 0x200000, v160, -1
	v_lshlrev_b32_e64 v164, v160, 0x100000
	s_delay_alu instid0(VALU_DEP_3) | instskip(SKIP_1) | instid1(VALU_DEP_4)
	v_lshrrev_b32_e32 v162, v160, v151
	v_add_nc_u32_e32 v160, v160, v149
	v_and_b32_e32 v151, v161, v151
	s_delay_alu instid0(VALU_DEP_3) | instskip(NEXT) | instid1(VALU_DEP_2)
	v_bfe_u32 v163, v162, 21, 1
	v_cmp_eq_u32_e64 s14, v151, v164
	s_delay_alu instid0(VALU_DEP_2) | instskip(NEXT) | instid1(VALU_DEP_1)
	v_add_nc_u32_e32 v161, -1, v163
	v_cndmask_b32_e64 v151, 0, v161, s14
	v_lshrrev_b32_e32 v161, 23, v162
	s_mov_b32 s14, exec_lo
	s_delay_alu instid0(VALU_DEP_2) | instskip(NEXT) | instid1(VALU_DEP_2)
	v_add_nc_u32_e32 v151, v151, v162
	v_xor_b32_e32 v161, 1, v161
	s_delay_alu instid0(VALU_DEP_2) | instskip(NEXT) | instid1(VALU_DEP_1)
	v_and_b32_e32 v149, 0x1fffff, v151
	v_add_nc_u32_e32 v151, v149, v162
                                        ; implicit-def: $vgpr149
	s_delay_alu instid0(VALU_DEP_3)
	v_cmpx_ne_u32_e64 v160, v161
	s_xor_b32 s14, exec_lo, s14
; %bb.1319:                             ;   in Loop: Header=BB4_1183 Depth=3
	s_delay_alu instid0(VALU_DEP_2) | instskip(SKIP_2) | instid1(VALU_DEP_2)
	v_cmp_lt_u32_e32 vcc_lo, 0xffffff, v151
	v_sub_nc_u32_e32 v149, v160, v161
	v_cndmask_b32_e64 v160, 0, 1, vcc_lo
	v_add_co_ci_u32_e32 v149, vcc_lo, 0, v149, vcc_lo
	s_delay_alu instid0(VALU_DEP_2)
	v_lshrrev_b32_e32 v151, v160, v151
; %bb.1320:                             ;   in Loop: Header=BB4_1183 Depth=3
	s_and_not1_saveexec_b32 s14, s14
; %bb.1321:                             ;   in Loop: Header=BB4_1183 Depth=3
	s_delay_alu instid0(VALU_DEP_1)
	v_bfe_u32 v149, v151, 23, 1
; %bb.1322:                             ;   in Loop: Header=BB4_1183 Depth=3
	s_or_b32 exec_lo, exec_lo, s14
	v_lshrrev_b32_e32 v151, 21, v151
	s_delay_alu instid0(VALU_DEP_2) | instskip(SKIP_2) | instid1(VALU_DEP_2)
	v_cmp_gt_i32_e32 vcc_lo, 32, v149
	v_lshrrev_b32_e32 v150, 24, v150
	v_min_i32_e32 v160, 31, v149
	v_dual_cndmask_b32 v151, 3, v151 :: v_dual_and_b32 v150, 0x80, v150
	s_delay_alu instid0(VALU_DEP_1) | instskip(SKIP_1) | instid1(VALU_DEP_2)
	v_or_b32_e32 v149, v149, v151
	v_and_b32_e32 v161, 3, v151
	v_cmp_ne_u32_e32 vcc_lo, 0, v149
	v_lshlrev_b32_e32 v160, 2, v160
	s_delay_alu instid0(VALU_DEP_1) | instskip(NEXT) | instid1(VALU_DEP_1)
	v_or3_b32 v150, v160, v150, v161
	v_cndmask_b32_e32 v149, 0, v150, vcc_lo
.LBB4_1323:                             ;   in Loop: Header=BB4_1183 Depth=3
	s_or_b32 exec_lo, exec_lo, s38
.LBB4_1324:                             ;   in Loop: Header=BB4_1183 Depth=3
	s_delay_alu instid0(SALU_CYCLE_1) | instskip(SKIP_3) | instid1(VALU_DEP_1)
	s_or_b32 exec_lo, exec_lo, s37
	v_lshrrev_b32_e32 v150, 24, v10
	s_mov_b32 s14, 0
	s_mov_b32 s38, exec_lo
                                        ; implicit-def: $sgpr37
	v_cmpx_lt_i16_e64 0x7f, v150
	s_xor_b32 s38, exec_lo, s38
	s_cbranch_execnz .LBB4_1426
; %bb.1325:                             ;   in Loop: Header=BB4_1183 Depth=3
	s_or_saveexec_b32 s38, s38
	v_mov_b32_e32 v151, s37
	s_xor_b32 exec_lo, exec_lo, s38
	s_cbranch_execnz .LBB4_1429
.LBB4_1326:                             ;   in Loop: Header=BB4_1183 Depth=3
	s_or_b32 exec_lo, exec_lo, s38
	s_and_saveexec_b32 s37, s14
	s_cbranch_execz .LBB4_1328
.LBB4_1327:                             ;   in Loop: Header=BB4_1183 Depth=3
	v_bfe_u32 v151, v10, 24, 2
	s_delay_alu instid0(VALU_DEP_1) | instskip(NEXT) | instid1(VALU_DEP_1)
	v_clz_i32_u32_e32 v160, v151
	v_min_u32_e32 v160, 32, v160
	s_delay_alu instid0(VALU_DEP_1) | instskip(SKIP_1) | instid1(VALU_DEP_2)
	v_subrev_nc_u32_e32 v161, 29, v160
	v_sub_nc_u32_e32 v160, 30, v160
	v_lshlrev_b32_e32 v150, v161, v150
	v_bfe_u32 v161, v10, 26, 5
	v_and_b32_e32 v10, 0x80000000, v10
	s_delay_alu instid0(VALU_DEP_3) | instskip(NEXT) | instid1(VALU_DEP_3)
	v_and_b32_e32 v150, 3, v150
	v_cmp_eq_u32_e32 vcc_lo, 0, v161
	v_cndmask_b32_e32 v160, v161, v160, vcc_lo
	s_delay_alu instid0(VALU_DEP_3) | instskip(NEXT) | instid1(VALU_DEP_2)
	v_cndmask_b32_e32 v150, v151, v150, vcc_lo
	v_lshl_add_u32 v151, v160, 23, 0x37800000
	s_delay_alu instid0(VALU_DEP_2) | instskip(NEXT) | instid1(VALU_DEP_1)
	v_lshlrev_b32_e32 v150, 21, v150
	v_or3_b32 v151, v10, v151, v150
.LBB4_1328:                             ;   in Loop: Header=BB4_1183 Depth=3
	s_or_b32 exec_lo, exec_lo, s37
	s_delay_alu instid0(VALU_DEP_1) | instskip(NEXT) | instid1(VALU_DEP_1)
	v_mul_f32_e32 v150, s36, v151
	v_and_b32_e32 v10, 0x7f800000, v150
	s_delay_alu instid0(VALU_DEP_1)
	v_cmp_ne_u32_e32 vcc_lo, 0x7f800000, v10
	v_mov_b32_e32 v10, 0x80
	s_and_saveexec_b32 s37, vcc_lo
	s_cbranch_execz .LBB4_1336
; %bb.1329:                             ;   in Loop: Header=BB4_1183 Depth=3
	v_mov_b32_e32 v10, 0
	s_mov_b32 s38, exec_lo
	v_cmpx_ne_u32_e32 0, v150
	s_cbranch_execz .LBB4_1335
; %bb.1330:                             ;   in Loop: Header=BB4_1183 Depth=3
	v_bfe_u32 v10, v150, 23, 8
	s_delay_alu instid0(VALU_DEP_1) | instskip(SKIP_1) | instid1(VALU_DEP_2)
	v_sub_nc_u32_e32 v160, 0x70, v10
	v_cmp_gt_u32_e32 vcc_lo, 0x71, v10
	v_dual_cndmask_b32 v160, 0, v160 :: v_dual_and_b32 v151, 0x7fffff, v150
	s_delay_alu instid0(VALU_DEP_1) | instskip(SKIP_2) | instid1(VALU_DEP_4)
	v_or_b32_e32 v161, 0x800000, v151
	v_cmp_eq_u32_e32 vcc_lo, 0, v10
	v_add_nc_u32_e32 v10, 0xffffff91, v10
	v_cndmask_b32_e64 v160, v160, 0x6f, vcc_lo
	s_delay_alu instid0(VALU_DEP_4) | instskip(NEXT) | instid1(VALU_DEP_3)
	v_cndmask_b32_e32 v151, v161, v151, vcc_lo
	v_cndmask_b32_e64 v10, v10, 0xffffff92, vcc_lo
	s_delay_alu instid0(VALU_DEP_3) | instskip(NEXT) | instid1(VALU_DEP_3)
	v_lshl_add_u32 v161, 0x200000, v160, -1
	v_lshrrev_b32_e32 v162, v160, v151
	v_lshlrev_b32_e64 v164, v160, 0x100000
	s_delay_alu instid0(VALU_DEP_4) | instskip(NEXT) | instid1(VALU_DEP_4)
	v_add_nc_u32_e32 v160, v160, v10
	v_and_b32_e32 v151, v161, v151
	s_delay_alu instid0(VALU_DEP_4) | instskip(NEXT) | instid1(VALU_DEP_2)
	v_bfe_u32 v163, v162, 21, 1
	v_cmp_eq_u32_e64 s14, v151, v164
	s_delay_alu instid0(VALU_DEP_2) | instskip(NEXT) | instid1(VALU_DEP_1)
	v_add_nc_u32_e32 v161, -1, v163
	v_cndmask_b32_e64 v151, 0, v161, s14
	v_lshrrev_b32_e32 v161, 23, v162
	s_mov_b32 s14, exec_lo
	s_delay_alu instid0(VALU_DEP_2) | instskip(NEXT) | instid1(VALU_DEP_2)
	v_add_nc_u32_e32 v151, v151, v162
	v_xor_b32_e32 v161, 1, v161
	s_delay_alu instid0(VALU_DEP_2) | instskip(NEXT) | instid1(VALU_DEP_1)
	v_and_b32_e32 v10, 0x1fffff, v151
	v_add_nc_u32_e32 v151, v10, v162
                                        ; implicit-def: $vgpr10
	s_delay_alu instid0(VALU_DEP_3)
	v_cmpx_ne_u32_e64 v160, v161
	s_xor_b32 s14, exec_lo, s14
; %bb.1331:                             ;   in Loop: Header=BB4_1183 Depth=3
	s_delay_alu instid0(VALU_DEP_2) | instskip(SKIP_2) | instid1(VALU_DEP_2)
	v_cmp_lt_u32_e32 vcc_lo, 0xffffff, v151
	v_sub_nc_u32_e32 v10, v160, v161
	v_cndmask_b32_e64 v160, 0, 1, vcc_lo
	v_add_co_ci_u32_e32 v10, vcc_lo, 0, v10, vcc_lo
	s_delay_alu instid0(VALU_DEP_2)
	v_lshrrev_b32_e32 v151, v160, v151
; %bb.1332:                             ;   in Loop: Header=BB4_1183 Depth=3
	s_and_not1_saveexec_b32 s14, s14
; %bb.1333:                             ;   in Loop: Header=BB4_1183 Depth=3
	s_delay_alu instid0(VALU_DEP_1)
	v_bfe_u32 v10, v151, 23, 1
; %bb.1334:                             ;   in Loop: Header=BB4_1183 Depth=3
	s_or_b32 exec_lo, exec_lo, s14
	v_lshrrev_b32_e32 v151, 21, v151
	s_delay_alu instid0(VALU_DEP_2) | instskip(SKIP_2) | instid1(VALU_DEP_2)
	v_cmp_gt_i32_e32 vcc_lo, 32, v10
	v_lshrrev_b32_e32 v150, 24, v150
	v_min_i32_e32 v160, 31, v10
	v_dual_cndmask_b32 v151, 3, v151 :: v_dual_and_b32 v150, 0x80, v150
	s_delay_alu instid0(VALU_DEP_2) | instskip(NEXT) | instid1(VALU_DEP_2)
	v_lshlrev_b32_e32 v160, 2, v160
	v_or_b32_e32 v10, v10, v151
	s_delay_alu instid0(VALU_DEP_1) | instskip(SKIP_1) | instid1(VALU_DEP_1)
	v_cmp_ne_u32_e32 vcc_lo, 0, v10
	v_and_b32_e32 v161, 3, v151
	v_or3_b32 v150, v160, v150, v161
	s_delay_alu instid0(VALU_DEP_1)
	v_cndmask_b32_e32 v10, 0, v150, vcc_lo
.LBB4_1335:                             ;   in Loop: Header=BB4_1183 Depth=3
	s_or_b32 exec_lo, exec_lo, s38
.LBB4_1336:                             ;   in Loop: Header=BB4_1183 Depth=3
	s_delay_alu instid0(SALU_CYCLE_1) | instskip(SKIP_3) | instid1(VALU_DEP_1)
	s_or_b32 exec_lo, exec_lo, s37
	v_and_b32_e32 v151, 0xff, v11
	s_mov_b32 s14, 0
	s_mov_b32 s38, exec_lo
                                        ; implicit-def: $sgpr37
	v_cmpx_lt_i16_e64 0x7f, v151
	s_xor_b32 s38, exec_lo, s38
	s_cbranch_execnz .LBB4_1430
; %bb.1337:                             ;   in Loop: Header=BB4_1183 Depth=3
	s_or_saveexec_b32 s38, s38
	v_mov_b32_e32 v150, s37
	s_xor_b32 exec_lo, exec_lo, s38
	s_cbranch_execnz .LBB4_1433
.LBB4_1338:                             ;   in Loop: Header=BB4_1183 Depth=3
	s_or_b32 exec_lo, exec_lo, s38
	s_and_saveexec_b32 s37, s14
	s_cbranch_execz .LBB4_1340
.LBB4_1339:                             ;   in Loop: Header=BB4_1183 Depth=3
	v_and_b32_e32 v150, 3, v11
	v_bfe_u32 v161, v11, 2, 5
	v_lshlrev_b32_e32 v162, 24, v11
	s_delay_alu instid0(VALU_DEP_3) | instskip(NEXT) | instid1(VALU_DEP_3)
	v_clz_i32_u32_e32 v151, v150
	v_cmp_eq_u32_e32 vcc_lo, 0, v161
	s_delay_alu instid0(VALU_DEP_2) | instskip(NEXT) | instid1(VALU_DEP_1)
	v_min_u32_e32 v151, 32, v151
	v_subrev_nc_u32_e32 v160, 29, v151
	v_sub_nc_u32_e32 v151, 30, v151
	s_delay_alu instid0(VALU_DEP_2) | instskip(NEXT) | instid1(VALU_DEP_1)
	v_lshlrev_b32_e32 v160, v160, v11
	v_dual_cndmask_b32 v151, v161, v151 :: v_dual_and_b32 v160, 3, v160
	s_delay_alu instid0(VALU_DEP_1) | instskip(NEXT) | instid1(VALU_DEP_2)
	v_lshl_add_u32 v151, v151, 23, 0x37800000
	v_cndmask_b32_e32 v150, v150, v160, vcc_lo
	v_and_b32_e32 v160, 0x80000000, v162
	s_delay_alu instid0(VALU_DEP_2) | instskip(NEXT) | instid1(VALU_DEP_1)
	v_lshlrev_b32_e32 v150, 21, v150
	v_or3_b32 v150, v160, v151, v150
.LBB4_1340:                             ;   in Loop: Header=BB4_1183 Depth=3
	s_or_b32 exec_lo, exec_lo, s37
	s_delay_alu instid0(VALU_DEP_1) | instskip(NEXT) | instid1(VALU_DEP_1)
	v_mul_f32_e32 v151, s36, v150
	v_and_b32_e32 v150, 0x7f800000, v151
	s_delay_alu instid0(VALU_DEP_1)
	v_cmp_ne_u32_e32 vcc_lo, 0x7f800000, v150
	v_mov_b32_e32 v150, 0x80
	s_and_saveexec_b32 s37, vcc_lo
	s_cbranch_execz .LBB4_1348
; %bb.1341:                             ;   in Loop: Header=BB4_1183 Depth=3
	v_mov_b32_e32 v150, 0
	s_mov_b32 s38, exec_lo
	v_cmpx_ne_u32_e32 0, v151
	s_cbranch_execz .LBB4_1347
; %bb.1342:                             ;   in Loop: Header=BB4_1183 Depth=3
	v_bfe_u32 v150, v151, 23, 8
	s_delay_alu instid0(VALU_DEP_1) | instskip(SKIP_1) | instid1(VALU_DEP_2)
	v_sub_nc_u32_e32 v161, 0x70, v150
	v_cmp_gt_u32_e32 vcc_lo, 0x71, v150
	v_dual_cndmask_b32 v161, 0, v161 :: v_dual_and_b32 v160, 0x7fffff, v151
	s_delay_alu instid0(VALU_DEP_1) | instskip(SKIP_2) | instid1(VALU_DEP_4)
	v_or_b32_e32 v162, 0x800000, v160
	v_cmp_eq_u32_e32 vcc_lo, 0, v150
	v_add_nc_u32_e32 v150, 0xffffff91, v150
	v_cndmask_b32_e64 v161, v161, 0x6f, vcc_lo
	s_delay_alu instid0(VALU_DEP_2) | instskip(SKIP_1) | instid1(VALU_DEP_3)
	v_cndmask_b32_e64 v150, v150, 0xffffff92, vcc_lo
	v_cndmask_b32_e32 v160, v162, v160, vcc_lo
	v_lshl_add_u32 v162, 0x200000, v161, -1
	v_lshlrev_b32_e64 v165, v161, 0x100000
	s_delay_alu instid0(VALU_DEP_3) | instskip(SKIP_1) | instid1(VALU_DEP_4)
	v_lshrrev_b32_e32 v163, v161, v160
	v_add_nc_u32_e32 v161, v161, v150
	v_and_b32_e32 v160, v162, v160
	s_delay_alu instid0(VALU_DEP_3) | instskip(NEXT) | instid1(VALU_DEP_2)
	v_bfe_u32 v164, v163, 21, 1
	v_cmp_eq_u32_e64 s14, v160, v165
	s_delay_alu instid0(VALU_DEP_2) | instskip(NEXT) | instid1(VALU_DEP_1)
	v_add_nc_u32_e32 v162, -1, v164
	v_cndmask_b32_e64 v160, 0, v162, s14
	v_lshrrev_b32_e32 v162, 23, v163
	s_mov_b32 s14, exec_lo
	s_delay_alu instid0(VALU_DEP_2) | instskip(NEXT) | instid1(VALU_DEP_2)
	v_add_nc_u32_e32 v160, v160, v163
	v_xor_b32_e32 v162, 1, v162
	s_delay_alu instid0(VALU_DEP_2) | instskip(NEXT) | instid1(VALU_DEP_1)
	v_and_b32_e32 v150, 0x1fffff, v160
	v_add_nc_u32_e32 v160, v150, v163
                                        ; implicit-def: $vgpr150
	s_delay_alu instid0(VALU_DEP_3)
	v_cmpx_ne_u32_e64 v161, v162
	s_xor_b32 s14, exec_lo, s14
; %bb.1343:                             ;   in Loop: Header=BB4_1183 Depth=3
	s_delay_alu instid0(VALU_DEP_2) | instskip(SKIP_2) | instid1(VALU_DEP_2)
	v_cmp_lt_u32_e32 vcc_lo, 0xffffff, v160
	v_sub_nc_u32_e32 v150, v161, v162
	v_cndmask_b32_e64 v161, 0, 1, vcc_lo
	v_add_co_ci_u32_e32 v150, vcc_lo, 0, v150, vcc_lo
	s_delay_alu instid0(VALU_DEP_2)
	v_lshrrev_b32_e32 v160, v161, v160
; %bb.1344:                             ;   in Loop: Header=BB4_1183 Depth=3
	s_and_not1_saveexec_b32 s14, s14
; %bb.1345:                             ;   in Loop: Header=BB4_1183 Depth=3
	s_delay_alu instid0(VALU_DEP_1)
	v_bfe_u32 v150, v160, 23, 1
; %bb.1346:                             ;   in Loop: Header=BB4_1183 Depth=3
	s_or_b32 exec_lo, exec_lo, s14
	v_lshrrev_b32_e32 v160, 21, v160
	s_delay_alu instid0(VALU_DEP_2) | instskip(SKIP_2) | instid1(VALU_DEP_2)
	v_cmp_gt_i32_e32 vcc_lo, 32, v150
	v_min_i32_e32 v161, 31, v150
	v_lshrrev_b32_e32 v151, 24, v151
	v_dual_cndmask_b32 v160, 3, v160 :: v_dual_lshlrev_b32 v161, 2, v161
	s_delay_alu instid0(VALU_DEP_2) | instskip(NEXT) | instid1(VALU_DEP_2)
	v_and_b32_e32 v151, 0x80, v151
	v_or_b32_e32 v150, v150, v160
	v_and_b32_e32 v162, 3, v160
	s_delay_alu instid0(VALU_DEP_2) | instskip(SKIP_1) | instid1(VALU_DEP_1)
	v_cmp_ne_u32_e32 vcc_lo, 0, v150
	v_and_b32_e32 v161, 0xfc, v161
	v_or3_b32 v151, v161, v151, v162
	s_delay_alu instid0(VALU_DEP_1)
	v_cndmask_b32_e32 v150, 0, v151, vcc_lo
.LBB4_1347:                             ;   in Loop: Header=BB4_1183 Depth=3
	s_or_b32 exec_lo, exec_lo, s38
.LBB4_1348:                             ;   in Loop: Header=BB4_1183 Depth=3
	s_delay_alu instid0(SALU_CYCLE_1) | instskip(SKIP_3) | instid1(VALU_DEP_1)
	s_or_b32 exec_lo, exec_lo, s37
	v_lshrrev_b16 v151, 8, v11
	s_mov_b32 s14, 0
	s_mov_b32 s38, exec_lo
                                        ; implicit-def: $sgpr37
	v_cmpx_lt_i16_e64 0x7f, v151
	s_xor_b32 s38, exec_lo, s38
	s_cbranch_execnz .LBB4_1434
; %bb.1349:                             ;   in Loop: Header=BB4_1183 Depth=3
	s_or_saveexec_b32 s38, s38
	v_mov_b32_e32 v160, s37
	s_xor_b32 exec_lo, exec_lo, s38
	s_cbranch_execnz .LBB4_1437
.LBB4_1350:                             ;   in Loop: Header=BB4_1183 Depth=3
	s_or_b32 exec_lo, exec_lo, s38
	s_and_saveexec_b32 s37, s14
	s_cbranch_execz .LBB4_1352
.LBB4_1351:                             ;   in Loop: Header=BB4_1183 Depth=3
	v_and_b32_e32 v160, 0xffff, v151
	v_lshlrev_b32_e32 v151, 24, v151
	s_delay_alu instid0(VALU_DEP_2) | instskip(NEXT) | instid1(VALU_DEP_2)
	v_and_b32_e32 v161, 3, v160
	v_and_b32_e32 v151, 0x80000000, v151
	s_delay_alu instid0(VALU_DEP_2) | instskip(NEXT) | instid1(VALU_DEP_1)
	v_clz_i32_u32_e32 v162, v161
	v_min_u32_e32 v162, 32, v162
	s_delay_alu instid0(VALU_DEP_1) | instskip(SKIP_1) | instid1(VALU_DEP_2)
	v_subrev_nc_u32_e32 v163, 29, v162
	v_sub_nc_u32_e32 v162, 30, v162
	v_lshlrev_b32_e32 v163, v163, v160
	v_bfe_u32 v160, v160, 2, 5
	s_delay_alu instid0(VALU_DEP_2) | instskip(NEXT) | instid1(VALU_DEP_2)
	v_and_b32_e32 v163, 3, v163
	v_cmp_eq_u32_e32 vcc_lo, 0, v160
	s_delay_alu instid0(VALU_DEP_2) | instskip(NEXT) | instid1(VALU_DEP_1)
	v_dual_cndmask_b32 v160, v160, v162 :: v_dual_cndmask_b32 v161, v161, v163
	v_lshl_add_u32 v160, v160, 23, 0x37800000
	s_delay_alu instid0(VALU_DEP_2) | instskip(NEXT) | instid1(VALU_DEP_1)
	v_lshlrev_b32_e32 v161, 21, v161
	v_or3_b32 v160, v151, v160, v161
.LBB4_1352:                             ;   in Loop: Header=BB4_1183 Depth=3
	s_or_b32 exec_lo, exec_lo, s37
	s_delay_alu instid0(VALU_DEP_1) | instskip(NEXT) | instid1(VALU_DEP_1)
	v_mul_f32_e32 v160, s36, v160
	v_and_b32_e32 v151, 0x7f800000, v160
	s_delay_alu instid0(VALU_DEP_1)
	v_cmp_ne_u32_e32 vcc_lo, 0x7f800000, v151
	v_mov_b32_e32 v151, 0x8000
	s_and_saveexec_b32 s37, vcc_lo
	s_cbranch_execz .LBB4_1360
; %bb.1353:                             ;   in Loop: Header=BB4_1183 Depth=3
	v_mov_b32_e32 v151, 0
	s_mov_b32 s38, exec_lo
	v_cmpx_ne_u32_e32 0, v160
	s_cbranch_execz .LBB4_1359
; %bb.1354:                             ;   in Loop: Header=BB4_1183 Depth=3
	v_bfe_u32 v151, v160, 23, 8
	s_delay_alu instid0(VALU_DEP_1) | instskip(SKIP_1) | instid1(VALU_DEP_2)
	v_sub_nc_u32_e32 v162, 0x70, v151
	v_cmp_gt_u32_e32 vcc_lo, 0x71, v151
	v_dual_cndmask_b32 v162, 0, v162 :: v_dual_and_b32 v161, 0x7fffff, v160
	s_delay_alu instid0(VALU_DEP_1) | instskip(SKIP_2) | instid1(VALU_DEP_4)
	v_or_b32_e32 v163, 0x800000, v161
	v_cmp_eq_u32_e32 vcc_lo, 0, v151
	v_add_nc_u32_e32 v151, 0xffffff91, v151
	v_cndmask_b32_e64 v162, v162, 0x6f, vcc_lo
	s_delay_alu instid0(VALU_DEP_2) | instskip(SKIP_1) | instid1(VALU_DEP_3)
	v_cndmask_b32_e64 v151, v151, 0xffffff92, vcc_lo
	v_cndmask_b32_e32 v161, v163, v161, vcc_lo
	v_lshl_add_u32 v163, 0x200000, v162, -1
	v_lshlrev_b32_e64 v166, v162, 0x100000
	s_delay_alu instid0(VALU_DEP_3) | instskip(SKIP_1) | instid1(VALU_DEP_4)
	v_lshrrev_b32_e32 v164, v162, v161
	v_add_nc_u32_e32 v162, v162, v151
	v_and_b32_e32 v161, v163, v161
	s_delay_alu instid0(VALU_DEP_3) | instskip(NEXT) | instid1(VALU_DEP_2)
	v_bfe_u32 v165, v164, 21, 1
	v_cmp_eq_u32_e64 s14, v161, v166
	s_delay_alu instid0(VALU_DEP_2) | instskip(NEXT) | instid1(VALU_DEP_1)
	v_add_nc_u32_e32 v163, -1, v165
	v_cndmask_b32_e64 v161, 0, v163, s14
	v_lshrrev_b32_e32 v163, 23, v164
	s_mov_b32 s14, exec_lo
	s_delay_alu instid0(VALU_DEP_2) | instskip(NEXT) | instid1(VALU_DEP_2)
	v_add_nc_u32_e32 v161, v161, v164
	v_xor_b32_e32 v163, 1, v163
	s_delay_alu instid0(VALU_DEP_2) | instskip(NEXT) | instid1(VALU_DEP_1)
	v_and_b32_e32 v151, 0x1fffff, v161
	v_add_nc_u32_e32 v161, v151, v164
                                        ; implicit-def: $vgpr151
	s_delay_alu instid0(VALU_DEP_3)
	v_cmpx_ne_u32_e64 v162, v163
	s_xor_b32 s14, exec_lo, s14
; %bb.1355:                             ;   in Loop: Header=BB4_1183 Depth=3
	s_delay_alu instid0(VALU_DEP_2) | instskip(SKIP_2) | instid1(VALU_DEP_2)
	v_cmp_lt_u32_e32 vcc_lo, 0xffffff, v161
	v_sub_nc_u32_e32 v151, v162, v163
	v_cndmask_b32_e64 v162, 0, 1, vcc_lo
	v_add_co_ci_u32_e32 v151, vcc_lo, 0, v151, vcc_lo
	s_delay_alu instid0(VALU_DEP_2)
	v_lshrrev_b32_e32 v161, v162, v161
; %bb.1356:                             ;   in Loop: Header=BB4_1183 Depth=3
	s_and_not1_saveexec_b32 s14, s14
; %bb.1357:                             ;   in Loop: Header=BB4_1183 Depth=3
	s_delay_alu instid0(VALU_DEP_1)
	v_bfe_u32 v151, v161, 23, 1
; %bb.1358:                             ;   in Loop: Header=BB4_1183 Depth=3
	s_or_b32 exec_lo, exec_lo, s14
	v_lshrrev_b32_e32 v161, 21, v161
	s_delay_alu instid0(VALU_DEP_2) | instskip(SKIP_2) | instid1(VALU_DEP_2)
	v_cmp_gt_i32_e32 vcc_lo, 32, v151
	v_min_i32_e32 v162, 31, v151
	v_lshrrev_b32_e32 v160, 24, v160
	v_dual_cndmask_b32 v161, 3, v161 :: v_dual_lshlrev_b32 v162, 2, v162
	s_delay_alu instid0(VALU_DEP_2) | instskip(NEXT) | instid1(VALU_DEP_2)
	v_and_b32_e32 v160, 0x80, v160
	v_or_b32_e32 v151, v151, v161
	v_and_b32_e32 v163, 3, v161
	s_delay_alu instid0(VALU_DEP_2) | instskip(SKIP_1) | instid1(VALU_DEP_1)
	v_cmp_ne_u32_e32 vcc_lo, 0, v151
	v_and_b32_e32 v162, 0xfc, v162
	v_or3_b32 v160, v160, v162, v163
	s_delay_alu instid0(VALU_DEP_1) | instskip(NEXT) | instid1(VALU_DEP_1)
	v_lshlrev_b32_e32 v160, 8, v160
	v_cndmask_b32_e32 v151, 0, v160, vcc_lo
.LBB4_1359:                             ;   in Loop: Header=BB4_1183 Depth=3
	s_or_b32 exec_lo, exec_lo, s38
.LBB4_1360:                             ;   in Loop: Header=BB4_1183 Depth=3
	s_delay_alu instid0(SALU_CYCLE_1) | instskip(SKIP_3) | instid1(VALU_DEP_1)
	s_or_b32 exec_lo, exec_lo, s37
	v_lshrrev_b32_e32 v160, 16, v11
	s_mov_b32 s14, 0
	s_mov_b32 s38, exec_lo
                                        ; implicit-def: $sgpr37
	v_and_b32_e32 v162, 0xff, v160
	s_delay_alu instid0(VALU_DEP_1)
	v_cmpx_lt_i16_e64 0x7f, v162
	s_xor_b32 s38, exec_lo, s38
	s_cbranch_execnz .LBB4_1438
; %bb.1361:                             ;   in Loop: Header=BB4_1183 Depth=3
	s_or_saveexec_b32 s38, s38
	v_mov_b32_e32 v161, s37
	s_xor_b32 exec_lo, exec_lo, s38
	s_cbranch_execnz .LBB4_1441
.LBB4_1362:                             ;   in Loop: Header=BB4_1183 Depth=3
	s_or_b32 exec_lo, exec_lo, s38
	s_and_saveexec_b32 s37, s14
	s_cbranch_execz .LBB4_1364
.LBB4_1363:                             ;   in Loop: Header=BB4_1183 Depth=3
	v_bfe_u32 v161, v11, 16, 2
	v_lshlrev_b32_e32 v164, 8, v11
	s_delay_alu instid0(VALU_DEP_2) | instskip(NEXT) | instid1(VALU_DEP_1)
	v_clz_i32_u32_e32 v162, v161
	v_min_u32_e32 v162, 32, v162
	s_delay_alu instid0(VALU_DEP_1) | instskip(SKIP_1) | instid1(VALU_DEP_2)
	v_subrev_nc_u32_e32 v163, 29, v162
	v_sub_nc_u32_e32 v162, 30, v162
	v_lshlrev_b32_e32 v160, v163, v160
	v_bfe_u32 v163, v11, 18, 5
	s_delay_alu instid0(VALU_DEP_2) | instskip(NEXT) | instid1(VALU_DEP_2)
	v_and_b32_e32 v160, 3, v160
	v_cmp_eq_u32_e32 vcc_lo, 0, v163
	v_cndmask_b32_e32 v162, v163, v162, vcc_lo
	s_delay_alu instid0(VALU_DEP_3) | instskip(SKIP_1) | instid1(VALU_DEP_3)
	v_cndmask_b32_e32 v160, v161, v160, vcc_lo
	v_and_b32_e32 v161, 0x80000000, v164
	v_lshl_add_u32 v162, v162, 23, 0x37800000
	s_delay_alu instid0(VALU_DEP_3) | instskip(NEXT) | instid1(VALU_DEP_1)
	v_lshlrev_b32_e32 v160, 21, v160
	v_or3_b32 v161, v161, v162, v160
.LBB4_1364:                             ;   in Loop: Header=BB4_1183 Depth=3
	s_or_b32 exec_lo, exec_lo, s37
	s_delay_alu instid0(VALU_DEP_1) | instskip(NEXT) | instid1(VALU_DEP_1)
	v_mul_f32_e32 v161, s36, v161
	v_and_b32_e32 v160, 0x7f800000, v161
	s_delay_alu instid0(VALU_DEP_1)
	v_cmp_ne_u32_e32 vcc_lo, 0x7f800000, v160
	v_mov_b32_e32 v160, 0x80
	s_and_saveexec_b32 s37, vcc_lo
	s_cbranch_execz .LBB4_1372
; %bb.1365:                             ;   in Loop: Header=BB4_1183 Depth=3
	v_mov_b32_e32 v160, 0
	s_mov_b32 s38, exec_lo
	v_cmpx_ne_u32_e32 0, v161
	s_cbranch_execz .LBB4_1371
; %bb.1366:                             ;   in Loop: Header=BB4_1183 Depth=3
	v_bfe_u32 v160, v161, 23, 8
	s_delay_alu instid0(VALU_DEP_1) | instskip(SKIP_1) | instid1(VALU_DEP_2)
	v_sub_nc_u32_e32 v163, 0x70, v160
	v_cmp_gt_u32_e32 vcc_lo, 0x71, v160
	v_dual_cndmask_b32 v163, 0, v163 :: v_dual_and_b32 v162, 0x7fffff, v161
	s_delay_alu instid0(VALU_DEP_1) | instskip(SKIP_2) | instid1(VALU_DEP_4)
	v_or_b32_e32 v164, 0x800000, v162
	v_cmp_eq_u32_e32 vcc_lo, 0, v160
	v_add_nc_u32_e32 v160, 0xffffff91, v160
	v_cndmask_b32_e64 v163, v163, 0x6f, vcc_lo
	s_delay_alu instid0(VALU_DEP_2) | instskip(SKIP_1) | instid1(VALU_DEP_3)
	v_cndmask_b32_e64 v160, v160, 0xffffff92, vcc_lo
	v_cndmask_b32_e32 v162, v164, v162, vcc_lo
	v_lshl_add_u32 v164, 0x200000, v163, -1
	v_lshlrev_b32_e64 v167, v163, 0x100000
	s_delay_alu instid0(VALU_DEP_3) | instskip(SKIP_1) | instid1(VALU_DEP_4)
	v_lshrrev_b32_e32 v165, v163, v162
	v_add_nc_u32_e32 v163, v163, v160
	v_and_b32_e32 v162, v164, v162
	s_delay_alu instid0(VALU_DEP_3) | instskip(NEXT) | instid1(VALU_DEP_2)
	v_bfe_u32 v166, v165, 21, 1
	v_cmp_eq_u32_e64 s14, v162, v167
	s_delay_alu instid0(VALU_DEP_2) | instskip(NEXT) | instid1(VALU_DEP_1)
	v_add_nc_u32_e32 v164, -1, v166
	v_cndmask_b32_e64 v162, 0, v164, s14
	v_lshrrev_b32_e32 v164, 23, v165
	s_mov_b32 s14, exec_lo
	s_delay_alu instid0(VALU_DEP_2) | instskip(NEXT) | instid1(VALU_DEP_2)
	v_add_nc_u32_e32 v162, v162, v165
	v_xor_b32_e32 v164, 1, v164
	s_delay_alu instid0(VALU_DEP_2) | instskip(NEXT) | instid1(VALU_DEP_1)
	v_and_b32_e32 v160, 0x1fffff, v162
	v_add_nc_u32_e32 v162, v160, v165
                                        ; implicit-def: $vgpr160
	s_delay_alu instid0(VALU_DEP_3)
	v_cmpx_ne_u32_e64 v163, v164
	s_xor_b32 s14, exec_lo, s14
; %bb.1367:                             ;   in Loop: Header=BB4_1183 Depth=3
	s_delay_alu instid0(VALU_DEP_2) | instskip(SKIP_2) | instid1(VALU_DEP_2)
	v_cmp_lt_u32_e32 vcc_lo, 0xffffff, v162
	v_sub_nc_u32_e32 v160, v163, v164
	v_cndmask_b32_e64 v163, 0, 1, vcc_lo
	v_add_co_ci_u32_e32 v160, vcc_lo, 0, v160, vcc_lo
	s_delay_alu instid0(VALU_DEP_2)
	v_lshrrev_b32_e32 v162, v163, v162
; %bb.1368:                             ;   in Loop: Header=BB4_1183 Depth=3
	s_and_not1_saveexec_b32 s14, s14
; %bb.1369:                             ;   in Loop: Header=BB4_1183 Depth=3
	s_delay_alu instid0(VALU_DEP_1)
	v_bfe_u32 v160, v162, 23, 1
; %bb.1370:                             ;   in Loop: Header=BB4_1183 Depth=3
	s_or_b32 exec_lo, exec_lo, s14
	v_lshrrev_b32_e32 v162, 21, v162
	s_delay_alu instid0(VALU_DEP_2) | instskip(SKIP_2) | instid1(VALU_DEP_2)
	v_cmp_gt_i32_e32 vcc_lo, 32, v160
	v_min_i32_e32 v163, 31, v160
	v_lshrrev_b32_e32 v161, 24, v161
	v_dual_cndmask_b32 v162, 3, v162 :: v_dual_lshlrev_b32 v163, 2, v163
	s_delay_alu instid0(VALU_DEP_2) | instskip(NEXT) | instid1(VALU_DEP_2)
	v_and_b32_e32 v161, 0x80, v161
	v_or_b32_e32 v160, v160, v162
	v_and_b32_e32 v164, 3, v162
	s_delay_alu instid0(VALU_DEP_2) | instskip(SKIP_1) | instid1(VALU_DEP_1)
	v_cmp_ne_u32_e32 vcc_lo, 0, v160
	v_and_b32_e32 v163, 0xfc, v163
	v_or3_b32 v161, v163, v161, v164
	s_delay_alu instid0(VALU_DEP_1)
	v_cndmask_b32_e32 v160, 0, v161, vcc_lo
.LBB4_1371:                             ;   in Loop: Header=BB4_1183 Depth=3
	s_or_b32 exec_lo, exec_lo, s38
.LBB4_1372:                             ;   in Loop: Header=BB4_1183 Depth=3
	s_delay_alu instid0(SALU_CYCLE_1) | instskip(SKIP_3) | instid1(VALU_DEP_1)
	s_or_b32 exec_lo, exec_lo, s37
	v_lshrrev_b32_e32 v161, 24, v11
	s_mov_b32 s14, 0
	s_mov_b32 s38, exec_lo
                                        ; implicit-def: $sgpr37
	v_cmpx_lt_i16_e64 0x7f, v161
	s_xor_b32 s38, exec_lo, s38
	s_cbranch_execnz .LBB4_1442
; %bb.1373:                             ;   in Loop: Header=BB4_1183 Depth=3
	s_or_saveexec_b32 s38, s38
	v_mov_b32_e32 v162, s37
	s_xor_b32 exec_lo, exec_lo, s38
	s_cbranch_execnz .LBB4_1445
.LBB4_1374:                             ;   in Loop: Header=BB4_1183 Depth=3
	s_or_b32 exec_lo, exec_lo, s38
	s_and_saveexec_b32 s37, s14
	s_cbranch_execz .LBB4_1376
.LBB4_1375:                             ;   in Loop: Header=BB4_1183 Depth=3
	v_bfe_u32 v162, v11, 24, 2
	s_delay_alu instid0(VALU_DEP_1) | instskip(NEXT) | instid1(VALU_DEP_1)
	v_clz_i32_u32_e32 v163, v162
	v_min_u32_e32 v163, 32, v163
	s_delay_alu instid0(VALU_DEP_1) | instskip(SKIP_1) | instid1(VALU_DEP_2)
	v_subrev_nc_u32_e32 v164, 29, v163
	v_sub_nc_u32_e32 v163, 30, v163
	v_lshlrev_b32_e32 v161, v164, v161
	v_bfe_u32 v164, v11, 26, 5
	v_and_b32_e32 v11, 0x80000000, v11
	s_delay_alu instid0(VALU_DEP_3) | instskip(NEXT) | instid1(VALU_DEP_3)
	v_and_b32_e32 v161, 3, v161
	v_cmp_eq_u32_e32 vcc_lo, 0, v164
	v_cndmask_b32_e32 v163, v164, v163, vcc_lo
	s_delay_alu instid0(VALU_DEP_3) | instskip(NEXT) | instid1(VALU_DEP_2)
	v_cndmask_b32_e32 v161, v162, v161, vcc_lo
	v_lshl_add_u32 v162, v163, 23, 0x37800000
	s_delay_alu instid0(VALU_DEP_2) | instskip(NEXT) | instid1(VALU_DEP_1)
	v_lshlrev_b32_e32 v161, 21, v161
	v_or3_b32 v162, v11, v162, v161
.LBB4_1376:                             ;   in Loop: Header=BB4_1183 Depth=3
	s_or_b32 exec_lo, exec_lo, s37
	s_delay_alu instid0(VALU_DEP_1) | instskip(NEXT) | instid1(VALU_DEP_1)
	v_mul_f32_e32 v11, s36, v162
	v_and_b32_e32 v161, 0x7f800000, v11
	s_delay_alu instid0(VALU_DEP_1)
	v_cmp_ne_u32_e32 vcc_lo, 0x7f800000, v161
	v_mov_b32_e32 v161, 0x8000
	s_and_saveexec_b32 s36, vcc_lo
	s_cbranch_execz .LBB4_1182
; %bb.1377:                             ;   in Loop: Header=BB4_1183 Depth=3
	v_mov_b32_e32 v161, 0
	s_mov_b32 s37, exec_lo
	v_cmpx_ne_u32_e32 0, v11
	s_cbranch_execz .LBB4_1181
; %bb.1378:                             ;   in Loop: Header=BB4_1183 Depth=3
	v_bfe_u32 v161, v11, 23, 8
	v_and_b32_e32 v162, 0x7fffff, v11
	s_delay_alu instid0(VALU_DEP_2) | instskip(SKIP_1) | instid1(VALU_DEP_3)
	v_sub_nc_u32_e32 v163, 0x70, v161
	v_cmp_gt_u32_e32 vcc_lo, 0x71, v161
	v_or_b32_e32 v164, 0x800000, v162
	s_delay_alu instid0(VALU_DEP_3) | instskip(SKIP_1) | instid1(VALU_DEP_3)
	v_cndmask_b32_e32 v163, 0, v163, vcc_lo
	v_cmp_eq_u32_e32 vcc_lo, 0, v161
	v_dual_cndmask_b32 v162, v164, v162 :: v_dual_add_nc_u32 v161, 0xffffff91, v161
	s_delay_alu instid0(VALU_DEP_3) | instskip(NEXT) | instid1(VALU_DEP_2)
	v_cndmask_b32_e64 v163, v163, 0x6f, vcc_lo
	v_cndmask_b32_e64 v161, v161, 0xffffff92, vcc_lo
	s_delay_alu instid0(VALU_DEP_2) | instskip(SKIP_2) | instid1(VALU_DEP_4)
	v_lshrrev_b32_e32 v165, v163, v162
	v_lshl_add_u32 v164, 0x200000, v163, -1
	v_lshlrev_b32_e64 v167, v163, 0x100000
	v_add_nc_u32_e32 v163, v163, v161
	s_delay_alu instid0(VALU_DEP_4) | instskip(NEXT) | instid1(VALU_DEP_4)
	v_bfe_u32 v166, v165, 21, 1
	v_and_b32_e32 v162, v164, v162
	s_delay_alu instid0(VALU_DEP_2) | instskip(NEXT) | instid1(VALU_DEP_2)
	v_add_nc_u32_e32 v164, -1, v166
	v_cmp_eq_u32_e64 s14, v162, v167
	s_delay_alu instid0(VALU_DEP_1) | instskip(SKIP_2) | instid1(VALU_DEP_2)
	v_cndmask_b32_e64 v162, 0, v164, s14
	v_lshrrev_b32_e32 v164, 23, v165
	s_mov_b32 s14, exec_lo
	v_add_nc_u32_e32 v162, v162, v165
	s_delay_alu instid0(VALU_DEP_2) | instskip(NEXT) | instid1(VALU_DEP_2)
	v_xor_b32_e32 v164, 1, v164
	v_and_b32_e32 v161, 0x1fffff, v162
	s_delay_alu instid0(VALU_DEP_1) | instskip(NEXT) | instid1(VALU_DEP_3)
	v_add_nc_u32_e32 v162, v161, v165
                                        ; implicit-def: $vgpr161
	v_cmpx_ne_u32_e64 v163, v164
	s_xor_b32 s14, exec_lo, s14
; %bb.1379:                             ;   in Loop: Header=BB4_1183 Depth=3
	s_delay_alu instid0(VALU_DEP_2) | instskip(SKIP_2) | instid1(VALU_DEP_2)
	v_cmp_lt_u32_e32 vcc_lo, 0xffffff, v162
	v_sub_nc_u32_e32 v161, v163, v164
	v_cndmask_b32_e64 v163, 0, 1, vcc_lo
	v_add_co_ci_u32_e32 v161, vcc_lo, 0, v161, vcc_lo
	s_delay_alu instid0(VALU_DEP_2)
	v_lshrrev_b32_e32 v162, v163, v162
; %bb.1380:                             ;   in Loop: Header=BB4_1183 Depth=3
	s_and_not1_saveexec_b32 s14, s14
	s_cbranch_execz .LBB4_1180
; %bb.1381:                             ;   in Loop: Header=BB4_1183 Depth=3
	s_delay_alu instid0(VALU_DEP_1)
	v_bfe_u32 v161, v162, 23, 1
	s_branch .LBB4_1180
.LBB4_1382:                             ;   in Loop: Header=BB4_1183 Depth=3
	s_mov_b32 s14, -1
	s_mov_b32 s39, exec_lo
                                        ; implicit-def: $sgpr37
	v_cmpx_eq_u16_e64 0x80, v134
; %bb.1383:                             ;   in Loop: Header=BB4_1183 Depth=3
	s_mov_b32 s37, 0x7f800001
	s_xor_b32 s14, exec_lo, -1
; %bb.1384:                             ;   in Loop: Header=BB4_1183 Depth=3
	s_or_b32 exec_lo, exec_lo, s39
	s_delay_alu instid0(SALU_CYCLE_1)
	s_and_b32 s14, s14, exec_lo
                                        ; implicit-def: $vgpr134
	s_or_saveexec_b32 s38, s38
	v_mov_b32_e32 v133, s37
	s_xor_b32 exec_lo, exec_lo, s38
	s_cbranch_execz .LBB4_1194
.LBB4_1385:                             ;   in Loop: Header=BB4_1183 Depth=3
	v_cmp_ne_u16_e64 vcc_lo, 0, v134
	v_mov_b32_e32 v133, 0
	s_and_not1_b32 s14, s14, exec_lo
	s_delay_alu instid0(VALU_DEP_2) | instskip(NEXT) | instid1(SALU_CYCLE_1)
	s_and_b32 vcc_lo, vcc_lo, exec_lo
	s_or_b32 s14, s14, vcc_lo
	s_or_b32 exec_lo, exec_lo, s38
	s_and_saveexec_b32 s37, s14
	s_cbranch_execnz .LBB4_1195
	s_branch .LBB4_1196
.LBB4_1386:                             ;   in Loop: Header=BB4_1183 Depth=3
	s_mov_b32 s14, -1
	s_mov_b32 s39, exec_lo
                                        ; implicit-def: $sgpr37
	v_cmpx_eq_u16_e64 0x80, v134
; %bb.1387:                             ;   in Loop: Header=BB4_1183 Depth=3
	s_mov_b32 s37, 0x7f800001
	s_xor_b32 s14, exec_lo, -1
; %bb.1388:                             ;   in Loop: Header=BB4_1183 Depth=3
	s_or_b32 exec_lo, exec_lo, s39
	s_delay_alu instid0(SALU_CYCLE_1)
	s_and_b32 s14, s14, exec_lo
	s_or_saveexec_b32 s38, s38
	v_mov_b32_e32 v135, s37
	s_xor_b32 exec_lo, exec_lo, s38
	s_cbranch_execz .LBB4_1206
.LBB4_1389:                             ;   in Loop: Header=BB4_1183 Depth=3
	v_cmp_ne_u16_e64 vcc_lo, 0, v134
	v_mov_b32_e32 v135, 0
	s_and_not1_b32 s14, s14, exec_lo
	s_delay_alu instid0(VALU_DEP_2) | instskip(NEXT) | instid1(SALU_CYCLE_1)
	s_and_b32 vcc_lo, vcc_lo, exec_lo
	s_or_b32 s14, s14, vcc_lo
	s_or_b32 exec_lo, exec_lo, s38
	s_and_saveexec_b32 s37, s14
	s_cbranch_execnz .LBB4_1207
	s_branch .LBB4_1208
.LBB4_1390:                             ;   in Loop: Header=BB4_1183 Depth=3
	s_mov_b32 s14, -1
	s_mov_b32 s39, exec_lo
                                        ; implicit-def: $sgpr37
	v_cmpx_eq_u16_e64 0x80, v145
; %bb.1391:                             ;   in Loop: Header=BB4_1183 Depth=3
	s_mov_b32 s37, 0x7f800001
	s_xor_b32 s14, exec_lo, -1
; %bb.1392:                             ;   in Loop: Header=BB4_1183 Depth=3
	s_or_b32 exec_lo, exec_lo, s39
	s_delay_alu instid0(SALU_CYCLE_1)
	s_and_b32 s14, s14, exec_lo
                                        ; implicit-def: $vgpr145
	s_or_saveexec_b32 s38, s38
	v_mov_b32_e32 v144, s37
	s_xor_b32 exec_lo, exec_lo, s38
	s_cbranch_execz .LBB4_1218
.LBB4_1393:                             ;   in Loop: Header=BB4_1183 Depth=3
	v_cmp_ne_u16_e64 vcc_lo, 0, v145
	v_mov_b32_e32 v144, 0
	s_and_not1_b32 s14, s14, exec_lo
	s_delay_alu instid0(VALU_DEP_2) | instskip(NEXT) | instid1(SALU_CYCLE_1)
	s_and_b32 vcc_lo, vcc_lo, exec_lo
	s_or_b32 s14, s14, vcc_lo
	s_or_b32 exec_lo, exec_lo, s38
	s_and_saveexec_b32 s37, s14
	s_cbranch_execnz .LBB4_1219
	s_branch .LBB4_1220
.LBB4_1394:                             ;   in Loop: Header=BB4_1183 Depth=3
	s_mov_b32 s14, -1
	s_mov_b32 s39, exec_lo
                                        ; implicit-def: $sgpr37
	v_cmpx_eq_u16_e64 0x80, v144
; %bb.1395:                             ;   in Loop: Header=BB4_1183 Depth=3
	s_mov_b32 s37, 0x7f800001
	s_xor_b32 s14, exec_lo, -1
; %bb.1396:                             ;   in Loop: Header=BB4_1183 Depth=3
	s_or_b32 exec_lo, exec_lo, s39
	s_delay_alu instid0(SALU_CYCLE_1)
	s_and_b32 s14, s14, exec_lo
	s_or_saveexec_b32 s38, s38
	v_mov_b32_e32 v145, s37
	s_xor_b32 exec_lo, exec_lo, s38
	s_cbranch_execz .LBB4_1230
.LBB4_1397:                             ;   in Loop: Header=BB4_1183 Depth=3
	v_cmp_ne_u16_e64 vcc_lo, 0, v144
	v_mov_b32_e32 v145, 0
	s_and_not1_b32 s14, s14, exec_lo
	s_delay_alu instid0(VALU_DEP_2) | instskip(NEXT) | instid1(SALU_CYCLE_1)
	s_and_b32 vcc_lo, vcc_lo, exec_lo
	s_or_b32 s14, s14, vcc_lo
	s_or_b32 exec_lo, exec_lo, s38
	s_and_saveexec_b32 s37, s14
	s_cbranch_execnz .LBB4_1231
	s_branch .LBB4_1232
.LBB4_1398:                             ;   in Loop: Header=BB4_1183 Depth=3
	s_mov_b32 s14, -1
	s_mov_b32 s39, exec_lo
                                        ; implicit-def: $sgpr37
	v_cmpx_eq_u16_e64 0x80, v145
; %bb.1399:                             ;   in Loop: Header=BB4_1183 Depth=3
	s_mov_b32 s37, 0x7f800001
	s_xor_b32 s14, exec_lo, -1
; %bb.1400:                             ;   in Loop: Header=BB4_1183 Depth=3
	s_or_b32 exec_lo, exec_lo, s39
	s_delay_alu instid0(SALU_CYCLE_1)
	s_and_b32 s14, s14, exec_lo
                                        ; implicit-def: $vgpr145
	s_or_saveexec_b32 s38, s38
	v_mov_b32_e32 v144, s37
	s_xor_b32 exec_lo, exec_lo, s38
	s_cbranch_execz .LBB4_1242
.LBB4_1401:                             ;   in Loop: Header=BB4_1183 Depth=3
	v_cmp_ne_u16_e64 vcc_lo, 0, v145
	v_mov_b32_e32 v144, 0
	s_and_not1_b32 s14, s14, exec_lo
	s_delay_alu instid0(VALU_DEP_2) | instskip(NEXT) | instid1(SALU_CYCLE_1)
	s_and_b32 vcc_lo, vcc_lo, exec_lo
	s_or_b32 s14, s14, vcc_lo
	s_or_b32 exec_lo, exec_lo, s38
	s_and_saveexec_b32 s37, s14
	s_cbranch_execnz .LBB4_1243
	s_branch .LBB4_1244
.LBB4_1402:                             ;   in Loop: Header=BB4_1183 Depth=3
	s_mov_b32 s14, -1
	s_mov_b32 s39, exec_lo
                                        ; implicit-def: $sgpr37
	v_cmpx_eq_u16_e64 0x80, v145
; %bb.1403:                             ;   in Loop: Header=BB4_1183 Depth=3
	s_mov_b32 s37, 0x7f800001
	s_xor_b32 s14, exec_lo, -1
; %bb.1404:                             ;   in Loop: Header=BB4_1183 Depth=3
	s_or_b32 exec_lo, exec_lo, s39
	s_delay_alu instid0(SALU_CYCLE_1)
	s_and_b32 s14, s14, exec_lo
	s_or_saveexec_b32 s38, s38
	v_mov_b32_e32 v146, s37
	s_xor_b32 exec_lo, exec_lo, s38
	s_cbranch_execz .LBB4_1254
.LBB4_1405:                             ;   in Loop: Header=BB4_1183 Depth=3
	v_cmp_ne_u16_e64 vcc_lo, 0, v145
	v_mov_b32_e32 v146, 0
	s_and_not1_b32 s14, s14, exec_lo
	s_delay_alu instid0(VALU_DEP_2) | instskip(NEXT) | instid1(SALU_CYCLE_1)
	s_and_b32 vcc_lo, vcc_lo, exec_lo
	s_or_b32 s14, s14, vcc_lo
	s_or_b32 exec_lo, exec_lo, s38
	s_and_saveexec_b32 s37, s14
	s_cbranch_execnz .LBB4_1255
	s_branch .LBB4_1256
.LBB4_1406:                             ;   in Loop: Header=BB4_1183 Depth=3
	s_mov_b32 s14, -1
	s_mov_b32 s39, exec_lo
                                        ; implicit-def: $sgpr37
	v_cmpx_eq_u16_e64 0x80, v148
; %bb.1407:                             ;   in Loop: Header=BB4_1183 Depth=3
	s_mov_b32 s37, 0x7f800001
	s_xor_b32 s14, exec_lo, -1
; %bb.1408:                             ;   in Loop: Header=BB4_1183 Depth=3
	s_or_b32 exec_lo, exec_lo, s39
	s_delay_alu instid0(SALU_CYCLE_1)
	s_and_b32 s14, s14, exec_lo
                                        ; implicit-def: $vgpr148
	s_or_saveexec_b32 s38, s38
	v_mov_b32_e32 v147, s37
	s_xor_b32 exec_lo, exec_lo, s38
	s_cbranch_execz .LBB4_1266
.LBB4_1409:                             ;   in Loop: Header=BB4_1183 Depth=3
	v_cmp_ne_u16_e64 vcc_lo, 0, v148
	v_mov_b32_e32 v147, 0
	s_and_not1_b32 s14, s14, exec_lo
	s_delay_alu instid0(VALU_DEP_2) | instskip(NEXT) | instid1(SALU_CYCLE_1)
	s_and_b32 vcc_lo, vcc_lo, exec_lo
	s_or_b32 s14, s14, vcc_lo
	s_or_b32 exec_lo, exec_lo, s38
	s_and_saveexec_b32 s37, s14
	s_cbranch_execnz .LBB4_1267
	s_branch .LBB4_1268
.LBB4_1410:                             ;   in Loop: Header=BB4_1183 Depth=3
	s_mov_b32 s14, -1
	s_mov_b32 s39, exec_lo
                                        ; implicit-def: $sgpr37
	v_cmpx_eq_u16_e64 0x80, v147
; %bb.1411:                             ;   in Loop: Header=BB4_1183 Depth=3
	s_mov_b32 s37, 0x7f800001
	s_xor_b32 s14, exec_lo, -1
; %bb.1412:                             ;   in Loop: Header=BB4_1183 Depth=3
	s_or_b32 exec_lo, exec_lo, s39
	s_delay_alu instid0(SALU_CYCLE_1)
	s_and_b32 s14, s14, exec_lo
	s_or_saveexec_b32 s38, s38
	v_mov_b32_e32 v148, s37
	s_xor_b32 exec_lo, exec_lo, s38
	s_cbranch_execz .LBB4_1278
.LBB4_1413:                             ;   in Loop: Header=BB4_1183 Depth=3
	v_cmp_ne_u16_e64 vcc_lo, 0, v147
	v_mov_b32_e32 v148, 0
	s_and_not1_b32 s14, s14, exec_lo
	s_delay_alu instid0(VALU_DEP_2) | instskip(NEXT) | instid1(SALU_CYCLE_1)
	s_and_b32 vcc_lo, vcc_lo, exec_lo
	s_or_b32 s14, s14, vcc_lo
	s_or_b32 exec_lo, exec_lo, s38
	s_and_saveexec_b32 s37, s14
	s_cbranch_execnz .LBB4_1279
	s_branch .LBB4_1280
.LBB4_1414:                             ;   in Loop: Header=BB4_1183 Depth=3
	s_mov_b32 s14, -1
	s_mov_b32 s39, exec_lo
                                        ; implicit-def: $sgpr37
	v_cmpx_eq_u16_e64 0x80, v148
; %bb.1415:                             ;   in Loop: Header=BB4_1183 Depth=3
	s_mov_b32 s37, 0x7f800001
	s_xor_b32 s14, exec_lo, -1
; %bb.1416:                             ;   in Loop: Header=BB4_1183 Depth=3
	s_or_b32 exec_lo, exec_lo, s39
	s_delay_alu instid0(SALU_CYCLE_1)
	s_and_b32 s14, s14, exec_lo
                                        ; implicit-def: $vgpr148
	s_or_saveexec_b32 s38, s38
	v_mov_b32_e32 v147, s37
	s_xor_b32 exec_lo, exec_lo, s38
	s_cbranch_execz .LBB4_1290
.LBB4_1417:                             ;   in Loop: Header=BB4_1183 Depth=3
	v_cmp_ne_u16_e64 vcc_lo, 0, v148
	v_mov_b32_e32 v147, 0
	s_and_not1_b32 s14, s14, exec_lo
	s_delay_alu instid0(VALU_DEP_2) | instskip(NEXT) | instid1(SALU_CYCLE_1)
	s_and_b32 vcc_lo, vcc_lo, exec_lo
	s_or_b32 s14, s14, vcc_lo
	s_or_b32 exec_lo, exec_lo, s38
	s_and_saveexec_b32 s37, s14
	s_cbranch_execnz .LBB4_1291
	s_branch .LBB4_1292
.LBB4_1418:                             ;   in Loop: Header=BB4_1183 Depth=3
	s_mov_b32 s14, -1
	s_mov_b32 s39, exec_lo
                                        ; implicit-def: $sgpr37
	v_cmpx_eq_u16_e64 0x80, v148
; %bb.1419:                             ;   in Loop: Header=BB4_1183 Depth=3
	s_mov_b32 s37, 0x7f800001
	s_xor_b32 s14, exec_lo, -1
; %bb.1420:                             ;   in Loop: Header=BB4_1183 Depth=3
	s_or_b32 exec_lo, exec_lo, s39
	s_delay_alu instid0(SALU_CYCLE_1)
	s_and_b32 s14, s14, exec_lo
	s_or_saveexec_b32 s38, s38
	v_mov_b32_e32 v149, s37
	s_xor_b32 exec_lo, exec_lo, s38
	s_cbranch_execz .LBB4_1302
.LBB4_1421:                             ;   in Loop: Header=BB4_1183 Depth=3
	v_cmp_ne_u16_e64 vcc_lo, 0, v148
	v_mov_b32_e32 v149, 0
	s_and_not1_b32 s14, s14, exec_lo
	s_delay_alu instid0(VALU_DEP_2) | instskip(NEXT) | instid1(SALU_CYCLE_1)
	s_and_b32 vcc_lo, vcc_lo, exec_lo
	s_or_b32 s14, s14, vcc_lo
	s_or_b32 exec_lo, exec_lo, s38
	s_and_saveexec_b32 s37, s14
	s_cbranch_execnz .LBB4_1303
	s_branch .LBB4_1304
.LBB4_1422:                             ;   in Loop: Header=BB4_1183 Depth=3
	s_mov_b32 s14, -1
	s_mov_b32 s39, exec_lo
                                        ; implicit-def: $sgpr37
	v_cmpx_eq_u16_e64 0x80, v151
; %bb.1423:                             ;   in Loop: Header=BB4_1183 Depth=3
	s_mov_b32 s37, 0x7f800001
	s_xor_b32 s14, exec_lo, -1
; %bb.1424:                             ;   in Loop: Header=BB4_1183 Depth=3
	s_or_b32 exec_lo, exec_lo, s39
	s_delay_alu instid0(SALU_CYCLE_1)
	s_and_b32 s14, s14, exec_lo
                                        ; implicit-def: $vgpr151
	s_or_saveexec_b32 s38, s38
	v_mov_b32_e32 v150, s37
	s_xor_b32 exec_lo, exec_lo, s38
	s_cbranch_execz .LBB4_1314
.LBB4_1425:                             ;   in Loop: Header=BB4_1183 Depth=3
	v_cmp_ne_u16_e64 vcc_lo, 0, v151
	v_mov_b32_e32 v150, 0
	s_and_not1_b32 s14, s14, exec_lo
	s_delay_alu instid0(VALU_DEP_2) | instskip(NEXT) | instid1(SALU_CYCLE_1)
	s_and_b32 vcc_lo, vcc_lo, exec_lo
	s_or_b32 s14, s14, vcc_lo
	s_or_b32 exec_lo, exec_lo, s38
	s_and_saveexec_b32 s37, s14
	s_cbranch_execnz .LBB4_1315
	s_branch .LBB4_1316
.LBB4_1426:                             ;   in Loop: Header=BB4_1183 Depth=3
	s_mov_b32 s14, -1
	s_mov_b32 s39, exec_lo
                                        ; implicit-def: $sgpr37
	v_cmpx_eq_u16_e64 0x80, v150
; %bb.1427:                             ;   in Loop: Header=BB4_1183 Depth=3
	s_mov_b32 s37, 0x7f800001
	s_xor_b32 s14, exec_lo, -1
; %bb.1428:                             ;   in Loop: Header=BB4_1183 Depth=3
	s_or_b32 exec_lo, exec_lo, s39
	s_delay_alu instid0(SALU_CYCLE_1)
	s_and_b32 s14, s14, exec_lo
	s_or_saveexec_b32 s38, s38
	v_mov_b32_e32 v151, s37
	s_xor_b32 exec_lo, exec_lo, s38
	s_cbranch_execz .LBB4_1326
.LBB4_1429:                             ;   in Loop: Header=BB4_1183 Depth=3
	v_cmp_ne_u16_e64 vcc_lo, 0, v150
	v_mov_b32_e32 v151, 0
	s_and_not1_b32 s14, s14, exec_lo
	s_delay_alu instid0(VALU_DEP_2) | instskip(NEXT) | instid1(SALU_CYCLE_1)
	s_and_b32 vcc_lo, vcc_lo, exec_lo
	s_or_b32 s14, s14, vcc_lo
	s_or_b32 exec_lo, exec_lo, s38
	s_and_saveexec_b32 s37, s14
	s_cbranch_execnz .LBB4_1327
	s_branch .LBB4_1328
.LBB4_1430:                             ;   in Loop: Header=BB4_1183 Depth=3
	s_mov_b32 s14, -1
	s_mov_b32 s39, exec_lo
                                        ; implicit-def: $sgpr37
	v_cmpx_eq_u16_e64 0x80, v151
; %bb.1431:                             ;   in Loop: Header=BB4_1183 Depth=3
	s_mov_b32 s37, 0x7f800001
	s_xor_b32 s14, exec_lo, -1
; %bb.1432:                             ;   in Loop: Header=BB4_1183 Depth=3
	s_or_b32 exec_lo, exec_lo, s39
	s_delay_alu instid0(SALU_CYCLE_1)
	s_and_b32 s14, s14, exec_lo
                                        ; implicit-def: $vgpr151
	s_or_saveexec_b32 s38, s38
	v_mov_b32_e32 v150, s37
	s_xor_b32 exec_lo, exec_lo, s38
	s_cbranch_execz .LBB4_1338
.LBB4_1433:                             ;   in Loop: Header=BB4_1183 Depth=3
	v_cmp_ne_u16_e64 vcc_lo, 0, v151
	v_mov_b32_e32 v150, 0
	s_and_not1_b32 s14, s14, exec_lo
	s_delay_alu instid0(VALU_DEP_2) | instskip(NEXT) | instid1(SALU_CYCLE_1)
	s_and_b32 vcc_lo, vcc_lo, exec_lo
	s_or_b32 s14, s14, vcc_lo
	s_or_b32 exec_lo, exec_lo, s38
	s_and_saveexec_b32 s37, s14
	s_cbranch_execnz .LBB4_1339
	s_branch .LBB4_1340
.LBB4_1434:                             ;   in Loop: Header=BB4_1183 Depth=3
	s_mov_b32 s14, -1
	s_mov_b32 s39, exec_lo
                                        ; implicit-def: $sgpr37
	v_cmpx_eq_u16_e64 0x80, v151
; %bb.1435:                             ;   in Loop: Header=BB4_1183 Depth=3
	s_mov_b32 s37, 0x7f800001
	s_xor_b32 s14, exec_lo, -1
; %bb.1436:                             ;   in Loop: Header=BB4_1183 Depth=3
	s_or_b32 exec_lo, exec_lo, s39
	s_delay_alu instid0(SALU_CYCLE_1)
	s_and_b32 s14, s14, exec_lo
	s_or_saveexec_b32 s38, s38
	v_mov_b32_e32 v160, s37
	s_xor_b32 exec_lo, exec_lo, s38
	s_cbranch_execz .LBB4_1350
.LBB4_1437:                             ;   in Loop: Header=BB4_1183 Depth=3
	v_cmp_ne_u16_e64 vcc_lo, 0, v151
	v_mov_b32_e32 v160, 0
	s_and_not1_b32 s14, s14, exec_lo
	s_delay_alu instid0(VALU_DEP_2) | instskip(NEXT) | instid1(SALU_CYCLE_1)
	s_and_b32 vcc_lo, vcc_lo, exec_lo
	s_or_b32 s14, s14, vcc_lo
	s_or_b32 exec_lo, exec_lo, s38
	s_and_saveexec_b32 s37, s14
	s_cbranch_execnz .LBB4_1351
	s_branch .LBB4_1352
.LBB4_1438:                             ;   in Loop: Header=BB4_1183 Depth=3
	s_mov_b32 s14, -1
	s_mov_b32 s39, exec_lo
                                        ; implicit-def: $sgpr37
	v_cmpx_eq_u16_e64 0x80, v162
; %bb.1439:                             ;   in Loop: Header=BB4_1183 Depth=3
	s_mov_b32 s37, 0x7f800001
	s_xor_b32 s14, exec_lo, -1
; %bb.1440:                             ;   in Loop: Header=BB4_1183 Depth=3
	s_or_b32 exec_lo, exec_lo, s39
	s_delay_alu instid0(SALU_CYCLE_1)
	s_and_b32 s14, s14, exec_lo
                                        ; implicit-def: $vgpr162
	s_or_saveexec_b32 s38, s38
	v_mov_b32_e32 v161, s37
	s_xor_b32 exec_lo, exec_lo, s38
	s_cbranch_execz .LBB4_1362
.LBB4_1441:                             ;   in Loop: Header=BB4_1183 Depth=3
	v_cmp_ne_u16_e64 vcc_lo, 0, v162
	v_mov_b32_e32 v161, 0
	s_and_not1_b32 s14, s14, exec_lo
	s_delay_alu instid0(VALU_DEP_2) | instskip(NEXT) | instid1(SALU_CYCLE_1)
	s_and_b32 vcc_lo, vcc_lo, exec_lo
	s_or_b32 s14, s14, vcc_lo
	s_or_b32 exec_lo, exec_lo, s38
	s_and_saveexec_b32 s37, s14
	s_cbranch_execnz .LBB4_1363
	s_branch .LBB4_1364
.LBB4_1442:                             ;   in Loop: Header=BB4_1183 Depth=3
	s_mov_b32 s14, -1
	s_mov_b32 s39, exec_lo
                                        ; implicit-def: $sgpr37
	v_cmpx_eq_u16_e64 0x80, v161
; %bb.1443:                             ;   in Loop: Header=BB4_1183 Depth=3
	s_mov_b32 s37, 0x7f800001
	s_xor_b32 s14, exec_lo, -1
; %bb.1444:                             ;   in Loop: Header=BB4_1183 Depth=3
	s_or_b32 exec_lo, exec_lo, s39
	s_delay_alu instid0(SALU_CYCLE_1)
	s_and_b32 s14, s14, exec_lo
	s_or_saveexec_b32 s38, s38
	v_mov_b32_e32 v162, s37
	s_xor_b32 exec_lo, exec_lo, s38
	s_cbranch_execz .LBB4_1374
.LBB4_1445:                             ;   in Loop: Header=BB4_1183 Depth=3
	v_cmp_ne_u16_e64 vcc_lo, 0, v161
	v_mov_b32_e32 v162, 0
	s_and_not1_b32 s14, s14, exec_lo
	s_delay_alu instid0(VALU_DEP_2) | instskip(NEXT) | instid1(SALU_CYCLE_1)
	s_and_b32 vcc_lo, vcc_lo, exec_lo
	s_or_b32 s14, s14, vcc_lo
	s_or_b32 exec_lo, exec_lo, s38
	s_and_saveexec_b32 s37, s14
	s_cbranch_execnz .LBB4_1375
	s_branch .LBB4_1376
.LBB4_1446:                             ;   in Loop: Header=BB4_59 Depth=2
	s_or_b32 exec_lo, exec_lo, s34
.LBB4_1447:                             ;   in Loop: Header=BB4_59 Depth=2
	s_delay_alu instid0(SALU_CYCLE_1) | instskip(SKIP_4) | instid1(VALU_DEP_2)
	s_or_b32 exec_lo, exec_lo, s31
	v_and_b32_e32 v8, 15, v13
	v_mov_b32_e32 v54, 0
	s_mov_b32 s14, 0
	s_mov_b32 s31, exec_lo
                                        ; implicit-def: $vgpr65
                                        ; implicit-def: $vgpr10
	v_cndmask_b32_e64 v55, v69, v8, s13
	s_delay_alu instid0(VALU_DEP_1)
	v_cmpx_ne_u32_e32 0, v55
	s_cbranch_execz .LBB4_1449
; %bb.1448:                             ;   in Loop: Header=BB4_59 Depth=2
	v_cmp_lt_i32_e32 vcc_lo, 0, v129
	v_sub_nc_u32_e32 v8, v69, v8
	s_mov_b32 s14, exec_lo
	v_cndmask_b32_e32 v9, 0, v81, vcc_lo
	s_delay_alu instid0(VALU_DEP_2) | instskip(NEXT) | instid1(VALU_DEP_2)
	v_cndmask_b32_e64 v8, 0, v8, s13
	v_sub_nc_u32_e32 v9, v9, v129
	s_delay_alu instid0(VALU_DEP_2) | instskip(NEXT) | instid1(VALU_DEP_2)
	v_add3_u32 v54, v2, v64, v8
	v_lshl_add_u32 v65, v9, 5, v68
	s_delay_alu instid0(VALU_DEP_1) | instskip(NEXT) | instid1(VALU_DEP_1)
	v_ashrrev_i32_e32 v9, 31, v65
	v_lshrrev_b32_e32 v9, 27, v9
	s_delay_alu instid0(VALU_DEP_1) | instskip(NEXT) | instid1(VALU_DEP_1)
	v_add_nc_u32_e32 v9, v65, v9
	v_ashrrev_i32_e32 v10, 5, v9
.LBB4_1449:                             ;   in Loop: Header=BB4_59 Depth=2
	s_or_b32 exec_lo, exec_lo, s31
	s_delay_alu instid0(SALU_CYCLE_1)
	s_and_b32 s13, s14, exec_lo
.LBB4_1450:                             ;   in Loop: Header=BB4_59 Depth=2
	s_or_b32 exec_lo, exec_lo, s30
.LBB4_1451:                             ;   in Loop: Header=BB4_59 Depth=2
	s_and_saveexec_b32 s14, s13
	s_cbranch_execz .LBB4_1755
; %bb.1452:                             ;   in Loop: Header=BB4_59 Depth=2
	s_delay_alu instid0(VALU_DEP_1) | instskip(SKIP_1) | instid1(VALU_DEP_1)
	v_ashrrev_i32_e32 v2, 31, v55
	s_mov_b32 s30, exec_lo
	v_lshrrev_b32_e32 v2, 23, v2
	s_delay_alu instid0(VALU_DEP_1) | instskip(NEXT) | instid1(VALU_DEP_1)
	v_add_nc_u32_e32 v2, v55, v2
	v_ashrrev_i32_e32 v64, 9, v2
	s_delay_alu instid0(VALU_DEP_1) | instskip(NEXT) | instid1(VALU_DEP_1)
	v_sub_nc_u32_e32 v2, v64, v10
	v_cmpx_lt_i32_e32 0, v2
	s_cbranch_execz .LBB4_1723
; %bb.1453:                             ;   in Loop: Header=BB4_59 Depth=2
	s_cbranch_execz .LBB4_1454
; %bb.11517:
	s_getpc_b64 s[48:49]
.Lpost_getpc167:
	s_add_u32 s48, s48, (.LBB4_11041-.Lpost_getpc167)&4294967295
	s_addc_u32 s49, s49, (.LBB4_11041-.Lpost_getpc167)>>32
	s_setpc_b64 s[48:49]
.LBB4_1454:                             ;   in Loop: Header=BB4_59 Depth=2
	v_ashrrev_i32_e32 v8, 31, v65
	v_lshlrev_b32_e32 v10, 9, v10
	s_mov_b32 s31, 0
	s_delay_alu instid0(VALU_DEP_2) | instskip(NEXT) | instid1(VALU_DEP_1)
	v_lshrrev_b32_e32 v8, 27, v8
	v_add_nc_u32_e32 v11, v65, v8
	ds_load_b64 v[8:9], v0
	v_and_b32_e32 v11, 0xffffffe0, v11
	s_delay_alu instid0(VALU_DEP_1) | instskip(NEXT) | instid1(VALU_DEP_1)
	v_sub_nc_u32_e32 v11, v65, v11
	v_add3_u32 v68, v54, v11, v10
	s_delay_alu instid0(VALU_DEP_1)
	v_ashrrev_i32_e32 v69, 31, v68
	s_waitcnt lgkmcnt(0)
	v_dual_mov_b32 v11, v9 :: v_dual_mov_b32 v10, v8
.LBB4_1455:                             ;   Parent Loop BB4_51 Depth=1
                                        ;     Parent Loop BB4_59 Depth=2
                                        ; =>    This Inner Loop Header: Depth=3
	s_cbranch_execz .LBB4_1456
; %bb.11519:
	s_getpc_b64 s[48:49]
.Lpost_getpc168:
	s_add_u32 s48, s48, (.LBB4_11043-.Lpost_getpc168)&4294967295
	s_addc_u32 s49, s49, (.LBB4_11043-.Lpost_getpc168)>>32
	s_setpc_b64 s[48:49]
.LBB4_1456:                             ;   in Loop: Header=BB4_1455 Depth=3
	ds_load_b64 v[52:53], v0
	s_waitcnt lgkmcnt(0)
	v_and_b32_e32 v53, 0xff, v52
	v_readfirstlane_b32 s13, v52
	s_delay_alu instid0(VALU_DEP_2)
	v_cmp_gt_i16_e32 vcc_lo, 0x80, v53
	s_cbranch_vccnz .LBB4_1460
; %bb.1457:                             ;   in Loop: Header=BB4_1455 Depth=3
	v_cmp_eq_u16_e32 vcc_lo, 0x80, v53
	s_mov_b32 s34, -1
                                        ; implicit-def: $sgpr35
	s_cbranch_vccz .LBB4_1459
; %bb.1458:                             ;   in Loop: Header=BB4_1455 Depth=3
	s_mov_b32 s34, 0
	s_mov_b32 s35, 0x7f800001
.LBB4_1459:                             ;   in Loop: Header=BB4_1455 Depth=3
	s_mov_b32 vcc_lo, 0
	s_branch .LBB4_1461
.LBB4_1460:                             ;   in Loop: Header=BB4_1455 Depth=3
	s_mov_b32 vcc_lo, -1
	s_mov_b32 s34, 0
                                        ; implicit-def: $sgpr35
.LBB4_1461:                             ;   in Loop: Header=BB4_1455 Depth=3
	s_and_b32 vcc_lo, exec_lo, vcc_lo
	s_cbranch_vccz .LBB4_1463
; %bb.1462:                             ;   in Loop: Header=BB4_1455 Depth=3
	v_cmp_ne_u16_e64 s34, 0, v53
	s_mov_b32 s35, 0
.LBB4_1463:                             ;   in Loop: Header=BB4_1455 Depth=3
	s_delay_alu instid0(SALU_CYCLE_1) | instskip(NEXT) | instid1(VALU_DEP_2)
	v_mov_b32_e32 v129, s35
	s_and_not1_b32 vcc_lo, exec_lo, s34
	s_cbranch_vccnz .LBB4_1465
; %bb.1464:                             ;   in Loop: Header=BB4_1455 Depth=3
	s_and_b32 vcc_lo, s13, 3
	s_bfe_u32 s35, s13, 0x50002
	s_clz_i32_u32 s34, vcc_lo
	v_lshlrev_b32_e32 v52, 24, v52
	s_min_u32 s34, s34, 32
	s_delay_alu instid0(SALU_CYCLE_1)
	s_sub_i32 s36, s34, 29
	s_sub_i32 s34, 30, s34
	s_lshl_b32 s13, s13, s36
	v_and_b32_e32 v52, 0x80000000, v52
	s_and_b32 s13, s13, 3
	s_cmp_eq_u32 s35, 0
	s_cselect_b32 s34, s34, s35
	s_cselect_b32 s13, s13, vcc_lo
	s_lshl_b32 vcc_lo, s34, 23
	s_lshl_b32 s13, s13, 21
	s_add_i32 vcc_lo, vcc_lo, 0x37800000
	s_delay_alu instid0(SALU_CYCLE_1) | instskip(NEXT) | instid1(VALU_DEP_1)
	v_or_b32_e32 v52, vcc_lo, v52
	v_or_b32_e32 v129, s13, v52
.LBB4_1465:                             ;   in Loop: Header=BB4_1455 Depth=3
	v_add_co_u32 v52, vcc_lo, v68, v10
	v_add_co_ci_u32_e32 v53, vcc_lo, v69, v11, vcc_lo
	s_mov_b32 s13, 0
	s_mov_b32 s35, exec_lo
                                        ; implicit-def: $sgpr34
	flat_load_u8 v130, v[52:53] slc dlc
	s_waitcnt vmcnt(0) lgkmcnt(0)
	v_cmpx_lt_i16_e64 0x7f, v130
	s_xor_b32 s35, exec_lo, s35
	s_cbranch_execnz .LBB4_1658
; %bb.1466:                             ;   in Loop: Header=BB4_1455 Depth=3
	s_or_saveexec_b32 s35, s35
	v_mov_b32_e32 v131, s34
	s_xor_b32 exec_lo, exec_lo, s35
	s_cbranch_execnz .LBB4_1661
.LBB4_1467:                             ;   in Loop: Header=BB4_1455 Depth=3
	s_or_b32 exec_lo, exec_lo, s35
	s_and_saveexec_b32 s34, s13
	s_cbranch_execz .LBB4_1469
.LBB4_1468:                             ;   in Loop: Header=BB4_1455 Depth=3
	v_and_b32_e32 v131, 0xffff, v130
	v_lshlrev_b32_e32 v130, 24, v130
	s_delay_alu instid0(VALU_DEP_2) | instskip(NEXT) | instid1(VALU_DEP_2)
	v_and_b32_e32 v132, 3, v131
	v_and_b32_e32 v130, 0x80000000, v130
	s_delay_alu instid0(VALU_DEP_2) | instskip(NEXT) | instid1(VALU_DEP_1)
	v_clz_i32_u32_e32 v133, v132
	v_min_u32_e32 v133, 32, v133
	s_delay_alu instid0(VALU_DEP_1) | instskip(SKIP_1) | instid1(VALU_DEP_2)
	v_subrev_nc_u32_e32 v134, 29, v133
	v_sub_nc_u32_e32 v133, 30, v133
	v_lshlrev_b32_e32 v134, v134, v131
	v_bfe_u32 v131, v131, 2, 5
	s_delay_alu instid0(VALU_DEP_2) | instskip(NEXT) | instid1(VALU_DEP_2)
	v_and_b32_e32 v134, 3, v134
	v_cmp_eq_u32_e32 vcc_lo, 0, v131
	s_delay_alu instid0(VALU_DEP_2) | instskip(NEXT) | instid1(VALU_DEP_1)
	v_dual_cndmask_b32 v131, v131, v133 :: v_dual_cndmask_b32 v132, v132, v134
	v_lshl_add_u32 v131, v131, 23, 0x37800000
	s_delay_alu instid0(VALU_DEP_2) | instskip(NEXT) | instid1(VALU_DEP_1)
	v_lshlrev_b32_e32 v132, 21, v132
	v_or3_b32 v131, v130, v131, v132
.LBB4_1469:                             ;   in Loop: Header=BB4_1455 Depth=3
	s_or_b32 exec_lo, exec_lo, s34
	s_delay_alu instid0(VALU_DEP_1) | instskip(NEXT) | instid1(VALU_DEP_1)
	v_mul_f32_e32 v131, v129, v131
	v_and_b32_e32 v130, 0x7f800000, v131
	s_delay_alu instid0(VALU_DEP_1)
	v_cmp_ne_u32_e32 vcc_lo, 0x7f800000, v130
	v_mov_b32_e32 v130, 0x80
	s_and_saveexec_b32 s34, vcc_lo
	s_cbranch_execz .LBB4_1477
; %bb.1470:                             ;   in Loop: Header=BB4_1455 Depth=3
	v_mov_b32_e32 v130, 0
	s_mov_b32 s35, exec_lo
	v_cmpx_ne_u32_e32 0, v131
	s_cbranch_execz .LBB4_1476
; %bb.1471:                             ;   in Loop: Header=BB4_1455 Depth=3
	v_bfe_u32 v130, v131, 23, 8
	s_delay_alu instid0(VALU_DEP_1) | instskip(SKIP_1) | instid1(VALU_DEP_2)
	v_sub_nc_u32_e32 v133, 0x70, v130
	v_cmp_gt_u32_e32 vcc_lo, 0x71, v130
	v_dual_cndmask_b32 v133, 0, v133 :: v_dual_and_b32 v132, 0x7fffff, v131
	s_delay_alu instid0(VALU_DEP_1) | instskip(SKIP_2) | instid1(VALU_DEP_4)
	v_or_b32_e32 v134, 0x800000, v132
	v_cmp_eq_u32_e32 vcc_lo, 0, v130
	v_add_nc_u32_e32 v130, 0xffffff91, v130
	v_cndmask_b32_e64 v133, v133, 0x6f, vcc_lo
	s_delay_alu instid0(VALU_DEP_2) | instskip(SKIP_1) | instid1(VALU_DEP_3)
	v_cndmask_b32_e64 v130, v130, 0xffffff92, vcc_lo
	v_cndmask_b32_e32 v132, v134, v132, vcc_lo
	v_lshl_add_u32 v134, 0x200000, v133, -1
	v_lshlrev_b32_e64 v145, v133, 0x100000
	s_delay_alu instid0(VALU_DEP_3) | instskip(SKIP_1) | instid1(VALU_DEP_4)
	v_lshrrev_b32_e32 v135, v133, v132
	v_add_nc_u32_e32 v133, v133, v130
	v_and_b32_e32 v132, v134, v132
	s_delay_alu instid0(VALU_DEP_3) | instskip(NEXT) | instid1(VALU_DEP_2)
	v_bfe_u32 v144, v135, 21, 1
	v_cmp_eq_u32_e64 s13, v132, v145
	s_delay_alu instid0(VALU_DEP_2) | instskip(NEXT) | instid1(VALU_DEP_1)
	v_add_nc_u32_e32 v134, -1, v144
	v_cndmask_b32_e64 v132, 0, v134, s13
	v_lshrrev_b32_e32 v134, 23, v135
	s_mov_b32 s13, exec_lo
	s_delay_alu instid0(VALU_DEP_2) | instskip(NEXT) | instid1(VALU_DEP_2)
	v_add_nc_u32_e32 v132, v132, v135
	v_xor_b32_e32 v134, 1, v134
	s_delay_alu instid0(VALU_DEP_2) | instskip(NEXT) | instid1(VALU_DEP_1)
	v_and_b32_e32 v130, 0x1fffff, v132
	v_add_nc_u32_e32 v132, v130, v135
                                        ; implicit-def: $vgpr130
	s_delay_alu instid0(VALU_DEP_3)
	v_cmpx_ne_u32_e64 v133, v134
	s_xor_b32 s13, exec_lo, s13
; %bb.1472:                             ;   in Loop: Header=BB4_1455 Depth=3
	s_delay_alu instid0(VALU_DEP_2) | instskip(SKIP_2) | instid1(VALU_DEP_2)
	v_cmp_lt_u32_e32 vcc_lo, 0xffffff, v132
	v_sub_nc_u32_e32 v130, v133, v134
	v_cndmask_b32_e64 v133, 0, 1, vcc_lo
	v_add_co_ci_u32_e32 v130, vcc_lo, 0, v130, vcc_lo
	s_delay_alu instid0(VALU_DEP_2)
	v_lshrrev_b32_e32 v132, v133, v132
; %bb.1473:                             ;   in Loop: Header=BB4_1455 Depth=3
	s_and_not1_saveexec_b32 s13, s13
; %bb.1474:                             ;   in Loop: Header=BB4_1455 Depth=3
	s_delay_alu instid0(VALU_DEP_1)
	v_bfe_u32 v130, v132, 23, 1
; %bb.1475:                             ;   in Loop: Header=BB4_1455 Depth=3
	s_or_b32 exec_lo, exec_lo, s13
	v_lshrrev_b32_e32 v132, 21, v132
	s_delay_alu instid0(VALU_DEP_2) | instskip(SKIP_2) | instid1(VALU_DEP_2)
	v_cmp_gt_i32_e32 vcc_lo, 32, v130
	v_lshrrev_b32_e32 v131, 24, v131
	v_min_i32_e32 v133, 31, v130
	v_dual_cndmask_b32 v132, 3, v132 :: v_dual_and_b32 v131, 0x80, v131
	s_delay_alu instid0(VALU_DEP_1) | instskip(SKIP_1) | instid1(VALU_DEP_2)
	v_or_b32_e32 v130, v130, v132
	v_and_b32_e32 v134, 3, v132
	v_cmp_ne_u32_e32 vcc_lo, 0, v130
	v_lshlrev_b32_e32 v133, 2, v133
	s_delay_alu instid0(VALU_DEP_1) | instskip(NEXT) | instid1(VALU_DEP_1)
	v_or3_b32 v131, v133, v131, v134
	v_cndmask_b32_e32 v130, 0, v131, vcc_lo
.LBB4_1476:                             ;   in Loop: Header=BB4_1455 Depth=3
	s_or_b32 exec_lo, exec_lo, s35
.LBB4_1477:                             ;   in Loop: Header=BB4_1455 Depth=3
	s_delay_alu instid0(SALU_CYCLE_1)
	s_or_b32 exec_lo, exec_lo, s34
	flat_load_u8 v131, v[52:53] offset:32 slc dlc
	s_mov_b32 s13, 0
	s_mov_b32 s35, exec_lo
                                        ; implicit-def: $sgpr34
	s_waitcnt vmcnt(0) lgkmcnt(0)
	v_cmpx_lt_i16_e64 0x7f, v131
	s_xor_b32 s35, exec_lo, s35
	s_cbranch_execnz .LBB4_1662
; %bb.1478:                             ;   in Loop: Header=BB4_1455 Depth=3
	s_or_saveexec_b32 s35, s35
	v_mov_b32_e32 v132, s34
	s_xor_b32 exec_lo, exec_lo, s35
	s_cbranch_execnz .LBB4_1665
.LBB4_1479:                             ;   in Loop: Header=BB4_1455 Depth=3
	s_or_b32 exec_lo, exec_lo, s35
	s_and_saveexec_b32 s34, s13
	s_cbranch_execz .LBB4_1481
.LBB4_1480:                             ;   in Loop: Header=BB4_1455 Depth=3
	v_and_b32_e32 v132, 0xffff, v131
	v_lshlrev_b32_e32 v131, 24, v131
	s_delay_alu instid0(VALU_DEP_2) | instskip(NEXT) | instid1(VALU_DEP_2)
	v_and_b32_e32 v133, 3, v132
	v_and_b32_e32 v131, 0x80000000, v131
	s_delay_alu instid0(VALU_DEP_2) | instskip(NEXT) | instid1(VALU_DEP_1)
	v_clz_i32_u32_e32 v134, v133
	v_min_u32_e32 v134, 32, v134
	s_delay_alu instid0(VALU_DEP_1) | instskip(SKIP_1) | instid1(VALU_DEP_2)
	v_subrev_nc_u32_e32 v135, 29, v134
	v_sub_nc_u32_e32 v134, 30, v134
	v_lshlrev_b32_e32 v135, v135, v132
	v_bfe_u32 v132, v132, 2, 5
	s_delay_alu instid0(VALU_DEP_2) | instskip(NEXT) | instid1(VALU_DEP_2)
	v_and_b32_e32 v135, 3, v135
	v_cmp_eq_u32_e32 vcc_lo, 0, v132
	s_delay_alu instid0(VALU_DEP_2) | instskip(NEXT) | instid1(VALU_DEP_1)
	v_dual_cndmask_b32 v132, v132, v134 :: v_dual_cndmask_b32 v133, v133, v135
	v_lshl_add_u32 v132, v132, 23, 0x37800000
	s_delay_alu instid0(VALU_DEP_2) | instskip(NEXT) | instid1(VALU_DEP_1)
	v_lshlrev_b32_e32 v133, 21, v133
	v_or3_b32 v132, v131, v132, v133
.LBB4_1481:                             ;   in Loop: Header=BB4_1455 Depth=3
	s_or_b32 exec_lo, exec_lo, s34
	s_delay_alu instid0(VALU_DEP_1) | instskip(NEXT) | instid1(VALU_DEP_1)
	v_mul_f32_e32 v132, v129, v132
	v_and_b32_e32 v131, 0x7f800000, v132
	s_delay_alu instid0(VALU_DEP_1)
	v_cmp_ne_u32_e32 vcc_lo, 0x7f800000, v131
	v_mov_b32_e32 v131, 0x80
	s_and_saveexec_b32 s34, vcc_lo
	s_cbranch_execz .LBB4_1489
; %bb.1482:                             ;   in Loop: Header=BB4_1455 Depth=3
	v_mov_b32_e32 v131, 0
	s_mov_b32 s35, exec_lo
	v_cmpx_ne_u32_e32 0, v132
	s_cbranch_execz .LBB4_1488
; %bb.1483:                             ;   in Loop: Header=BB4_1455 Depth=3
	v_bfe_u32 v131, v132, 23, 8
	s_delay_alu instid0(VALU_DEP_1) | instskip(SKIP_1) | instid1(VALU_DEP_2)
	v_sub_nc_u32_e32 v134, 0x70, v131
	v_cmp_gt_u32_e32 vcc_lo, 0x71, v131
	v_dual_cndmask_b32 v134, 0, v134 :: v_dual_and_b32 v133, 0x7fffff, v132
	s_delay_alu instid0(VALU_DEP_1) | instskip(SKIP_2) | instid1(VALU_DEP_4)
	v_or_b32_e32 v135, 0x800000, v133
	v_cmp_eq_u32_e32 vcc_lo, 0, v131
	v_add_nc_u32_e32 v131, 0xffffff91, v131
	v_cndmask_b32_e64 v134, v134, 0x6f, vcc_lo
	s_delay_alu instid0(VALU_DEP_2) | instskip(SKIP_1) | instid1(VALU_DEP_3)
	v_cndmask_b32_e64 v131, v131, 0xffffff92, vcc_lo
	v_cndmask_b32_e32 v133, v135, v133, vcc_lo
	v_lshl_add_u32 v135, 0x200000, v134, -1
	v_lshlrev_b32_e64 v146, v134, 0x100000
	s_delay_alu instid0(VALU_DEP_3) | instskip(SKIP_1) | instid1(VALU_DEP_4)
	v_lshrrev_b32_e32 v144, v134, v133
	v_add_nc_u32_e32 v134, v134, v131
	v_and_b32_e32 v133, v135, v133
	s_delay_alu instid0(VALU_DEP_3) | instskip(NEXT) | instid1(VALU_DEP_2)
	v_bfe_u32 v145, v144, 21, 1
	v_cmp_eq_u32_e64 s13, v133, v146
	s_delay_alu instid0(VALU_DEP_2) | instskip(NEXT) | instid1(VALU_DEP_1)
	v_add_nc_u32_e32 v135, -1, v145
	v_cndmask_b32_e64 v133, 0, v135, s13
	v_lshrrev_b32_e32 v135, 23, v144
	s_mov_b32 s13, exec_lo
	s_delay_alu instid0(VALU_DEP_2) | instskip(NEXT) | instid1(VALU_DEP_2)
	v_add_nc_u32_e32 v133, v133, v144
	v_xor_b32_e32 v135, 1, v135
	s_delay_alu instid0(VALU_DEP_2) | instskip(NEXT) | instid1(VALU_DEP_1)
	v_and_b32_e32 v131, 0x1fffff, v133
	v_add_nc_u32_e32 v133, v131, v144
                                        ; implicit-def: $vgpr131
	s_delay_alu instid0(VALU_DEP_3)
	v_cmpx_ne_u32_e64 v134, v135
	s_xor_b32 s13, exec_lo, s13
; %bb.1484:                             ;   in Loop: Header=BB4_1455 Depth=3
	s_delay_alu instid0(VALU_DEP_2) | instskip(SKIP_2) | instid1(VALU_DEP_2)
	v_cmp_lt_u32_e32 vcc_lo, 0xffffff, v133
	v_sub_nc_u32_e32 v131, v134, v135
	v_cndmask_b32_e64 v134, 0, 1, vcc_lo
	v_add_co_ci_u32_e32 v131, vcc_lo, 0, v131, vcc_lo
	s_delay_alu instid0(VALU_DEP_2)
	v_lshrrev_b32_e32 v133, v134, v133
; %bb.1485:                             ;   in Loop: Header=BB4_1455 Depth=3
	s_and_not1_saveexec_b32 s13, s13
; %bb.1486:                             ;   in Loop: Header=BB4_1455 Depth=3
	s_delay_alu instid0(VALU_DEP_1)
	v_bfe_u32 v131, v133, 23, 1
; %bb.1487:                             ;   in Loop: Header=BB4_1455 Depth=3
	s_or_b32 exec_lo, exec_lo, s13
	v_lshrrev_b32_e32 v133, 21, v133
	s_delay_alu instid0(VALU_DEP_2) | instskip(SKIP_2) | instid1(VALU_DEP_2)
	v_cmp_gt_i32_e32 vcc_lo, 32, v131
	v_lshrrev_b32_e32 v132, 24, v132
	v_min_i32_e32 v134, 31, v131
	v_dual_cndmask_b32 v133, 3, v133 :: v_dual_and_b32 v132, 0x80, v132
	s_delay_alu instid0(VALU_DEP_1) | instskip(SKIP_1) | instid1(VALU_DEP_2)
	v_or_b32_e32 v131, v131, v133
	v_and_b32_e32 v135, 3, v133
	v_cmp_ne_u32_e32 vcc_lo, 0, v131
	v_lshlrev_b32_e32 v134, 2, v134
	s_delay_alu instid0(VALU_DEP_1) | instskip(NEXT) | instid1(VALU_DEP_1)
	v_or3_b32 v132, v134, v132, v135
	v_cndmask_b32_e32 v131, 0, v132, vcc_lo
.LBB4_1488:                             ;   in Loop: Header=BB4_1455 Depth=3
	s_or_b32 exec_lo, exec_lo, s35
.LBB4_1489:                             ;   in Loop: Header=BB4_1455 Depth=3
	s_delay_alu instid0(SALU_CYCLE_1)
	s_or_b32 exec_lo, exec_lo, s34
	flat_load_u8 v132, v[52:53] offset:64 slc dlc
	s_mov_b32 s13, 0
	s_mov_b32 s35, exec_lo
                                        ; implicit-def: $sgpr34
	s_waitcnt vmcnt(0) lgkmcnt(0)
	v_cmpx_lt_i16_e64 0x7f, v132
	s_xor_b32 s35, exec_lo, s35
	s_cbranch_execnz .LBB4_1666
; %bb.1490:                             ;   in Loop: Header=BB4_1455 Depth=3
	s_or_saveexec_b32 s35, s35
	v_mov_b32_e32 v133, s34
	s_xor_b32 exec_lo, exec_lo, s35
	s_cbranch_execnz .LBB4_1669
.LBB4_1491:                             ;   in Loop: Header=BB4_1455 Depth=3
	s_or_b32 exec_lo, exec_lo, s35
	s_and_saveexec_b32 s34, s13
	s_cbranch_execz .LBB4_1493
.LBB4_1492:                             ;   in Loop: Header=BB4_1455 Depth=3
	v_and_b32_e32 v133, 0xffff, v132
	v_lshlrev_b32_e32 v132, 24, v132
	s_delay_alu instid0(VALU_DEP_2) | instskip(NEXT) | instid1(VALU_DEP_2)
	v_and_b32_e32 v134, 3, v133
	v_and_b32_e32 v132, 0x80000000, v132
	s_delay_alu instid0(VALU_DEP_2) | instskip(NEXT) | instid1(VALU_DEP_1)
	v_clz_i32_u32_e32 v135, v134
	v_min_u32_e32 v135, 32, v135
	s_delay_alu instid0(VALU_DEP_1) | instskip(SKIP_1) | instid1(VALU_DEP_2)
	v_subrev_nc_u32_e32 v144, 29, v135
	v_sub_nc_u32_e32 v135, 30, v135
	v_lshlrev_b32_e32 v144, v144, v133
	v_bfe_u32 v133, v133, 2, 5
	s_delay_alu instid0(VALU_DEP_2) | instskip(NEXT) | instid1(VALU_DEP_2)
	v_and_b32_e32 v144, 3, v144
	v_cmp_eq_u32_e32 vcc_lo, 0, v133
	s_delay_alu instid0(VALU_DEP_2) | instskip(NEXT) | instid1(VALU_DEP_1)
	v_dual_cndmask_b32 v133, v133, v135 :: v_dual_cndmask_b32 v134, v134, v144
	v_lshl_add_u32 v133, v133, 23, 0x37800000
	s_delay_alu instid0(VALU_DEP_2) | instskip(NEXT) | instid1(VALU_DEP_1)
	v_lshlrev_b32_e32 v134, 21, v134
	v_or3_b32 v133, v132, v133, v134
.LBB4_1493:                             ;   in Loop: Header=BB4_1455 Depth=3
	s_or_b32 exec_lo, exec_lo, s34
	s_delay_alu instid0(VALU_DEP_1) | instskip(NEXT) | instid1(VALU_DEP_1)
	v_mul_f32_e32 v133, v129, v133
	v_and_b32_e32 v132, 0x7f800000, v133
	s_delay_alu instid0(VALU_DEP_1)
	v_cmp_ne_u32_e32 vcc_lo, 0x7f800000, v132
	v_mov_b32_e32 v132, 0x80
	s_and_saveexec_b32 s34, vcc_lo
	s_cbranch_execz .LBB4_1501
; %bb.1494:                             ;   in Loop: Header=BB4_1455 Depth=3
	v_mov_b32_e32 v132, 0
	s_mov_b32 s35, exec_lo
	v_cmpx_ne_u32_e32 0, v133
	s_cbranch_execz .LBB4_1500
; %bb.1495:                             ;   in Loop: Header=BB4_1455 Depth=3
	v_bfe_u32 v132, v133, 23, 8
	s_delay_alu instid0(VALU_DEP_1) | instskip(SKIP_1) | instid1(VALU_DEP_2)
	v_sub_nc_u32_e32 v135, 0x70, v132
	v_cmp_gt_u32_e32 vcc_lo, 0x71, v132
	v_dual_cndmask_b32 v135, 0, v135 :: v_dual_and_b32 v134, 0x7fffff, v133
	s_delay_alu instid0(VALU_DEP_1) | instskip(SKIP_2) | instid1(VALU_DEP_4)
	v_or_b32_e32 v144, 0x800000, v134
	v_cmp_eq_u32_e32 vcc_lo, 0, v132
	v_add_nc_u32_e32 v132, 0xffffff91, v132
	v_cndmask_b32_e64 v135, v135, 0x6f, vcc_lo
	s_delay_alu instid0(VALU_DEP_2) | instskip(SKIP_1) | instid1(VALU_DEP_3)
	v_cndmask_b32_e64 v132, v132, 0xffffff92, vcc_lo
	v_cndmask_b32_e32 v134, v144, v134, vcc_lo
	v_lshl_add_u32 v144, 0x200000, v135, -1
	v_lshlrev_b32_e64 v147, v135, 0x100000
	s_delay_alu instid0(VALU_DEP_3) | instskip(SKIP_1) | instid1(VALU_DEP_4)
	v_lshrrev_b32_e32 v145, v135, v134
	v_add_nc_u32_e32 v135, v135, v132
	v_and_b32_e32 v134, v144, v134
	s_delay_alu instid0(VALU_DEP_3) | instskip(NEXT) | instid1(VALU_DEP_2)
	v_bfe_u32 v146, v145, 21, 1
	v_cmp_eq_u32_e64 s13, v134, v147
	s_delay_alu instid0(VALU_DEP_2) | instskip(NEXT) | instid1(VALU_DEP_1)
	v_add_nc_u32_e32 v144, -1, v146
	v_cndmask_b32_e64 v134, 0, v144, s13
	v_lshrrev_b32_e32 v144, 23, v145
	s_mov_b32 s13, exec_lo
	s_delay_alu instid0(VALU_DEP_2) | instskip(NEXT) | instid1(VALU_DEP_2)
	v_add_nc_u32_e32 v134, v134, v145
	v_xor_b32_e32 v144, 1, v144
	s_delay_alu instid0(VALU_DEP_2) | instskip(NEXT) | instid1(VALU_DEP_1)
	v_and_b32_e32 v132, 0x1fffff, v134
	v_add_nc_u32_e32 v134, v132, v145
                                        ; implicit-def: $vgpr132
	s_delay_alu instid0(VALU_DEP_3)
	v_cmpx_ne_u32_e64 v135, v144
	s_xor_b32 s13, exec_lo, s13
; %bb.1496:                             ;   in Loop: Header=BB4_1455 Depth=3
	s_delay_alu instid0(VALU_DEP_2) | instskip(SKIP_2) | instid1(VALU_DEP_2)
	v_cmp_lt_u32_e32 vcc_lo, 0xffffff, v134
	v_sub_nc_u32_e32 v132, v135, v144
	v_cndmask_b32_e64 v135, 0, 1, vcc_lo
	v_add_co_ci_u32_e32 v132, vcc_lo, 0, v132, vcc_lo
	s_delay_alu instid0(VALU_DEP_2)
	v_lshrrev_b32_e32 v134, v135, v134
; %bb.1497:                             ;   in Loop: Header=BB4_1455 Depth=3
	s_and_not1_saveexec_b32 s13, s13
; %bb.1498:                             ;   in Loop: Header=BB4_1455 Depth=3
	s_delay_alu instid0(VALU_DEP_1)
	v_bfe_u32 v132, v134, 23, 1
; %bb.1499:                             ;   in Loop: Header=BB4_1455 Depth=3
	s_or_b32 exec_lo, exec_lo, s13
	v_lshrrev_b32_e32 v134, 21, v134
	s_delay_alu instid0(VALU_DEP_2) | instskip(SKIP_2) | instid1(VALU_DEP_2)
	v_cmp_gt_i32_e32 vcc_lo, 32, v132
	v_lshrrev_b32_e32 v133, 24, v133
	v_min_i32_e32 v135, 31, v132
	v_dual_cndmask_b32 v134, 3, v134 :: v_dual_and_b32 v133, 0x80, v133
	s_delay_alu instid0(VALU_DEP_1) | instskip(SKIP_1) | instid1(VALU_DEP_2)
	v_or_b32_e32 v132, v132, v134
	v_and_b32_e32 v144, 3, v134
	v_cmp_ne_u32_e32 vcc_lo, 0, v132
	v_lshlrev_b32_e32 v135, 2, v135
	s_delay_alu instid0(VALU_DEP_1) | instskip(NEXT) | instid1(VALU_DEP_1)
	v_or3_b32 v133, v135, v133, v144
	v_cndmask_b32_e32 v132, 0, v133, vcc_lo
.LBB4_1500:                             ;   in Loop: Header=BB4_1455 Depth=3
	s_or_b32 exec_lo, exec_lo, s35
.LBB4_1501:                             ;   in Loop: Header=BB4_1455 Depth=3
	s_delay_alu instid0(SALU_CYCLE_1)
	s_or_b32 exec_lo, exec_lo, s34
	flat_load_u8 v133, v[52:53] offset:96 slc dlc
	s_mov_b32 s13, 0
	s_mov_b32 s35, exec_lo
                                        ; implicit-def: $sgpr34
	s_waitcnt vmcnt(0) lgkmcnt(0)
	v_cmpx_lt_i16_e64 0x7f, v133
	s_xor_b32 s35, exec_lo, s35
	s_cbranch_execnz .LBB4_1670
; %bb.1502:                             ;   in Loop: Header=BB4_1455 Depth=3
	s_or_saveexec_b32 s35, s35
	v_mov_b32_e32 v134, s34
	s_xor_b32 exec_lo, exec_lo, s35
	s_cbranch_execnz .LBB4_1673
.LBB4_1503:                             ;   in Loop: Header=BB4_1455 Depth=3
	s_or_b32 exec_lo, exec_lo, s35
	s_and_saveexec_b32 s34, s13
	s_cbranch_execz .LBB4_1505
.LBB4_1504:                             ;   in Loop: Header=BB4_1455 Depth=3
	v_and_b32_e32 v134, 0xffff, v133
	v_lshlrev_b32_e32 v133, 24, v133
	s_delay_alu instid0(VALU_DEP_2) | instskip(NEXT) | instid1(VALU_DEP_2)
	v_and_b32_e32 v135, 3, v134
	v_and_b32_e32 v133, 0x80000000, v133
	s_delay_alu instid0(VALU_DEP_2) | instskip(NEXT) | instid1(VALU_DEP_1)
	v_clz_i32_u32_e32 v144, v135
	v_min_u32_e32 v144, 32, v144
	s_delay_alu instid0(VALU_DEP_1) | instskip(SKIP_1) | instid1(VALU_DEP_2)
	v_subrev_nc_u32_e32 v145, 29, v144
	v_sub_nc_u32_e32 v144, 30, v144
	v_lshlrev_b32_e32 v145, v145, v134
	v_bfe_u32 v134, v134, 2, 5
	s_delay_alu instid0(VALU_DEP_2) | instskip(NEXT) | instid1(VALU_DEP_2)
	v_and_b32_e32 v145, 3, v145
	v_cmp_eq_u32_e32 vcc_lo, 0, v134
	s_delay_alu instid0(VALU_DEP_2) | instskip(NEXT) | instid1(VALU_DEP_1)
	v_dual_cndmask_b32 v134, v134, v144 :: v_dual_cndmask_b32 v135, v135, v145
	v_lshl_add_u32 v134, v134, 23, 0x37800000
	s_delay_alu instid0(VALU_DEP_2) | instskip(NEXT) | instid1(VALU_DEP_1)
	v_lshlrev_b32_e32 v135, 21, v135
	v_or3_b32 v134, v133, v134, v135
.LBB4_1505:                             ;   in Loop: Header=BB4_1455 Depth=3
	s_or_b32 exec_lo, exec_lo, s34
	s_delay_alu instid0(VALU_DEP_1) | instskip(NEXT) | instid1(VALU_DEP_1)
	v_mul_f32_e32 v134, v129, v134
	v_and_b32_e32 v133, 0x7f800000, v134
	s_delay_alu instid0(VALU_DEP_1)
	v_cmp_ne_u32_e32 vcc_lo, 0x7f800000, v133
	v_mov_b32_e32 v133, 0x80
	s_and_saveexec_b32 s34, vcc_lo
	s_cbranch_execz .LBB4_1513
; %bb.1506:                             ;   in Loop: Header=BB4_1455 Depth=3
	v_mov_b32_e32 v133, 0
	s_mov_b32 s35, exec_lo
	v_cmpx_ne_u32_e32 0, v134
	s_cbranch_execz .LBB4_1512
; %bb.1507:                             ;   in Loop: Header=BB4_1455 Depth=3
	v_bfe_u32 v133, v134, 23, 8
	s_delay_alu instid0(VALU_DEP_1) | instskip(SKIP_1) | instid1(VALU_DEP_2)
	v_sub_nc_u32_e32 v144, 0x70, v133
	v_cmp_gt_u32_e32 vcc_lo, 0x71, v133
	v_dual_cndmask_b32 v144, 0, v144 :: v_dual_and_b32 v135, 0x7fffff, v134
	s_delay_alu instid0(VALU_DEP_1) | instskip(SKIP_2) | instid1(VALU_DEP_4)
	v_or_b32_e32 v145, 0x800000, v135
	v_cmp_eq_u32_e32 vcc_lo, 0, v133
	v_add_nc_u32_e32 v133, 0xffffff91, v133
	v_cndmask_b32_e64 v144, v144, 0x6f, vcc_lo
	s_delay_alu instid0(VALU_DEP_2) | instskip(SKIP_1) | instid1(VALU_DEP_3)
	v_cndmask_b32_e64 v133, v133, 0xffffff92, vcc_lo
	v_cndmask_b32_e32 v135, v145, v135, vcc_lo
	v_lshl_add_u32 v145, 0x200000, v144, -1
	v_lshlrev_b32_e64 v148, v144, 0x100000
	s_delay_alu instid0(VALU_DEP_3) | instskip(SKIP_1) | instid1(VALU_DEP_4)
	v_lshrrev_b32_e32 v146, v144, v135
	v_add_nc_u32_e32 v144, v144, v133
	v_and_b32_e32 v135, v145, v135
	s_delay_alu instid0(VALU_DEP_3) | instskip(NEXT) | instid1(VALU_DEP_2)
	v_bfe_u32 v147, v146, 21, 1
	v_cmp_eq_u32_e64 s13, v135, v148
	s_delay_alu instid0(VALU_DEP_2) | instskip(NEXT) | instid1(VALU_DEP_1)
	v_add_nc_u32_e32 v145, -1, v147
	v_cndmask_b32_e64 v135, 0, v145, s13
	v_lshrrev_b32_e32 v145, 23, v146
	s_mov_b32 s13, exec_lo
	s_delay_alu instid0(VALU_DEP_2) | instskip(NEXT) | instid1(VALU_DEP_2)
	v_add_nc_u32_e32 v135, v135, v146
	v_xor_b32_e32 v145, 1, v145
	s_delay_alu instid0(VALU_DEP_2) | instskip(NEXT) | instid1(VALU_DEP_1)
	v_and_b32_e32 v133, 0x1fffff, v135
	v_add_nc_u32_e32 v135, v133, v146
                                        ; implicit-def: $vgpr133
	s_delay_alu instid0(VALU_DEP_3)
	v_cmpx_ne_u32_e64 v144, v145
	s_xor_b32 s13, exec_lo, s13
; %bb.1508:                             ;   in Loop: Header=BB4_1455 Depth=3
	s_delay_alu instid0(VALU_DEP_2) | instskip(SKIP_2) | instid1(VALU_DEP_2)
	v_cmp_lt_u32_e32 vcc_lo, 0xffffff, v135
	v_sub_nc_u32_e32 v133, v144, v145
	v_cndmask_b32_e64 v144, 0, 1, vcc_lo
	v_add_co_ci_u32_e32 v133, vcc_lo, 0, v133, vcc_lo
	s_delay_alu instid0(VALU_DEP_2)
	v_lshrrev_b32_e32 v135, v144, v135
; %bb.1509:                             ;   in Loop: Header=BB4_1455 Depth=3
	s_and_not1_saveexec_b32 s13, s13
; %bb.1510:                             ;   in Loop: Header=BB4_1455 Depth=3
	s_delay_alu instid0(VALU_DEP_1)
	v_bfe_u32 v133, v135, 23, 1
; %bb.1511:                             ;   in Loop: Header=BB4_1455 Depth=3
	s_or_b32 exec_lo, exec_lo, s13
	v_lshrrev_b32_e32 v135, 21, v135
	s_delay_alu instid0(VALU_DEP_2) | instskip(SKIP_2) | instid1(VALU_DEP_2)
	v_cmp_gt_i32_e32 vcc_lo, 32, v133
	v_lshrrev_b32_e32 v134, 24, v134
	v_min_i32_e32 v144, 31, v133
	v_dual_cndmask_b32 v135, 3, v135 :: v_dual_and_b32 v134, 0x80, v134
	s_delay_alu instid0(VALU_DEP_1) | instskip(SKIP_1) | instid1(VALU_DEP_2)
	v_or_b32_e32 v133, v133, v135
	v_and_b32_e32 v145, 3, v135
	v_cmp_ne_u32_e32 vcc_lo, 0, v133
	v_lshlrev_b32_e32 v144, 2, v144
	s_delay_alu instid0(VALU_DEP_1) | instskip(NEXT) | instid1(VALU_DEP_1)
	v_or3_b32 v134, v144, v134, v145
	v_cndmask_b32_e32 v133, 0, v134, vcc_lo
.LBB4_1512:                             ;   in Loop: Header=BB4_1455 Depth=3
	s_or_b32 exec_lo, exec_lo, s35
.LBB4_1513:                             ;   in Loop: Header=BB4_1455 Depth=3
	s_delay_alu instid0(SALU_CYCLE_1)
	s_or_b32 exec_lo, exec_lo, s34
	flat_load_u8 v134, v[52:53] offset:128 slc dlc
	s_mov_b32 s13, 0
	s_mov_b32 s35, exec_lo
                                        ; implicit-def: $sgpr34
	s_waitcnt vmcnt(0) lgkmcnt(0)
	v_cmpx_lt_i16_e64 0x7f, v134
	s_xor_b32 s35, exec_lo, s35
	s_cbranch_execnz .LBB4_1674
; %bb.1514:                             ;   in Loop: Header=BB4_1455 Depth=3
	s_or_saveexec_b32 s35, s35
	v_mov_b32_e32 v135, s34
	s_xor_b32 exec_lo, exec_lo, s35
	s_cbranch_execnz .LBB4_1677
.LBB4_1515:                             ;   in Loop: Header=BB4_1455 Depth=3
	s_or_b32 exec_lo, exec_lo, s35
	s_and_saveexec_b32 s34, s13
	s_cbranch_execz .LBB4_1517
.LBB4_1516:                             ;   in Loop: Header=BB4_1455 Depth=3
	v_and_b32_e32 v135, 0xffff, v134
	v_lshlrev_b32_e32 v134, 24, v134
	s_delay_alu instid0(VALU_DEP_2) | instskip(NEXT) | instid1(VALU_DEP_2)
	v_and_b32_e32 v144, 3, v135
	v_and_b32_e32 v134, 0x80000000, v134
	s_delay_alu instid0(VALU_DEP_2) | instskip(NEXT) | instid1(VALU_DEP_1)
	v_clz_i32_u32_e32 v145, v144
	v_min_u32_e32 v145, 32, v145
	s_delay_alu instid0(VALU_DEP_1) | instskip(SKIP_1) | instid1(VALU_DEP_2)
	v_subrev_nc_u32_e32 v146, 29, v145
	v_sub_nc_u32_e32 v145, 30, v145
	v_lshlrev_b32_e32 v146, v146, v135
	v_bfe_u32 v135, v135, 2, 5
	s_delay_alu instid0(VALU_DEP_2) | instskip(NEXT) | instid1(VALU_DEP_2)
	v_and_b32_e32 v146, 3, v146
	v_cmp_eq_u32_e32 vcc_lo, 0, v135
	s_delay_alu instid0(VALU_DEP_2) | instskip(NEXT) | instid1(VALU_DEP_1)
	v_dual_cndmask_b32 v135, v135, v145 :: v_dual_cndmask_b32 v144, v144, v146
	v_lshl_add_u32 v135, v135, 23, 0x37800000
	s_delay_alu instid0(VALU_DEP_2) | instskip(NEXT) | instid1(VALU_DEP_1)
	v_lshlrev_b32_e32 v144, 21, v144
	v_or3_b32 v135, v134, v135, v144
.LBB4_1517:                             ;   in Loop: Header=BB4_1455 Depth=3
	s_or_b32 exec_lo, exec_lo, s34
	s_delay_alu instid0(VALU_DEP_1) | instskip(NEXT) | instid1(VALU_DEP_1)
	v_mul_f32_e32 v135, v129, v135
	v_and_b32_e32 v134, 0x7f800000, v135
	s_delay_alu instid0(VALU_DEP_1)
	v_cmp_ne_u32_e32 vcc_lo, 0x7f800000, v134
	v_mov_b32_e32 v134, 0x80
	s_and_saveexec_b32 s34, vcc_lo
	s_cbranch_execz .LBB4_1525
; %bb.1518:                             ;   in Loop: Header=BB4_1455 Depth=3
	v_mov_b32_e32 v134, 0
	s_mov_b32 s35, exec_lo
	v_cmpx_ne_u32_e32 0, v135
	s_cbranch_execz .LBB4_1524
; %bb.1519:                             ;   in Loop: Header=BB4_1455 Depth=3
	v_bfe_u32 v134, v135, 23, 8
	s_delay_alu instid0(VALU_DEP_1) | instskip(SKIP_1) | instid1(VALU_DEP_2)
	v_sub_nc_u32_e32 v145, 0x70, v134
	v_cmp_gt_u32_e32 vcc_lo, 0x71, v134
	v_dual_cndmask_b32 v145, 0, v145 :: v_dual_and_b32 v144, 0x7fffff, v135
	s_delay_alu instid0(VALU_DEP_1) | instskip(SKIP_2) | instid1(VALU_DEP_4)
	v_or_b32_e32 v146, 0x800000, v144
	v_cmp_eq_u32_e32 vcc_lo, 0, v134
	v_add_nc_u32_e32 v134, 0xffffff91, v134
	v_cndmask_b32_e64 v145, v145, 0x6f, vcc_lo
	s_delay_alu instid0(VALU_DEP_2) | instskip(SKIP_1) | instid1(VALU_DEP_3)
	v_cndmask_b32_e64 v134, v134, 0xffffff92, vcc_lo
	v_cndmask_b32_e32 v144, v146, v144, vcc_lo
	v_lshl_add_u32 v146, 0x200000, v145, -1
	v_lshlrev_b32_e64 v149, v145, 0x100000
	s_delay_alu instid0(VALU_DEP_3) | instskip(SKIP_1) | instid1(VALU_DEP_4)
	v_lshrrev_b32_e32 v147, v145, v144
	v_add_nc_u32_e32 v145, v145, v134
	v_and_b32_e32 v144, v146, v144
	s_delay_alu instid0(VALU_DEP_3) | instskip(NEXT) | instid1(VALU_DEP_2)
	v_bfe_u32 v148, v147, 21, 1
	v_cmp_eq_u32_e64 s13, v144, v149
	s_delay_alu instid0(VALU_DEP_2) | instskip(NEXT) | instid1(VALU_DEP_1)
	v_add_nc_u32_e32 v146, -1, v148
	v_cndmask_b32_e64 v144, 0, v146, s13
	v_lshrrev_b32_e32 v146, 23, v147
	s_mov_b32 s13, exec_lo
	s_delay_alu instid0(VALU_DEP_2) | instskip(NEXT) | instid1(VALU_DEP_2)
	v_add_nc_u32_e32 v144, v144, v147
	v_xor_b32_e32 v146, 1, v146
	s_delay_alu instid0(VALU_DEP_2) | instskip(NEXT) | instid1(VALU_DEP_1)
	v_and_b32_e32 v134, 0x1fffff, v144
	v_add_nc_u32_e32 v144, v134, v147
                                        ; implicit-def: $vgpr134
	s_delay_alu instid0(VALU_DEP_3)
	v_cmpx_ne_u32_e64 v145, v146
	s_xor_b32 s13, exec_lo, s13
; %bb.1520:                             ;   in Loop: Header=BB4_1455 Depth=3
	s_delay_alu instid0(VALU_DEP_2) | instskip(SKIP_2) | instid1(VALU_DEP_2)
	v_cmp_lt_u32_e32 vcc_lo, 0xffffff, v144
	v_sub_nc_u32_e32 v134, v145, v146
	v_cndmask_b32_e64 v145, 0, 1, vcc_lo
	v_add_co_ci_u32_e32 v134, vcc_lo, 0, v134, vcc_lo
	s_delay_alu instid0(VALU_DEP_2)
	v_lshrrev_b32_e32 v144, v145, v144
; %bb.1521:                             ;   in Loop: Header=BB4_1455 Depth=3
	s_and_not1_saveexec_b32 s13, s13
; %bb.1522:                             ;   in Loop: Header=BB4_1455 Depth=3
	s_delay_alu instid0(VALU_DEP_1)
	v_bfe_u32 v134, v144, 23, 1
; %bb.1523:                             ;   in Loop: Header=BB4_1455 Depth=3
	s_or_b32 exec_lo, exec_lo, s13
	v_lshrrev_b32_e32 v144, 21, v144
	s_delay_alu instid0(VALU_DEP_2) | instskip(SKIP_2) | instid1(VALU_DEP_2)
	v_cmp_gt_i32_e32 vcc_lo, 32, v134
	v_lshrrev_b32_e32 v135, 24, v135
	v_min_i32_e32 v145, 31, v134
	v_dual_cndmask_b32 v144, 3, v144 :: v_dual_and_b32 v135, 0x80, v135
	s_delay_alu instid0(VALU_DEP_1) | instskip(SKIP_1) | instid1(VALU_DEP_2)
	v_or_b32_e32 v134, v134, v144
	v_and_b32_e32 v146, 3, v144
	v_cmp_ne_u32_e32 vcc_lo, 0, v134
	v_lshlrev_b32_e32 v145, 2, v145
	s_delay_alu instid0(VALU_DEP_1) | instskip(NEXT) | instid1(VALU_DEP_1)
	v_or3_b32 v135, v145, v135, v146
	v_cndmask_b32_e32 v134, 0, v135, vcc_lo
.LBB4_1524:                             ;   in Loop: Header=BB4_1455 Depth=3
	s_or_b32 exec_lo, exec_lo, s35
.LBB4_1525:                             ;   in Loop: Header=BB4_1455 Depth=3
	s_delay_alu instid0(SALU_CYCLE_1)
	s_or_b32 exec_lo, exec_lo, s34
	flat_load_u8 v135, v[52:53] offset:160 slc dlc
	s_mov_b32 s13, 0
	s_mov_b32 s35, exec_lo
                                        ; implicit-def: $sgpr34
	s_waitcnt vmcnt(0) lgkmcnt(0)
	v_cmpx_lt_i16_e64 0x7f, v135
	s_xor_b32 s35, exec_lo, s35
	s_cbranch_execnz .LBB4_1678
; %bb.1526:                             ;   in Loop: Header=BB4_1455 Depth=3
	s_or_saveexec_b32 s35, s35
	v_mov_b32_e32 v144, s34
	s_xor_b32 exec_lo, exec_lo, s35
	s_cbranch_execnz .LBB4_1681
.LBB4_1527:                             ;   in Loop: Header=BB4_1455 Depth=3
	s_or_b32 exec_lo, exec_lo, s35
	s_and_saveexec_b32 s34, s13
	s_cbranch_execz .LBB4_1529
.LBB4_1528:                             ;   in Loop: Header=BB4_1455 Depth=3
	v_and_b32_e32 v144, 0xffff, v135
	v_lshlrev_b32_e32 v135, 24, v135
	s_delay_alu instid0(VALU_DEP_2) | instskip(NEXT) | instid1(VALU_DEP_2)
	v_and_b32_e32 v145, 3, v144
	v_and_b32_e32 v135, 0x80000000, v135
	s_delay_alu instid0(VALU_DEP_2) | instskip(NEXT) | instid1(VALU_DEP_1)
	v_clz_i32_u32_e32 v146, v145
	v_min_u32_e32 v146, 32, v146
	s_delay_alu instid0(VALU_DEP_1) | instskip(SKIP_1) | instid1(VALU_DEP_2)
	v_subrev_nc_u32_e32 v147, 29, v146
	v_sub_nc_u32_e32 v146, 30, v146
	v_lshlrev_b32_e32 v147, v147, v144
	v_bfe_u32 v144, v144, 2, 5
	s_delay_alu instid0(VALU_DEP_2) | instskip(NEXT) | instid1(VALU_DEP_2)
	v_and_b32_e32 v147, 3, v147
	v_cmp_eq_u32_e32 vcc_lo, 0, v144
	s_delay_alu instid0(VALU_DEP_2) | instskip(NEXT) | instid1(VALU_DEP_1)
	v_dual_cndmask_b32 v144, v144, v146 :: v_dual_cndmask_b32 v145, v145, v147
	v_lshl_add_u32 v144, v144, 23, 0x37800000
	s_delay_alu instid0(VALU_DEP_2) | instskip(NEXT) | instid1(VALU_DEP_1)
	v_lshlrev_b32_e32 v145, 21, v145
	v_or3_b32 v144, v135, v144, v145
.LBB4_1529:                             ;   in Loop: Header=BB4_1455 Depth=3
	s_or_b32 exec_lo, exec_lo, s34
	s_delay_alu instid0(VALU_DEP_1) | instskip(NEXT) | instid1(VALU_DEP_1)
	v_mul_f32_e32 v144, v129, v144
	v_and_b32_e32 v135, 0x7f800000, v144
	s_delay_alu instid0(VALU_DEP_1)
	v_cmp_ne_u32_e32 vcc_lo, 0x7f800000, v135
	v_mov_b32_e32 v135, 0x80
	s_and_saveexec_b32 s34, vcc_lo
	s_cbranch_execz .LBB4_1537
; %bb.1530:                             ;   in Loop: Header=BB4_1455 Depth=3
	v_mov_b32_e32 v135, 0
	s_mov_b32 s35, exec_lo
	v_cmpx_ne_u32_e32 0, v144
	s_cbranch_execz .LBB4_1536
; %bb.1531:                             ;   in Loop: Header=BB4_1455 Depth=3
	v_bfe_u32 v135, v144, 23, 8
	s_delay_alu instid0(VALU_DEP_1) | instskip(SKIP_1) | instid1(VALU_DEP_2)
	v_sub_nc_u32_e32 v146, 0x70, v135
	v_cmp_gt_u32_e32 vcc_lo, 0x71, v135
	v_dual_cndmask_b32 v146, 0, v146 :: v_dual_and_b32 v145, 0x7fffff, v144
	s_delay_alu instid0(VALU_DEP_1) | instskip(SKIP_2) | instid1(VALU_DEP_4)
	v_or_b32_e32 v147, 0x800000, v145
	v_cmp_eq_u32_e32 vcc_lo, 0, v135
	v_add_nc_u32_e32 v135, 0xffffff91, v135
	v_cndmask_b32_e64 v146, v146, 0x6f, vcc_lo
	s_delay_alu instid0(VALU_DEP_2) | instskip(SKIP_1) | instid1(VALU_DEP_3)
	v_cndmask_b32_e64 v135, v135, 0xffffff92, vcc_lo
	v_cndmask_b32_e32 v145, v147, v145, vcc_lo
	v_lshl_add_u32 v147, 0x200000, v146, -1
	v_lshlrev_b32_e64 v150, v146, 0x100000
	s_delay_alu instid0(VALU_DEP_3) | instskip(SKIP_1) | instid1(VALU_DEP_4)
	v_lshrrev_b32_e32 v148, v146, v145
	v_add_nc_u32_e32 v146, v146, v135
	v_and_b32_e32 v145, v147, v145
	s_delay_alu instid0(VALU_DEP_3) | instskip(NEXT) | instid1(VALU_DEP_2)
	v_bfe_u32 v149, v148, 21, 1
	v_cmp_eq_u32_e64 s13, v145, v150
	s_delay_alu instid0(VALU_DEP_2) | instskip(NEXT) | instid1(VALU_DEP_1)
	v_add_nc_u32_e32 v147, -1, v149
	v_cndmask_b32_e64 v145, 0, v147, s13
	v_lshrrev_b32_e32 v147, 23, v148
	s_mov_b32 s13, exec_lo
	s_delay_alu instid0(VALU_DEP_2) | instskip(NEXT) | instid1(VALU_DEP_2)
	v_add_nc_u32_e32 v145, v145, v148
	v_xor_b32_e32 v147, 1, v147
	s_delay_alu instid0(VALU_DEP_2) | instskip(NEXT) | instid1(VALU_DEP_1)
	v_and_b32_e32 v135, 0x1fffff, v145
	v_add_nc_u32_e32 v145, v135, v148
                                        ; implicit-def: $vgpr135
	s_delay_alu instid0(VALU_DEP_3)
	v_cmpx_ne_u32_e64 v146, v147
	s_xor_b32 s13, exec_lo, s13
; %bb.1532:                             ;   in Loop: Header=BB4_1455 Depth=3
	s_delay_alu instid0(VALU_DEP_2) | instskip(SKIP_2) | instid1(VALU_DEP_2)
	v_cmp_lt_u32_e32 vcc_lo, 0xffffff, v145
	v_sub_nc_u32_e32 v135, v146, v147
	v_cndmask_b32_e64 v146, 0, 1, vcc_lo
	v_add_co_ci_u32_e32 v135, vcc_lo, 0, v135, vcc_lo
	s_delay_alu instid0(VALU_DEP_2)
	v_lshrrev_b32_e32 v145, v146, v145
; %bb.1533:                             ;   in Loop: Header=BB4_1455 Depth=3
	s_and_not1_saveexec_b32 s13, s13
; %bb.1534:                             ;   in Loop: Header=BB4_1455 Depth=3
	s_delay_alu instid0(VALU_DEP_1)
	v_bfe_u32 v135, v145, 23, 1
; %bb.1535:                             ;   in Loop: Header=BB4_1455 Depth=3
	s_or_b32 exec_lo, exec_lo, s13
	v_lshrrev_b32_e32 v145, 21, v145
	s_delay_alu instid0(VALU_DEP_2) | instskip(SKIP_2) | instid1(VALU_DEP_2)
	v_cmp_gt_i32_e32 vcc_lo, 32, v135
	v_lshrrev_b32_e32 v144, 24, v144
	v_min_i32_e32 v146, 31, v135
	v_dual_cndmask_b32 v145, 3, v145 :: v_dual_and_b32 v144, 0x80, v144
	s_delay_alu instid0(VALU_DEP_1) | instskip(SKIP_1) | instid1(VALU_DEP_2)
	v_or_b32_e32 v135, v135, v145
	v_and_b32_e32 v147, 3, v145
	v_cmp_ne_u32_e32 vcc_lo, 0, v135
	v_lshlrev_b32_e32 v146, 2, v146
	s_delay_alu instid0(VALU_DEP_1) | instskip(NEXT) | instid1(VALU_DEP_1)
	v_or3_b32 v144, v146, v144, v147
	v_cndmask_b32_e32 v135, 0, v144, vcc_lo
.LBB4_1536:                             ;   in Loop: Header=BB4_1455 Depth=3
	s_or_b32 exec_lo, exec_lo, s35
.LBB4_1537:                             ;   in Loop: Header=BB4_1455 Depth=3
	s_delay_alu instid0(SALU_CYCLE_1)
	s_or_b32 exec_lo, exec_lo, s34
	flat_load_u8 v144, v[52:53] offset:192 slc dlc
	s_mov_b32 s13, 0
	s_mov_b32 s35, exec_lo
                                        ; implicit-def: $sgpr34
	s_waitcnt vmcnt(0) lgkmcnt(0)
	v_cmpx_lt_i16_e64 0x7f, v144
	s_xor_b32 s35, exec_lo, s35
	s_cbranch_execnz .LBB4_1682
; %bb.1538:                             ;   in Loop: Header=BB4_1455 Depth=3
	s_or_saveexec_b32 s35, s35
	v_mov_b32_e32 v145, s34
	s_xor_b32 exec_lo, exec_lo, s35
	s_cbranch_execnz .LBB4_1685
.LBB4_1539:                             ;   in Loop: Header=BB4_1455 Depth=3
	s_or_b32 exec_lo, exec_lo, s35
	s_and_saveexec_b32 s34, s13
	s_cbranch_execz .LBB4_1541
.LBB4_1540:                             ;   in Loop: Header=BB4_1455 Depth=3
	v_and_b32_e32 v145, 0xffff, v144
	v_lshlrev_b32_e32 v144, 24, v144
	s_delay_alu instid0(VALU_DEP_2) | instskip(NEXT) | instid1(VALU_DEP_2)
	v_and_b32_e32 v146, 3, v145
	v_and_b32_e32 v144, 0x80000000, v144
	s_delay_alu instid0(VALU_DEP_2) | instskip(NEXT) | instid1(VALU_DEP_1)
	v_clz_i32_u32_e32 v147, v146
	v_min_u32_e32 v147, 32, v147
	s_delay_alu instid0(VALU_DEP_1) | instskip(SKIP_1) | instid1(VALU_DEP_2)
	v_subrev_nc_u32_e32 v148, 29, v147
	v_sub_nc_u32_e32 v147, 30, v147
	v_lshlrev_b32_e32 v148, v148, v145
	v_bfe_u32 v145, v145, 2, 5
	s_delay_alu instid0(VALU_DEP_2) | instskip(NEXT) | instid1(VALU_DEP_2)
	v_and_b32_e32 v148, 3, v148
	v_cmp_eq_u32_e32 vcc_lo, 0, v145
	s_delay_alu instid0(VALU_DEP_2) | instskip(NEXT) | instid1(VALU_DEP_1)
	v_dual_cndmask_b32 v145, v145, v147 :: v_dual_cndmask_b32 v146, v146, v148
	v_lshl_add_u32 v145, v145, 23, 0x37800000
	s_delay_alu instid0(VALU_DEP_2) | instskip(NEXT) | instid1(VALU_DEP_1)
	v_lshlrev_b32_e32 v146, 21, v146
	v_or3_b32 v145, v144, v145, v146
.LBB4_1541:                             ;   in Loop: Header=BB4_1455 Depth=3
	s_or_b32 exec_lo, exec_lo, s34
	s_delay_alu instid0(VALU_DEP_1) | instskip(NEXT) | instid1(VALU_DEP_1)
	v_mul_f32_e32 v145, v129, v145
	v_and_b32_e32 v144, 0x7f800000, v145
	s_delay_alu instid0(VALU_DEP_1)
	v_cmp_ne_u32_e32 vcc_lo, 0x7f800000, v144
	v_mov_b32_e32 v144, 0x80
	s_and_saveexec_b32 s34, vcc_lo
	s_cbranch_execz .LBB4_1549
; %bb.1542:                             ;   in Loop: Header=BB4_1455 Depth=3
	v_mov_b32_e32 v144, 0
	s_mov_b32 s35, exec_lo
	v_cmpx_ne_u32_e32 0, v145
	s_cbranch_execz .LBB4_1548
; %bb.1543:                             ;   in Loop: Header=BB4_1455 Depth=3
	v_bfe_u32 v144, v145, 23, 8
	s_delay_alu instid0(VALU_DEP_1) | instskip(SKIP_1) | instid1(VALU_DEP_2)
	v_sub_nc_u32_e32 v147, 0x70, v144
	v_cmp_gt_u32_e32 vcc_lo, 0x71, v144
	v_dual_cndmask_b32 v147, 0, v147 :: v_dual_and_b32 v146, 0x7fffff, v145
	s_delay_alu instid0(VALU_DEP_1) | instskip(SKIP_2) | instid1(VALU_DEP_4)
	v_or_b32_e32 v148, 0x800000, v146
	v_cmp_eq_u32_e32 vcc_lo, 0, v144
	v_add_nc_u32_e32 v144, 0xffffff91, v144
	v_cndmask_b32_e64 v147, v147, 0x6f, vcc_lo
	s_delay_alu instid0(VALU_DEP_2) | instskip(SKIP_1) | instid1(VALU_DEP_3)
	v_cndmask_b32_e64 v144, v144, 0xffffff92, vcc_lo
	v_cndmask_b32_e32 v146, v148, v146, vcc_lo
	v_lshl_add_u32 v148, 0x200000, v147, -1
	v_lshlrev_b32_e64 v151, v147, 0x100000
	s_delay_alu instid0(VALU_DEP_3) | instskip(SKIP_1) | instid1(VALU_DEP_4)
	v_lshrrev_b32_e32 v149, v147, v146
	v_add_nc_u32_e32 v147, v147, v144
	v_and_b32_e32 v146, v148, v146
	s_delay_alu instid0(VALU_DEP_3) | instskip(NEXT) | instid1(VALU_DEP_2)
	v_bfe_u32 v150, v149, 21, 1
	v_cmp_eq_u32_e64 s13, v146, v151
	s_delay_alu instid0(VALU_DEP_2) | instskip(NEXT) | instid1(VALU_DEP_1)
	v_add_nc_u32_e32 v148, -1, v150
	v_cndmask_b32_e64 v146, 0, v148, s13
	v_lshrrev_b32_e32 v148, 23, v149
	s_mov_b32 s13, exec_lo
	s_delay_alu instid0(VALU_DEP_2) | instskip(NEXT) | instid1(VALU_DEP_2)
	v_add_nc_u32_e32 v146, v146, v149
	v_xor_b32_e32 v148, 1, v148
	s_delay_alu instid0(VALU_DEP_2) | instskip(NEXT) | instid1(VALU_DEP_1)
	v_and_b32_e32 v144, 0x1fffff, v146
	v_add_nc_u32_e32 v146, v144, v149
                                        ; implicit-def: $vgpr144
	s_delay_alu instid0(VALU_DEP_3)
	v_cmpx_ne_u32_e64 v147, v148
	s_xor_b32 s13, exec_lo, s13
; %bb.1544:                             ;   in Loop: Header=BB4_1455 Depth=3
	s_delay_alu instid0(VALU_DEP_2) | instskip(SKIP_2) | instid1(VALU_DEP_2)
	v_cmp_lt_u32_e32 vcc_lo, 0xffffff, v146
	v_sub_nc_u32_e32 v144, v147, v148
	v_cndmask_b32_e64 v147, 0, 1, vcc_lo
	v_add_co_ci_u32_e32 v144, vcc_lo, 0, v144, vcc_lo
	s_delay_alu instid0(VALU_DEP_2)
	v_lshrrev_b32_e32 v146, v147, v146
; %bb.1545:                             ;   in Loop: Header=BB4_1455 Depth=3
	s_and_not1_saveexec_b32 s13, s13
; %bb.1546:                             ;   in Loop: Header=BB4_1455 Depth=3
	s_delay_alu instid0(VALU_DEP_1)
	v_bfe_u32 v144, v146, 23, 1
; %bb.1547:                             ;   in Loop: Header=BB4_1455 Depth=3
	s_or_b32 exec_lo, exec_lo, s13
	v_lshrrev_b32_e32 v146, 21, v146
	s_delay_alu instid0(VALU_DEP_2) | instskip(SKIP_2) | instid1(VALU_DEP_2)
	v_cmp_gt_i32_e32 vcc_lo, 32, v144
	v_lshrrev_b32_e32 v145, 24, v145
	v_min_i32_e32 v147, 31, v144
	v_dual_cndmask_b32 v146, 3, v146 :: v_dual_and_b32 v145, 0x80, v145
	s_delay_alu instid0(VALU_DEP_1) | instskip(SKIP_1) | instid1(VALU_DEP_2)
	v_or_b32_e32 v144, v144, v146
	v_and_b32_e32 v148, 3, v146
	v_cmp_ne_u32_e32 vcc_lo, 0, v144
	v_lshlrev_b32_e32 v147, 2, v147
	s_delay_alu instid0(VALU_DEP_1) | instskip(NEXT) | instid1(VALU_DEP_1)
	v_or3_b32 v145, v147, v145, v148
	v_cndmask_b32_e32 v144, 0, v145, vcc_lo
.LBB4_1548:                             ;   in Loop: Header=BB4_1455 Depth=3
	s_or_b32 exec_lo, exec_lo, s35
.LBB4_1549:                             ;   in Loop: Header=BB4_1455 Depth=3
	s_delay_alu instid0(SALU_CYCLE_1)
	s_or_b32 exec_lo, exec_lo, s34
	flat_load_u8 v145, v[52:53] offset:224 slc dlc
	s_mov_b32 s13, 0
	s_mov_b32 s35, exec_lo
                                        ; implicit-def: $sgpr34
	s_waitcnt vmcnt(0) lgkmcnt(0)
	v_cmpx_lt_i16_e64 0x7f, v145
	s_xor_b32 s35, exec_lo, s35
	s_cbranch_execnz .LBB4_1686
; %bb.1550:                             ;   in Loop: Header=BB4_1455 Depth=3
	s_or_saveexec_b32 s35, s35
	v_mov_b32_e32 v146, s34
	s_xor_b32 exec_lo, exec_lo, s35
	s_cbranch_execnz .LBB4_1689
.LBB4_1551:                             ;   in Loop: Header=BB4_1455 Depth=3
	s_or_b32 exec_lo, exec_lo, s35
	s_and_saveexec_b32 s34, s13
	s_cbranch_execz .LBB4_1553
.LBB4_1552:                             ;   in Loop: Header=BB4_1455 Depth=3
	v_and_b32_e32 v146, 0xffff, v145
	v_lshlrev_b32_e32 v145, 24, v145
	s_delay_alu instid0(VALU_DEP_2) | instskip(NEXT) | instid1(VALU_DEP_2)
	v_and_b32_e32 v147, 3, v146
	v_and_b32_e32 v145, 0x80000000, v145
	s_delay_alu instid0(VALU_DEP_2) | instskip(NEXT) | instid1(VALU_DEP_1)
	v_clz_i32_u32_e32 v148, v147
	v_min_u32_e32 v148, 32, v148
	s_delay_alu instid0(VALU_DEP_1) | instskip(SKIP_1) | instid1(VALU_DEP_2)
	v_subrev_nc_u32_e32 v149, 29, v148
	v_sub_nc_u32_e32 v148, 30, v148
	v_lshlrev_b32_e32 v149, v149, v146
	v_bfe_u32 v146, v146, 2, 5
	s_delay_alu instid0(VALU_DEP_2) | instskip(NEXT) | instid1(VALU_DEP_2)
	v_and_b32_e32 v149, 3, v149
	v_cmp_eq_u32_e32 vcc_lo, 0, v146
	s_delay_alu instid0(VALU_DEP_2) | instskip(NEXT) | instid1(VALU_DEP_1)
	v_dual_cndmask_b32 v146, v146, v148 :: v_dual_cndmask_b32 v147, v147, v149
	v_lshl_add_u32 v146, v146, 23, 0x37800000
	s_delay_alu instid0(VALU_DEP_2) | instskip(NEXT) | instid1(VALU_DEP_1)
	v_lshlrev_b32_e32 v147, 21, v147
	v_or3_b32 v146, v145, v146, v147
.LBB4_1553:                             ;   in Loop: Header=BB4_1455 Depth=3
	s_or_b32 exec_lo, exec_lo, s34
	s_delay_alu instid0(VALU_DEP_1) | instskip(NEXT) | instid1(VALU_DEP_1)
	v_mul_f32_e32 v146, v129, v146
	v_and_b32_e32 v145, 0x7f800000, v146
	s_delay_alu instid0(VALU_DEP_1)
	v_cmp_ne_u32_e32 vcc_lo, 0x7f800000, v145
	v_mov_b32_e32 v145, 0x80
	s_and_saveexec_b32 s34, vcc_lo
	s_cbranch_execz .LBB4_1561
; %bb.1554:                             ;   in Loop: Header=BB4_1455 Depth=3
	v_mov_b32_e32 v145, 0
	s_mov_b32 s35, exec_lo
	v_cmpx_ne_u32_e32 0, v146
	s_cbranch_execz .LBB4_1560
; %bb.1555:                             ;   in Loop: Header=BB4_1455 Depth=3
	v_bfe_u32 v145, v146, 23, 8
	s_delay_alu instid0(VALU_DEP_1) | instskip(SKIP_1) | instid1(VALU_DEP_2)
	v_sub_nc_u32_e32 v148, 0x70, v145
	v_cmp_gt_u32_e32 vcc_lo, 0x71, v145
	v_dual_cndmask_b32 v148, 0, v148 :: v_dual_and_b32 v147, 0x7fffff, v146
	s_delay_alu instid0(VALU_DEP_1) | instskip(SKIP_2) | instid1(VALU_DEP_4)
	v_or_b32_e32 v149, 0x800000, v147
	v_cmp_eq_u32_e32 vcc_lo, 0, v145
	v_add_nc_u32_e32 v145, 0xffffff91, v145
	v_cndmask_b32_e64 v148, v148, 0x6f, vcc_lo
	s_delay_alu instid0(VALU_DEP_2) | instskip(SKIP_1) | instid1(VALU_DEP_3)
	v_cndmask_b32_e64 v145, v145, 0xffffff92, vcc_lo
	v_cndmask_b32_e32 v147, v149, v147, vcc_lo
	v_lshl_add_u32 v149, 0x200000, v148, -1
	v_lshlrev_b32_e64 v160, v148, 0x100000
	s_delay_alu instid0(VALU_DEP_3) | instskip(SKIP_1) | instid1(VALU_DEP_4)
	v_lshrrev_b32_e32 v150, v148, v147
	v_add_nc_u32_e32 v148, v148, v145
	v_and_b32_e32 v147, v149, v147
	s_delay_alu instid0(VALU_DEP_3) | instskip(NEXT) | instid1(VALU_DEP_2)
	v_bfe_u32 v151, v150, 21, 1
	v_cmp_eq_u32_e64 s13, v147, v160
	s_delay_alu instid0(VALU_DEP_2) | instskip(NEXT) | instid1(VALU_DEP_1)
	v_add_nc_u32_e32 v149, -1, v151
	v_cndmask_b32_e64 v147, 0, v149, s13
	v_lshrrev_b32_e32 v149, 23, v150
	s_mov_b32 s13, exec_lo
	s_delay_alu instid0(VALU_DEP_2) | instskip(NEXT) | instid1(VALU_DEP_2)
	v_add_nc_u32_e32 v147, v147, v150
	v_xor_b32_e32 v149, 1, v149
	s_delay_alu instid0(VALU_DEP_2) | instskip(NEXT) | instid1(VALU_DEP_1)
	v_and_b32_e32 v145, 0x1fffff, v147
	v_add_nc_u32_e32 v147, v145, v150
                                        ; implicit-def: $vgpr145
	s_delay_alu instid0(VALU_DEP_3)
	v_cmpx_ne_u32_e64 v148, v149
	s_xor_b32 s13, exec_lo, s13
; %bb.1556:                             ;   in Loop: Header=BB4_1455 Depth=3
	s_delay_alu instid0(VALU_DEP_2) | instskip(SKIP_2) | instid1(VALU_DEP_2)
	v_cmp_lt_u32_e32 vcc_lo, 0xffffff, v147
	v_sub_nc_u32_e32 v145, v148, v149
	v_cndmask_b32_e64 v148, 0, 1, vcc_lo
	v_add_co_ci_u32_e32 v145, vcc_lo, 0, v145, vcc_lo
	s_delay_alu instid0(VALU_DEP_2)
	v_lshrrev_b32_e32 v147, v148, v147
; %bb.1557:                             ;   in Loop: Header=BB4_1455 Depth=3
	s_and_not1_saveexec_b32 s13, s13
; %bb.1558:                             ;   in Loop: Header=BB4_1455 Depth=3
	s_delay_alu instid0(VALU_DEP_1)
	v_bfe_u32 v145, v147, 23, 1
; %bb.1559:                             ;   in Loop: Header=BB4_1455 Depth=3
	s_or_b32 exec_lo, exec_lo, s13
	v_lshrrev_b32_e32 v147, 21, v147
	s_delay_alu instid0(VALU_DEP_2) | instskip(SKIP_2) | instid1(VALU_DEP_2)
	v_cmp_gt_i32_e32 vcc_lo, 32, v145
	v_lshrrev_b32_e32 v146, 24, v146
	v_min_i32_e32 v148, 31, v145
	v_dual_cndmask_b32 v147, 3, v147 :: v_dual_and_b32 v146, 0x80, v146
	s_delay_alu instid0(VALU_DEP_1) | instskip(SKIP_1) | instid1(VALU_DEP_2)
	v_or_b32_e32 v145, v145, v147
	v_and_b32_e32 v149, 3, v147
	v_cmp_ne_u32_e32 vcc_lo, 0, v145
	v_lshlrev_b32_e32 v148, 2, v148
	s_delay_alu instid0(VALU_DEP_1) | instskip(NEXT) | instid1(VALU_DEP_1)
	v_or3_b32 v146, v148, v146, v149
	v_cndmask_b32_e32 v145, 0, v146, vcc_lo
.LBB4_1560:                             ;   in Loop: Header=BB4_1455 Depth=3
	s_or_b32 exec_lo, exec_lo, s35
.LBB4_1561:                             ;   in Loop: Header=BB4_1455 Depth=3
	s_delay_alu instid0(SALU_CYCLE_1)
	s_or_b32 exec_lo, exec_lo, s34
	flat_load_u8 v146, v[52:53] offset:256 slc dlc
	s_mov_b32 s13, 0
	s_mov_b32 s35, exec_lo
                                        ; implicit-def: $sgpr34
	s_waitcnt vmcnt(0) lgkmcnt(0)
	v_cmpx_lt_i16_e64 0x7f, v146
	s_xor_b32 s35, exec_lo, s35
	s_cbranch_execnz .LBB4_1690
; %bb.1562:                             ;   in Loop: Header=BB4_1455 Depth=3
	s_or_saveexec_b32 s35, s35
	v_mov_b32_e32 v147, s34
	s_xor_b32 exec_lo, exec_lo, s35
	s_cbranch_execnz .LBB4_1693
.LBB4_1563:                             ;   in Loop: Header=BB4_1455 Depth=3
	s_or_b32 exec_lo, exec_lo, s35
	s_and_saveexec_b32 s34, s13
	s_cbranch_execz .LBB4_1565
.LBB4_1564:                             ;   in Loop: Header=BB4_1455 Depth=3
	v_and_b32_e32 v147, 0xffff, v146
	v_lshlrev_b32_e32 v146, 24, v146
	s_delay_alu instid0(VALU_DEP_2) | instskip(NEXT) | instid1(VALU_DEP_2)
	v_and_b32_e32 v148, 3, v147
	v_and_b32_e32 v146, 0x80000000, v146
	s_delay_alu instid0(VALU_DEP_2) | instskip(NEXT) | instid1(VALU_DEP_1)
	v_clz_i32_u32_e32 v149, v148
	v_min_u32_e32 v149, 32, v149
	s_delay_alu instid0(VALU_DEP_1) | instskip(SKIP_1) | instid1(VALU_DEP_2)
	v_subrev_nc_u32_e32 v150, 29, v149
	v_sub_nc_u32_e32 v149, 30, v149
	v_lshlrev_b32_e32 v150, v150, v147
	v_bfe_u32 v147, v147, 2, 5
	s_delay_alu instid0(VALU_DEP_2) | instskip(NEXT) | instid1(VALU_DEP_2)
	v_and_b32_e32 v150, 3, v150
	v_cmp_eq_u32_e32 vcc_lo, 0, v147
	s_delay_alu instid0(VALU_DEP_2) | instskip(NEXT) | instid1(VALU_DEP_1)
	v_dual_cndmask_b32 v147, v147, v149 :: v_dual_cndmask_b32 v148, v148, v150
	v_lshl_add_u32 v147, v147, 23, 0x37800000
	s_delay_alu instid0(VALU_DEP_2) | instskip(NEXT) | instid1(VALU_DEP_1)
	v_lshlrev_b32_e32 v148, 21, v148
	v_or3_b32 v147, v146, v147, v148
.LBB4_1565:                             ;   in Loop: Header=BB4_1455 Depth=3
	s_or_b32 exec_lo, exec_lo, s34
	s_delay_alu instid0(VALU_DEP_1) | instskip(NEXT) | instid1(VALU_DEP_1)
	v_mul_f32_e32 v147, v129, v147
	v_and_b32_e32 v146, 0x7f800000, v147
	s_delay_alu instid0(VALU_DEP_1)
	v_cmp_ne_u32_e32 vcc_lo, 0x7f800000, v146
	v_mov_b32_e32 v146, 0x80
	s_and_saveexec_b32 s34, vcc_lo
	s_cbranch_execz .LBB4_1573
; %bb.1566:                             ;   in Loop: Header=BB4_1455 Depth=3
	v_mov_b32_e32 v146, 0
	s_mov_b32 s35, exec_lo
	v_cmpx_ne_u32_e32 0, v147
	s_cbranch_execz .LBB4_1572
; %bb.1567:                             ;   in Loop: Header=BB4_1455 Depth=3
	v_bfe_u32 v146, v147, 23, 8
	s_delay_alu instid0(VALU_DEP_1) | instskip(SKIP_1) | instid1(VALU_DEP_2)
	v_sub_nc_u32_e32 v149, 0x70, v146
	v_cmp_gt_u32_e32 vcc_lo, 0x71, v146
	v_dual_cndmask_b32 v149, 0, v149 :: v_dual_and_b32 v148, 0x7fffff, v147
	s_delay_alu instid0(VALU_DEP_1) | instskip(SKIP_2) | instid1(VALU_DEP_4)
	v_or_b32_e32 v150, 0x800000, v148
	v_cmp_eq_u32_e32 vcc_lo, 0, v146
	v_add_nc_u32_e32 v146, 0xffffff91, v146
	v_cndmask_b32_e64 v149, v149, 0x6f, vcc_lo
	s_delay_alu instid0(VALU_DEP_2) | instskip(SKIP_1) | instid1(VALU_DEP_3)
	v_cndmask_b32_e64 v146, v146, 0xffffff92, vcc_lo
	v_cndmask_b32_e32 v148, v150, v148, vcc_lo
	v_lshl_add_u32 v150, 0x200000, v149, -1
	v_lshlrev_b32_e64 v161, v149, 0x100000
	s_delay_alu instid0(VALU_DEP_3) | instskip(SKIP_1) | instid1(VALU_DEP_4)
	v_lshrrev_b32_e32 v151, v149, v148
	v_add_nc_u32_e32 v149, v149, v146
	v_and_b32_e32 v148, v150, v148
	s_delay_alu instid0(VALU_DEP_3) | instskip(NEXT) | instid1(VALU_DEP_2)
	v_bfe_u32 v160, v151, 21, 1
	v_cmp_eq_u32_e64 s13, v148, v161
	s_delay_alu instid0(VALU_DEP_2) | instskip(NEXT) | instid1(VALU_DEP_1)
	v_add_nc_u32_e32 v150, -1, v160
	v_cndmask_b32_e64 v148, 0, v150, s13
	v_lshrrev_b32_e32 v150, 23, v151
	s_mov_b32 s13, exec_lo
	s_delay_alu instid0(VALU_DEP_2) | instskip(NEXT) | instid1(VALU_DEP_2)
	v_add_nc_u32_e32 v148, v148, v151
	v_xor_b32_e32 v150, 1, v150
	s_delay_alu instid0(VALU_DEP_2) | instskip(NEXT) | instid1(VALU_DEP_1)
	v_and_b32_e32 v146, 0x1fffff, v148
	v_add_nc_u32_e32 v148, v146, v151
                                        ; implicit-def: $vgpr146
	s_delay_alu instid0(VALU_DEP_3)
	v_cmpx_ne_u32_e64 v149, v150
	s_xor_b32 s13, exec_lo, s13
; %bb.1568:                             ;   in Loop: Header=BB4_1455 Depth=3
	s_delay_alu instid0(VALU_DEP_2) | instskip(SKIP_2) | instid1(VALU_DEP_2)
	v_cmp_lt_u32_e32 vcc_lo, 0xffffff, v148
	v_sub_nc_u32_e32 v146, v149, v150
	v_cndmask_b32_e64 v149, 0, 1, vcc_lo
	v_add_co_ci_u32_e32 v146, vcc_lo, 0, v146, vcc_lo
	s_delay_alu instid0(VALU_DEP_2)
	v_lshrrev_b32_e32 v148, v149, v148
; %bb.1569:                             ;   in Loop: Header=BB4_1455 Depth=3
	s_and_not1_saveexec_b32 s13, s13
; %bb.1570:                             ;   in Loop: Header=BB4_1455 Depth=3
	s_delay_alu instid0(VALU_DEP_1)
	v_bfe_u32 v146, v148, 23, 1
; %bb.1571:                             ;   in Loop: Header=BB4_1455 Depth=3
	s_or_b32 exec_lo, exec_lo, s13
	v_lshrrev_b32_e32 v148, 21, v148
	s_delay_alu instid0(VALU_DEP_2) | instskip(SKIP_2) | instid1(VALU_DEP_2)
	v_cmp_gt_i32_e32 vcc_lo, 32, v146
	v_lshrrev_b32_e32 v147, 24, v147
	v_min_i32_e32 v149, 31, v146
	v_dual_cndmask_b32 v148, 3, v148 :: v_dual_and_b32 v147, 0x80, v147
	s_delay_alu instid0(VALU_DEP_1) | instskip(SKIP_1) | instid1(VALU_DEP_2)
	v_or_b32_e32 v146, v146, v148
	v_and_b32_e32 v150, 3, v148
	v_cmp_ne_u32_e32 vcc_lo, 0, v146
	v_lshlrev_b32_e32 v149, 2, v149
	s_delay_alu instid0(VALU_DEP_1) | instskip(NEXT) | instid1(VALU_DEP_1)
	v_or3_b32 v147, v149, v147, v150
	v_cndmask_b32_e32 v146, 0, v147, vcc_lo
.LBB4_1572:                             ;   in Loop: Header=BB4_1455 Depth=3
	s_or_b32 exec_lo, exec_lo, s35
.LBB4_1573:                             ;   in Loop: Header=BB4_1455 Depth=3
	s_delay_alu instid0(SALU_CYCLE_1)
	s_or_b32 exec_lo, exec_lo, s34
	flat_load_u8 v147, v[52:53] offset:288 slc dlc
	s_mov_b32 s13, 0
	s_mov_b32 s35, exec_lo
                                        ; implicit-def: $sgpr34
	s_waitcnt vmcnt(0) lgkmcnt(0)
	v_cmpx_lt_i16_e64 0x7f, v147
	s_xor_b32 s35, exec_lo, s35
	s_cbranch_execnz .LBB4_1694
; %bb.1574:                             ;   in Loop: Header=BB4_1455 Depth=3
	s_or_saveexec_b32 s35, s35
	v_mov_b32_e32 v148, s34
	s_xor_b32 exec_lo, exec_lo, s35
	s_cbranch_execnz .LBB4_1697
.LBB4_1575:                             ;   in Loop: Header=BB4_1455 Depth=3
	s_or_b32 exec_lo, exec_lo, s35
	s_and_saveexec_b32 s34, s13
	s_cbranch_execz .LBB4_1577
.LBB4_1576:                             ;   in Loop: Header=BB4_1455 Depth=3
	v_and_b32_e32 v148, 0xffff, v147
	v_lshlrev_b32_e32 v147, 24, v147
	s_delay_alu instid0(VALU_DEP_2) | instskip(NEXT) | instid1(VALU_DEP_2)
	v_and_b32_e32 v149, 3, v148
	v_and_b32_e32 v147, 0x80000000, v147
	s_delay_alu instid0(VALU_DEP_2) | instskip(NEXT) | instid1(VALU_DEP_1)
	v_clz_i32_u32_e32 v150, v149
	v_min_u32_e32 v150, 32, v150
	s_delay_alu instid0(VALU_DEP_1) | instskip(SKIP_1) | instid1(VALU_DEP_2)
	v_subrev_nc_u32_e32 v151, 29, v150
	v_sub_nc_u32_e32 v150, 30, v150
	v_lshlrev_b32_e32 v151, v151, v148
	v_bfe_u32 v148, v148, 2, 5
	s_delay_alu instid0(VALU_DEP_2) | instskip(NEXT) | instid1(VALU_DEP_2)
	v_and_b32_e32 v151, 3, v151
	v_cmp_eq_u32_e32 vcc_lo, 0, v148
	s_delay_alu instid0(VALU_DEP_2) | instskip(NEXT) | instid1(VALU_DEP_1)
	v_dual_cndmask_b32 v148, v148, v150 :: v_dual_cndmask_b32 v149, v149, v151
	v_lshl_add_u32 v148, v148, 23, 0x37800000
	s_delay_alu instid0(VALU_DEP_2) | instskip(NEXT) | instid1(VALU_DEP_1)
	v_lshlrev_b32_e32 v149, 21, v149
	v_or3_b32 v148, v147, v148, v149
.LBB4_1577:                             ;   in Loop: Header=BB4_1455 Depth=3
	s_or_b32 exec_lo, exec_lo, s34
	s_delay_alu instid0(VALU_DEP_1) | instskip(NEXT) | instid1(VALU_DEP_1)
	v_mul_f32_e32 v148, v129, v148
	v_and_b32_e32 v147, 0x7f800000, v148
	s_delay_alu instid0(VALU_DEP_1)
	v_cmp_ne_u32_e32 vcc_lo, 0x7f800000, v147
	v_mov_b32_e32 v147, 0x80
	s_and_saveexec_b32 s34, vcc_lo
	s_cbranch_execz .LBB4_1585
; %bb.1578:                             ;   in Loop: Header=BB4_1455 Depth=3
	v_mov_b32_e32 v147, 0
	s_mov_b32 s35, exec_lo
	v_cmpx_ne_u32_e32 0, v148
	s_cbranch_execz .LBB4_1584
; %bb.1579:                             ;   in Loop: Header=BB4_1455 Depth=3
	v_bfe_u32 v147, v148, 23, 8
	s_delay_alu instid0(VALU_DEP_1) | instskip(SKIP_1) | instid1(VALU_DEP_2)
	v_sub_nc_u32_e32 v150, 0x70, v147
	v_cmp_gt_u32_e32 vcc_lo, 0x71, v147
	v_dual_cndmask_b32 v150, 0, v150 :: v_dual_and_b32 v149, 0x7fffff, v148
	s_delay_alu instid0(VALU_DEP_1) | instskip(SKIP_2) | instid1(VALU_DEP_4)
	v_or_b32_e32 v151, 0x800000, v149
	v_cmp_eq_u32_e32 vcc_lo, 0, v147
	v_add_nc_u32_e32 v147, 0xffffff91, v147
	v_cndmask_b32_e64 v150, v150, 0x6f, vcc_lo
	s_delay_alu instid0(VALU_DEP_2) | instskip(SKIP_1) | instid1(VALU_DEP_3)
	v_cndmask_b32_e64 v147, v147, 0xffffff92, vcc_lo
	v_cndmask_b32_e32 v149, v151, v149, vcc_lo
	v_lshl_add_u32 v151, 0x200000, v150, -1
	v_lshlrev_b32_e64 v162, v150, 0x100000
	s_delay_alu instid0(VALU_DEP_3) | instskip(SKIP_1) | instid1(VALU_DEP_4)
	v_lshrrev_b32_e32 v160, v150, v149
	v_add_nc_u32_e32 v150, v150, v147
	v_and_b32_e32 v149, v151, v149
	s_delay_alu instid0(VALU_DEP_3) | instskip(NEXT) | instid1(VALU_DEP_2)
	v_bfe_u32 v161, v160, 21, 1
	v_cmp_eq_u32_e64 s13, v149, v162
	s_delay_alu instid0(VALU_DEP_2) | instskip(NEXT) | instid1(VALU_DEP_1)
	v_add_nc_u32_e32 v151, -1, v161
	v_cndmask_b32_e64 v149, 0, v151, s13
	v_lshrrev_b32_e32 v151, 23, v160
	s_mov_b32 s13, exec_lo
	s_delay_alu instid0(VALU_DEP_2) | instskip(NEXT) | instid1(VALU_DEP_2)
	v_add_nc_u32_e32 v149, v149, v160
	v_xor_b32_e32 v151, 1, v151
	s_delay_alu instid0(VALU_DEP_2) | instskip(NEXT) | instid1(VALU_DEP_1)
	v_and_b32_e32 v147, 0x1fffff, v149
	v_add_nc_u32_e32 v149, v147, v160
                                        ; implicit-def: $vgpr147
	s_delay_alu instid0(VALU_DEP_3)
	v_cmpx_ne_u32_e64 v150, v151
	s_xor_b32 s13, exec_lo, s13
; %bb.1580:                             ;   in Loop: Header=BB4_1455 Depth=3
	s_delay_alu instid0(VALU_DEP_2) | instskip(SKIP_2) | instid1(VALU_DEP_2)
	v_cmp_lt_u32_e32 vcc_lo, 0xffffff, v149
	v_sub_nc_u32_e32 v147, v150, v151
	v_cndmask_b32_e64 v150, 0, 1, vcc_lo
	v_add_co_ci_u32_e32 v147, vcc_lo, 0, v147, vcc_lo
	s_delay_alu instid0(VALU_DEP_2)
	v_lshrrev_b32_e32 v149, v150, v149
; %bb.1581:                             ;   in Loop: Header=BB4_1455 Depth=3
	s_and_not1_saveexec_b32 s13, s13
; %bb.1582:                             ;   in Loop: Header=BB4_1455 Depth=3
	s_delay_alu instid0(VALU_DEP_1)
	v_bfe_u32 v147, v149, 23, 1
; %bb.1583:                             ;   in Loop: Header=BB4_1455 Depth=3
	s_or_b32 exec_lo, exec_lo, s13
	v_lshrrev_b32_e32 v149, 21, v149
	s_delay_alu instid0(VALU_DEP_2) | instskip(SKIP_2) | instid1(VALU_DEP_2)
	v_cmp_gt_i32_e32 vcc_lo, 32, v147
	v_lshrrev_b32_e32 v148, 24, v148
	v_min_i32_e32 v150, 31, v147
	v_dual_cndmask_b32 v149, 3, v149 :: v_dual_and_b32 v148, 0x80, v148
	s_delay_alu instid0(VALU_DEP_1) | instskip(SKIP_1) | instid1(VALU_DEP_2)
	v_or_b32_e32 v147, v147, v149
	v_and_b32_e32 v151, 3, v149
	v_cmp_ne_u32_e32 vcc_lo, 0, v147
	v_lshlrev_b32_e32 v150, 2, v150
	s_delay_alu instid0(VALU_DEP_1) | instskip(NEXT) | instid1(VALU_DEP_1)
	v_or3_b32 v148, v150, v148, v151
	v_cndmask_b32_e32 v147, 0, v148, vcc_lo
.LBB4_1584:                             ;   in Loop: Header=BB4_1455 Depth=3
	s_or_b32 exec_lo, exec_lo, s35
.LBB4_1585:                             ;   in Loop: Header=BB4_1455 Depth=3
	s_delay_alu instid0(SALU_CYCLE_1)
	s_or_b32 exec_lo, exec_lo, s34
	flat_load_u8 v148, v[52:53] offset:320 slc dlc
	s_mov_b32 s13, 0
	s_mov_b32 s35, exec_lo
                                        ; implicit-def: $sgpr34
	s_waitcnt vmcnt(0) lgkmcnt(0)
	v_cmpx_lt_i16_e64 0x7f, v148
	s_xor_b32 s35, exec_lo, s35
	s_cbranch_execnz .LBB4_1698
; %bb.1586:                             ;   in Loop: Header=BB4_1455 Depth=3
	s_or_saveexec_b32 s35, s35
	v_mov_b32_e32 v149, s34
	s_xor_b32 exec_lo, exec_lo, s35
	s_cbranch_execnz .LBB4_1701
.LBB4_1587:                             ;   in Loop: Header=BB4_1455 Depth=3
	s_or_b32 exec_lo, exec_lo, s35
	s_and_saveexec_b32 s34, s13
	s_cbranch_execz .LBB4_1589
.LBB4_1588:                             ;   in Loop: Header=BB4_1455 Depth=3
	v_and_b32_e32 v149, 0xffff, v148
	v_lshlrev_b32_e32 v148, 24, v148
	s_delay_alu instid0(VALU_DEP_2) | instskip(NEXT) | instid1(VALU_DEP_2)
	v_and_b32_e32 v150, 3, v149
	v_and_b32_e32 v148, 0x80000000, v148
	s_delay_alu instid0(VALU_DEP_2) | instskip(NEXT) | instid1(VALU_DEP_1)
	v_clz_i32_u32_e32 v151, v150
	v_min_u32_e32 v151, 32, v151
	s_delay_alu instid0(VALU_DEP_1) | instskip(SKIP_1) | instid1(VALU_DEP_2)
	v_subrev_nc_u32_e32 v160, 29, v151
	v_sub_nc_u32_e32 v151, 30, v151
	v_lshlrev_b32_e32 v160, v160, v149
	v_bfe_u32 v149, v149, 2, 5
	s_delay_alu instid0(VALU_DEP_2) | instskip(NEXT) | instid1(VALU_DEP_2)
	v_and_b32_e32 v160, 3, v160
	v_cmp_eq_u32_e32 vcc_lo, 0, v149
	s_delay_alu instid0(VALU_DEP_2) | instskip(NEXT) | instid1(VALU_DEP_1)
	v_dual_cndmask_b32 v149, v149, v151 :: v_dual_cndmask_b32 v150, v150, v160
	v_lshl_add_u32 v149, v149, 23, 0x37800000
	s_delay_alu instid0(VALU_DEP_2) | instskip(NEXT) | instid1(VALU_DEP_1)
	v_lshlrev_b32_e32 v150, 21, v150
	v_or3_b32 v149, v148, v149, v150
.LBB4_1589:                             ;   in Loop: Header=BB4_1455 Depth=3
	s_or_b32 exec_lo, exec_lo, s34
	s_delay_alu instid0(VALU_DEP_1) | instskip(NEXT) | instid1(VALU_DEP_1)
	v_mul_f32_e32 v149, v129, v149
	v_and_b32_e32 v148, 0x7f800000, v149
	s_delay_alu instid0(VALU_DEP_1)
	v_cmp_ne_u32_e32 vcc_lo, 0x7f800000, v148
	v_mov_b32_e32 v148, 0x80
	s_and_saveexec_b32 s34, vcc_lo
	s_cbranch_execz .LBB4_1597
; %bb.1590:                             ;   in Loop: Header=BB4_1455 Depth=3
	v_mov_b32_e32 v148, 0
	s_mov_b32 s35, exec_lo
	v_cmpx_ne_u32_e32 0, v149
	s_cbranch_execz .LBB4_1596
; %bb.1591:                             ;   in Loop: Header=BB4_1455 Depth=3
	v_bfe_u32 v148, v149, 23, 8
	s_delay_alu instid0(VALU_DEP_1) | instskip(SKIP_1) | instid1(VALU_DEP_2)
	v_sub_nc_u32_e32 v151, 0x70, v148
	v_cmp_gt_u32_e32 vcc_lo, 0x71, v148
	v_dual_cndmask_b32 v151, 0, v151 :: v_dual_and_b32 v150, 0x7fffff, v149
	s_delay_alu instid0(VALU_DEP_1) | instskip(SKIP_2) | instid1(VALU_DEP_4)
	v_or_b32_e32 v160, 0x800000, v150
	v_cmp_eq_u32_e32 vcc_lo, 0, v148
	v_add_nc_u32_e32 v148, 0xffffff91, v148
	v_cndmask_b32_e64 v151, v151, 0x6f, vcc_lo
	s_delay_alu instid0(VALU_DEP_2) | instskip(SKIP_1) | instid1(VALU_DEP_3)
	v_cndmask_b32_e64 v148, v148, 0xffffff92, vcc_lo
	v_cndmask_b32_e32 v150, v160, v150, vcc_lo
	v_lshl_add_u32 v160, 0x200000, v151, -1
	v_lshlrev_b32_e64 v163, v151, 0x100000
	s_delay_alu instid0(VALU_DEP_3) | instskip(SKIP_1) | instid1(VALU_DEP_4)
	v_lshrrev_b32_e32 v161, v151, v150
	v_add_nc_u32_e32 v151, v151, v148
	v_and_b32_e32 v150, v160, v150
	s_delay_alu instid0(VALU_DEP_3) | instskip(NEXT) | instid1(VALU_DEP_2)
	v_bfe_u32 v162, v161, 21, 1
	v_cmp_eq_u32_e64 s13, v150, v163
	s_delay_alu instid0(VALU_DEP_2) | instskip(NEXT) | instid1(VALU_DEP_1)
	v_add_nc_u32_e32 v160, -1, v162
	v_cndmask_b32_e64 v150, 0, v160, s13
	v_lshrrev_b32_e32 v160, 23, v161
	s_mov_b32 s13, exec_lo
	s_delay_alu instid0(VALU_DEP_2) | instskip(NEXT) | instid1(VALU_DEP_2)
	v_add_nc_u32_e32 v150, v150, v161
	v_xor_b32_e32 v160, 1, v160
	s_delay_alu instid0(VALU_DEP_2) | instskip(NEXT) | instid1(VALU_DEP_1)
	v_and_b32_e32 v148, 0x1fffff, v150
	v_add_nc_u32_e32 v150, v148, v161
                                        ; implicit-def: $vgpr148
	s_delay_alu instid0(VALU_DEP_3)
	v_cmpx_ne_u32_e64 v151, v160
	s_xor_b32 s13, exec_lo, s13
; %bb.1592:                             ;   in Loop: Header=BB4_1455 Depth=3
	s_delay_alu instid0(VALU_DEP_2) | instskip(SKIP_2) | instid1(VALU_DEP_2)
	v_cmp_lt_u32_e32 vcc_lo, 0xffffff, v150
	v_sub_nc_u32_e32 v148, v151, v160
	v_cndmask_b32_e64 v151, 0, 1, vcc_lo
	v_add_co_ci_u32_e32 v148, vcc_lo, 0, v148, vcc_lo
	s_delay_alu instid0(VALU_DEP_2)
	v_lshrrev_b32_e32 v150, v151, v150
; %bb.1593:                             ;   in Loop: Header=BB4_1455 Depth=3
	s_and_not1_saveexec_b32 s13, s13
; %bb.1594:                             ;   in Loop: Header=BB4_1455 Depth=3
	s_delay_alu instid0(VALU_DEP_1)
	v_bfe_u32 v148, v150, 23, 1
; %bb.1595:                             ;   in Loop: Header=BB4_1455 Depth=3
	s_or_b32 exec_lo, exec_lo, s13
	v_lshrrev_b32_e32 v150, 21, v150
	s_delay_alu instid0(VALU_DEP_2) | instskip(SKIP_2) | instid1(VALU_DEP_2)
	v_cmp_gt_i32_e32 vcc_lo, 32, v148
	v_lshrrev_b32_e32 v149, 24, v149
	v_min_i32_e32 v151, 31, v148
	v_dual_cndmask_b32 v150, 3, v150 :: v_dual_and_b32 v149, 0x80, v149
	s_delay_alu instid0(VALU_DEP_1) | instskip(SKIP_1) | instid1(VALU_DEP_2)
	v_or_b32_e32 v148, v148, v150
	v_and_b32_e32 v160, 3, v150
	v_cmp_ne_u32_e32 vcc_lo, 0, v148
	v_lshlrev_b32_e32 v151, 2, v151
	s_delay_alu instid0(VALU_DEP_1) | instskip(NEXT) | instid1(VALU_DEP_1)
	v_or3_b32 v149, v151, v149, v160
	v_cndmask_b32_e32 v148, 0, v149, vcc_lo
.LBB4_1596:                             ;   in Loop: Header=BB4_1455 Depth=3
	s_or_b32 exec_lo, exec_lo, s35
.LBB4_1597:                             ;   in Loop: Header=BB4_1455 Depth=3
	s_delay_alu instid0(SALU_CYCLE_1)
	s_or_b32 exec_lo, exec_lo, s34
	flat_load_u8 v149, v[52:53] offset:352 slc dlc
	s_mov_b32 s13, 0
	s_mov_b32 s35, exec_lo
                                        ; implicit-def: $sgpr34
	s_waitcnt vmcnt(0) lgkmcnt(0)
	v_cmpx_lt_i16_e64 0x7f, v149
	s_xor_b32 s35, exec_lo, s35
	s_cbranch_execnz .LBB4_1702
; %bb.1598:                             ;   in Loop: Header=BB4_1455 Depth=3
	s_or_saveexec_b32 s35, s35
	v_mov_b32_e32 v150, s34
	s_xor_b32 exec_lo, exec_lo, s35
	s_cbranch_execnz .LBB4_1705
.LBB4_1599:                             ;   in Loop: Header=BB4_1455 Depth=3
	s_or_b32 exec_lo, exec_lo, s35
	s_and_saveexec_b32 s34, s13
	s_cbranch_execz .LBB4_1601
.LBB4_1600:                             ;   in Loop: Header=BB4_1455 Depth=3
	v_and_b32_e32 v150, 0xffff, v149
	v_lshlrev_b32_e32 v149, 24, v149
	s_delay_alu instid0(VALU_DEP_2) | instskip(NEXT) | instid1(VALU_DEP_2)
	v_and_b32_e32 v151, 3, v150
	v_and_b32_e32 v149, 0x80000000, v149
	s_delay_alu instid0(VALU_DEP_2) | instskip(NEXT) | instid1(VALU_DEP_1)
	v_clz_i32_u32_e32 v160, v151
	v_min_u32_e32 v160, 32, v160
	s_delay_alu instid0(VALU_DEP_1) | instskip(SKIP_1) | instid1(VALU_DEP_2)
	v_subrev_nc_u32_e32 v161, 29, v160
	v_sub_nc_u32_e32 v160, 30, v160
	v_lshlrev_b32_e32 v161, v161, v150
	v_bfe_u32 v150, v150, 2, 5
	s_delay_alu instid0(VALU_DEP_2) | instskip(NEXT) | instid1(VALU_DEP_2)
	v_and_b32_e32 v161, 3, v161
	v_cmp_eq_u32_e32 vcc_lo, 0, v150
	s_delay_alu instid0(VALU_DEP_2) | instskip(NEXT) | instid1(VALU_DEP_1)
	v_dual_cndmask_b32 v150, v150, v160 :: v_dual_cndmask_b32 v151, v151, v161
	v_lshl_add_u32 v150, v150, 23, 0x37800000
	s_delay_alu instid0(VALU_DEP_2) | instskip(NEXT) | instid1(VALU_DEP_1)
	v_lshlrev_b32_e32 v151, 21, v151
	v_or3_b32 v150, v149, v150, v151
.LBB4_1601:                             ;   in Loop: Header=BB4_1455 Depth=3
	s_or_b32 exec_lo, exec_lo, s34
	s_delay_alu instid0(VALU_DEP_1) | instskip(NEXT) | instid1(VALU_DEP_1)
	v_mul_f32_e32 v150, v129, v150
	v_and_b32_e32 v149, 0x7f800000, v150
	s_delay_alu instid0(VALU_DEP_1)
	v_cmp_ne_u32_e32 vcc_lo, 0x7f800000, v149
	v_mov_b32_e32 v149, 0x80
	s_and_saveexec_b32 s34, vcc_lo
	s_cbranch_execz .LBB4_1609
; %bb.1602:                             ;   in Loop: Header=BB4_1455 Depth=3
	v_mov_b32_e32 v149, 0
	s_mov_b32 s35, exec_lo
	v_cmpx_ne_u32_e32 0, v150
	s_cbranch_execz .LBB4_1608
; %bb.1603:                             ;   in Loop: Header=BB4_1455 Depth=3
	v_bfe_u32 v149, v150, 23, 8
	s_delay_alu instid0(VALU_DEP_1) | instskip(SKIP_1) | instid1(VALU_DEP_2)
	v_sub_nc_u32_e32 v160, 0x70, v149
	v_cmp_gt_u32_e32 vcc_lo, 0x71, v149
	v_dual_cndmask_b32 v160, 0, v160 :: v_dual_and_b32 v151, 0x7fffff, v150
	s_delay_alu instid0(VALU_DEP_1) | instskip(SKIP_2) | instid1(VALU_DEP_4)
	v_or_b32_e32 v161, 0x800000, v151
	v_cmp_eq_u32_e32 vcc_lo, 0, v149
	v_add_nc_u32_e32 v149, 0xffffff91, v149
	v_cndmask_b32_e64 v160, v160, 0x6f, vcc_lo
	s_delay_alu instid0(VALU_DEP_2) | instskip(SKIP_1) | instid1(VALU_DEP_3)
	v_cndmask_b32_e64 v149, v149, 0xffffff92, vcc_lo
	v_cndmask_b32_e32 v151, v161, v151, vcc_lo
	v_lshl_add_u32 v161, 0x200000, v160, -1
	v_lshlrev_b32_e64 v164, v160, 0x100000
	s_delay_alu instid0(VALU_DEP_3) | instskip(SKIP_1) | instid1(VALU_DEP_4)
	v_lshrrev_b32_e32 v162, v160, v151
	v_add_nc_u32_e32 v160, v160, v149
	v_and_b32_e32 v151, v161, v151
	s_delay_alu instid0(VALU_DEP_3) | instskip(NEXT) | instid1(VALU_DEP_2)
	v_bfe_u32 v163, v162, 21, 1
	v_cmp_eq_u32_e64 s13, v151, v164
	s_delay_alu instid0(VALU_DEP_2) | instskip(NEXT) | instid1(VALU_DEP_1)
	v_add_nc_u32_e32 v161, -1, v163
	v_cndmask_b32_e64 v151, 0, v161, s13
	v_lshrrev_b32_e32 v161, 23, v162
	s_mov_b32 s13, exec_lo
	s_delay_alu instid0(VALU_DEP_2) | instskip(NEXT) | instid1(VALU_DEP_2)
	v_add_nc_u32_e32 v151, v151, v162
	v_xor_b32_e32 v161, 1, v161
	s_delay_alu instid0(VALU_DEP_2) | instskip(NEXT) | instid1(VALU_DEP_1)
	v_and_b32_e32 v149, 0x1fffff, v151
	v_add_nc_u32_e32 v151, v149, v162
                                        ; implicit-def: $vgpr149
	s_delay_alu instid0(VALU_DEP_3)
	v_cmpx_ne_u32_e64 v160, v161
	s_xor_b32 s13, exec_lo, s13
; %bb.1604:                             ;   in Loop: Header=BB4_1455 Depth=3
	s_delay_alu instid0(VALU_DEP_2) | instskip(SKIP_2) | instid1(VALU_DEP_2)
	v_cmp_lt_u32_e32 vcc_lo, 0xffffff, v151
	v_sub_nc_u32_e32 v149, v160, v161
	v_cndmask_b32_e64 v160, 0, 1, vcc_lo
	v_add_co_ci_u32_e32 v149, vcc_lo, 0, v149, vcc_lo
	s_delay_alu instid0(VALU_DEP_2)
	v_lshrrev_b32_e32 v151, v160, v151
; %bb.1605:                             ;   in Loop: Header=BB4_1455 Depth=3
	s_and_not1_saveexec_b32 s13, s13
; %bb.1606:                             ;   in Loop: Header=BB4_1455 Depth=3
	s_delay_alu instid0(VALU_DEP_1)
	v_bfe_u32 v149, v151, 23, 1
; %bb.1607:                             ;   in Loop: Header=BB4_1455 Depth=3
	s_or_b32 exec_lo, exec_lo, s13
	v_lshrrev_b32_e32 v151, 21, v151
	s_delay_alu instid0(VALU_DEP_2) | instskip(SKIP_2) | instid1(VALU_DEP_2)
	v_cmp_gt_i32_e32 vcc_lo, 32, v149
	v_lshrrev_b32_e32 v150, 24, v150
	v_min_i32_e32 v160, 31, v149
	v_dual_cndmask_b32 v151, 3, v151 :: v_dual_and_b32 v150, 0x80, v150
	s_delay_alu instid0(VALU_DEP_1) | instskip(SKIP_1) | instid1(VALU_DEP_2)
	v_or_b32_e32 v149, v149, v151
	v_and_b32_e32 v161, 3, v151
	v_cmp_ne_u32_e32 vcc_lo, 0, v149
	v_lshlrev_b32_e32 v160, 2, v160
	s_delay_alu instid0(VALU_DEP_1) | instskip(NEXT) | instid1(VALU_DEP_1)
	v_or3_b32 v150, v160, v150, v161
	v_cndmask_b32_e32 v149, 0, v150, vcc_lo
.LBB4_1608:                             ;   in Loop: Header=BB4_1455 Depth=3
	s_or_b32 exec_lo, exec_lo, s35
.LBB4_1609:                             ;   in Loop: Header=BB4_1455 Depth=3
	s_delay_alu instid0(SALU_CYCLE_1)
	s_or_b32 exec_lo, exec_lo, s34
	flat_load_u8 v150, v[52:53] offset:384 slc dlc
	s_mov_b32 s13, 0
	s_mov_b32 s35, exec_lo
                                        ; implicit-def: $sgpr34
	s_waitcnt vmcnt(0) lgkmcnt(0)
	v_cmpx_lt_i16_e64 0x7f, v150
	s_xor_b32 s35, exec_lo, s35
	s_cbranch_execnz .LBB4_1706
; %bb.1610:                             ;   in Loop: Header=BB4_1455 Depth=3
	s_or_saveexec_b32 s35, s35
	v_mov_b32_e32 v151, s34
	s_xor_b32 exec_lo, exec_lo, s35
	s_cbranch_execnz .LBB4_1709
.LBB4_1611:                             ;   in Loop: Header=BB4_1455 Depth=3
	s_or_b32 exec_lo, exec_lo, s35
	s_and_saveexec_b32 s34, s13
	s_cbranch_execz .LBB4_1613
.LBB4_1612:                             ;   in Loop: Header=BB4_1455 Depth=3
	v_and_b32_e32 v151, 0xffff, v150
	v_lshlrev_b32_e32 v150, 24, v150
	s_delay_alu instid0(VALU_DEP_2) | instskip(NEXT) | instid1(VALU_DEP_2)
	v_and_b32_e32 v160, 3, v151
	v_and_b32_e32 v150, 0x80000000, v150
	s_delay_alu instid0(VALU_DEP_2) | instskip(NEXT) | instid1(VALU_DEP_1)
	v_clz_i32_u32_e32 v161, v160
	v_min_u32_e32 v161, 32, v161
	s_delay_alu instid0(VALU_DEP_1) | instskip(SKIP_1) | instid1(VALU_DEP_2)
	v_subrev_nc_u32_e32 v162, 29, v161
	v_sub_nc_u32_e32 v161, 30, v161
	v_lshlrev_b32_e32 v162, v162, v151
	v_bfe_u32 v151, v151, 2, 5
	s_delay_alu instid0(VALU_DEP_2) | instskip(NEXT) | instid1(VALU_DEP_2)
	v_and_b32_e32 v162, 3, v162
	v_cmp_eq_u32_e32 vcc_lo, 0, v151
	s_delay_alu instid0(VALU_DEP_2) | instskip(NEXT) | instid1(VALU_DEP_1)
	v_dual_cndmask_b32 v151, v151, v161 :: v_dual_cndmask_b32 v160, v160, v162
	v_lshl_add_u32 v151, v151, 23, 0x37800000
	s_delay_alu instid0(VALU_DEP_2) | instskip(NEXT) | instid1(VALU_DEP_1)
	v_lshlrev_b32_e32 v160, 21, v160
	v_or3_b32 v151, v150, v151, v160
.LBB4_1613:                             ;   in Loop: Header=BB4_1455 Depth=3
	s_or_b32 exec_lo, exec_lo, s34
	s_delay_alu instid0(VALU_DEP_1) | instskip(NEXT) | instid1(VALU_DEP_1)
	v_mul_f32_e32 v151, v129, v151
	v_and_b32_e32 v150, 0x7f800000, v151
	s_delay_alu instid0(VALU_DEP_1)
	v_cmp_ne_u32_e32 vcc_lo, 0x7f800000, v150
	v_mov_b32_e32 v150, 0x80
	s_and_saveexec_b32 s34, vcc_lo
	s_cbranch_execz .LBB4_1621
; %bb.1614:                             ;   in Loop: Header=BB4_1455 Depth=3
	v_mov_b32_e32 v150, 0
	s_mov_b32 s35, exec_lo
	v_cmpx_ne_u32_e32 0, v151
	s_cbranch_execz .LBB4_1620
; %bb.1615:                             ;   in Loop: Header=BB4_1455 Depth=3
	v_bfe_u32 v150, v151, 23, 8
	s_delay_alu instid0(VALU_DEP_1) | instskip(SKIP_1) | instid1(VALU_DEP_2)
	v_sub_nc_u32_e32 v161, 0x70, v150
	v_cmp_gt_u32_e32 vcc_lo, 0x71, v150
	v_dual_cndmask_b32 v161, 0, v161 :: v_dual_and_b32 v160, 0x7fffff, v151
	s_delay_alu instid0(VALU_DEP_1) | instskip(SKIP_2) | instid1(VALU_DEP_4)
	v_or_b32_e32 v162, 0x800000, v160
	v_cmp_eq_u32_e32 vcc_lo, 0, v150
	v_add_nc_u32_e32 v150, 0xffffff91, v150
	v_cndmask_b32_e64 v161, v161, 0x6f, vcc_lo
	s_delay_alu instid0(VALU_DEP_2) | instskip(SKIP_1) | instid1(VALU_DEP_3)
	v_cndmask_b32_e64 v150, v150, 0xffffff92, vcc_lo
	v_cndmask_b32_e32 v160, v162, v160, vcc_lo
	v_lshl_add_u32 v162, 0x200000, v161, -1
	v_lshlrev_b32_e64 v165, v161, 0x100000
	s_delay_alu instid0(VALU_DEP_3) | instskip(SKIP_1) | instid1(VALU_DEP_4)
	v_lshrrev_b32_e32 v163, v161, v160
	v_add_nc_u32_e32 v161, v161, v150
	v_and_b32_e32 v160, v162, v160
	s_delay_alu instid0(VALU_DEP_3) | instskip(NEXT) | instid1(VALU_DEP_2)
	v_bfe_u32 v164, v163, 21, 1
	v_cmp_eq_u32_e64 s13, v160, v165
	s_delay_alu instid0(VALU_DEP_2) | instskip(NEXT) | instid1(VALU_DEP_1)
	v_add_nc_u32_e32 v162, -1, v164
	v_cndmask_b32_e64 v160, 0, v162, s13
	v_lshrrev_b32_e32 v162, 23, v163
	s_mov_b32 s13, exec_lo
	s_delay_alu instid0(VALU_DEP_2) | instskip(NEXT) | instid1(VALU_DEP_2)
	v_add_nc_u32_e32 v160, v160, v163
	v_xor_b32_e32 v162, 1, v162
	s_delay_alu instid0(VALU_DEP_2) | instskip(NEXT) | instid1(VALU_DEP_1)
	v_and_b32_e32 v150, 0x1fffff, v160
	v_add_nc_u32_e32 v160, v150, v163
                                        ; implicit-def: $vgpr150
	s_delay_alu instid0(VALU_DEP_3)
	v_cmpx_ne_u32_e64 v161, v162
	s_xor_b32 s13, exec_lo, s13
; %bb.1616:                             ;   in Loop: Header=BB4_1455 Depth=3
	s_delay_alu instid0(VALU_DEP_2) | instskip(SKIP_2) | instid1(VALU_DEP_2)
	v_cmp_lt_u32_e32 vcc_lo, 0xffffff, v160
	v_sub_nc_u32_e32 v150, v161, v162
	v_cndmask_b32_e64 v161, 0, 1, vcc_lo
	v_add_co_ci_u32_e32 v150, vcc_lo, 0, v150, vcc_lo
	s_delay_alu instid0(VALU_DEP_2)
	v_lshrrev_b32_e32 v160, v161, v160
; %bb.1617:                             ;   in Loop: Header=BB4_1455 Depth=3
	s_and_not1_saveexec_b32 s13, s13
; %bb.1618:                             ;   in Loop: Header=BB4_1455 Depth=3
	s_delay_alu instid0(VALU_DEP_1)
	v_bfe_u32 v150, v160, 23, 1
; %bb.1619:                             ;   in Loop: Header=BB4_1455 Depth=3
	s_or_b32 exec_lo, exec_lo, s13
	v_lshrrev_b32_e32 v160, 21, v160
	s_delay_alu instid0(VALU_DEP_2) | instskip(SKIP_2) | instid1(VALU_DEP_2)
	v_cmp_gt_i32_e32 vcc_lo, 32, v150
	v_lshrrev_b32_e32 v151, 24, v151
	v_min_i32_e32 v161, 31, v150
	v_dual_cndmask_b32 v160, 3, v160 :: v_dual_and_b32 v151, 0x80, v151
	s_delay_alu instid0(VALU_DEP_1) | instskip(SKIP_1) | instid1(VALU_DEP_2)
	v_or_b32_e32 v150, v150, v160
	v_and_b32_e32 v162, 3, v160
	v_cmp_ne_u32_e32 vcc_lo, 0, v150
	v_lshlrev_b32_e32 v161, 2, v161
	s_delay_alu instid0(VALU_DEP_1) | instskip(NEXT) | instid1(VALU_DEP_1)
	v_or3_b32 v151, v161, v151, v162
	v_cndmask_b32_e32 v150, 0, v151, vcc_lo
.LBB4_1620:                             ;   in Loop: Header=BB4_1455 Depth=3
	s_or_b32 exec_lo, exec_lo, s35
.LBB4_1621:                             ;   in Loop: Header=BB4_1455 Depth=3
	s_delay_alu instid0(SALU_CYCLE_1)
	s_or_b32 exec_lo, exec_lo, s34
	flat_load_u8 v151, v[52:53] offset:416 slc dlc
	s_mov_b32 s13, 0
	s_mov_b32 s35, exec_lo
                                        ; implicit-def: $sgpr34
	s_waitcnt vmcnt(0) lgkmcnt(0)
	v_cmpx_lt_i16_e64 0x7f, v151
	s_xor_b32 s35, exec_lo, s35
	s_cbranch_execnz .LBB4_1710
; %bb.1622:                             ;   in Loop: Header=BB4_1455 Depth=3
	s_or_saveexec_b32 s35, s35
	v_mov_b32_e32 v160, s34
	s_xor_b32 exec_lo, exec_lo, s35
	s_cbranch_execnz .LBB4_1713
.LBB4_1623:                             ;   in Loop: Header=BB4_1455 Depth=3
	s_or_b32 exec_lo, exec_lo, s35
	s_and_saveexec_b32 s34, s13
	s_cbranch_execz .LBB4_1625
.LBB4_1624:                             ;   in Loop: Header=BB4_1455 Depth=3
	v_and_b32_e32 v160, 0xffff, v151
	v_lshlrev_b32_e32 v151, 24, v151
	s_delay_alu instid0(VALU_DEP_2) | instskip(NEXT) | instid1(VALU_DEP_2)
	v_and_b32_e32 v161, 3, v160
	v_and_b32_e32 v151, 0x80000000, v151
	s_delay_alu instid0(VALU_DEP_2) | instskip(NEXT) | instid1(VALU_DEP_1)
	v_clz_i32_u32_e32 v162, v161
	v_min_u32_e32 v162, 32, v162
	s_delay_alu instid0(VALU_DEP_1) | instskip(SKIP_1) | instid1(VALU_DEP_2)
	v_subrev_nc_u32_e32 v163, 29, v162
	v_sub_nc_u32_e32 v162, 30, v162
	v_lshlrev_b32_e32 v163, v163, v160
	v_bfe_u32 v160, v160, 2, 5
	s_delay_alu instid0(VALU_DEP_2) | instskip(NEXT) | instid1(VALU_DEP_2)
	v_and_b32_e32 v163, 3, v163
	v_cmp_eq_u32_e32 vcc_lo, 0, v160
	s_delay_alu instid0(VALU_DEP_2) | instskip(NEXT) | instid1(VALU_DEP_1)
	v_dual_cndmask_b32 v160, v160, v162 :: v_dual_cndmask_b32 v161, v161, v163
	v_lshl_add_u32 v160, v160, 23, 0x37800000
	s_delay_alu instid0(VALU_DEP_2) | instskip(NEXT) | instid1(VALU_DEP_1)
	v_lshlrev_b32_e32 v161, 21, v161
	v_or3_b32 v160, v151, v160, v161
.LBB4_1625:                             ;   in Loop: Header=BB4_1455 Depth=3
	s_or_b32 exec_lo, exec_lo, s34
	s_delay_alu instid0(VALU_DEP_1) | instskip(NEXT) | instid1(VALU_DEP_1)
	v_mul_f32_e32 v160, v129, v160
	v_and_b32_e32 v151, 0x7f800000, v160
	s_delay_alu instid0(VALU_DEP_1)
	v_cmp_ne_u32_e32 vcc_lo, 0x7f800000, v151
	v_mov_b32_e32 v151, 0x80
	s_and_saveexec_b32 s34, vcc_lo
	s_cbranch_execz .LBB4_1633
; %bb.1626:                             ;   in Loop: Header=BB4_1455 Depth=3
	v_mov_b32_e32 v151, 0
	s_mov_b32 s35, exec_lo
	v_cmpx_ne_u32_e32 0, v160
	s_cbranch_execz .LBB4_1632
; %bb.1627:                             ;   in Loop: Header=BB4_1455 Depth=3
	v_bfe_u32 v151, v160, 23, 8
	s_delay_alu instid0(VALU_DEP_1) | instskip(SKIP_1) | instid1(VALU_DEP_2)
	v_sub_nc_u32_e32 v162, 0x70, v151
	v_cmp_gt_u32_e32 vcc_lo, 0x71, v151
	v_dual_cndmask_b32 v162, 0, v162 :: v_dual_and_b32 v161, 0x7fffff, v160
	s_delay_alu instid0(VALU_DEP_1) | instskip(SKIP_2) | instid1(VALU_DEP_4)
	v_or_b32_e32 v163, 0x800000, v161
	v_cmp_eq_u32_e32 vcc_lo, 0, v151
	v_add_nc_u32_e32 v151, 0xffffff91, v151
	v_cndmask_b32_e64 v162, v162, 0x6f, vcc_lo
	s_delay_alu instid0(VALU_DEP_2) | instskip(SKIP_1) | instid1(VALU_DEP_3)
	v_cndmask_b32_e64 v151, v151, 0xffffff92, vcc_lo
	v_cndmask_b32_e32 v161, v163, v161, vcc_lo
	v_lshl_add_u32 v163, 0x200000, v162, -1
	v_lshlrev_b32_e64 v166, v162, 0x100000
	s_delay_alu instid0(VALU_DEP_3) | instskip(SKIP_1) | instid1(VALU_DEP_4)
	v_lshrrev_b32_e32 v164, v162, v161
	v_add_nc_u32_e32 v162, v162, v151
	v_and_b32_e32 v161, v163, v161
	s_delay_alu instid0(VALU_DEP_3) | instskip(NEXT) | instid1(VALU_DEP_2)
	v_bfe_u32 v165, v164, 21, 1
	v_cmp_eq_u32_e64 s13, v161, v166
	s_delay_alu instid0(VALU_DEP_2) | instskip(NEXT) | instid1(VALU_DEP_1)
	v_add_nc_u32_e32 v163, -1, v165
	v_cndmask_b32_e64 v161, 0, v163, s13
	v_lshrrev_b32_e32 v163, 23, v164
	s_mov_b32 s13, exec_lo
	s_delay_alu instid0(VALU_DEP_2) | instskip(NEXT) | instid1(VALU_DEP_2)
	v_add_nc_u32_e32 v161, v161, v164
	v_xor_b32_e32 v163, 1, v163
	s_delay_alu instid0(VALU_DEP_2) | instskip(NEXT) | instid1(VALU_DEP_1)
	v_and_b32_e32 v151, 0x1fffff, v161
	v_add_nc_u32_e32 v161, v151, v164
                                        ; implicit-def: $vgpr151
	s_delay_alu instid0(VALU_DEP_3)
	v_cmpx_ne_u32_e64 v162, v163
	s_xor_b32 s13, exec_lo, s13
; %bb.1628:                             ;   in Loop: Header=BB4_1455 Depth=3
	s_delay_alu instid0(VALU_DEP_2) | instskip(SKIP_2) | instid1(VALU_DEP_2)
	v_cmp_lt_u32_e32 vcc_lo, 0xffffff, v161
	v_sub_nc_u32_e32 v151, v162, v163
	v_cndmask_b32_e64 v162, 0, 1, vcc_lo
	v_add_co_ci_u32_e32 v151, vcc_lo, 0, v151, vcc_lo
	s_delay_alu instid0(VALU_DEP_2)
	v_lshrrev_b32_e32 v161, v162, v161
; %bb.1629:                             ;   in Loop: Header=BB4_1455 Depth=3
	s_and_not1_saveexec_b32 s13, s13
; %bb.1630:                             ;   in Loop: Header=BB4_1455 Depth=3
	s_delay_alu instid0(VALU_DEP_1)
	v_bfe_u32 v151, v161, 23, 1
; %bb.1631:                             ;   in Loop: Header=BB4_1455 Depth=3
	s_or_b32 exec_lo, exec_lo, s13
	v_lshrrev_b32_e32 v161, 21, v161
	s_delay_alu instid0(VALU_DEP_2) | instskip(SKIP_2) | instid1(VALU_DEP_2)
	v_cmp_gt_i32_e32 vcc_lo, 32, v151
	v_lshrrev_b32_e32 v160, 24, v160
	v_min_i32_e32 v162, 31, v151
	v_dual_cndmask_b32 v161, 3, v161 :: v_dual_and_b32 v160, 0x80, v160
	s_delay_alu instid0(VALU_DEP_1) | instskip(SKIP_1) | instid1(VALU_DEP_2)
	v_or_b32_e32 v151, v151, v161
	v_and_b32_e32 v163, 3, v161
	v_cmp_ne_u32_e32 vcc_lo, 0, v151
	v_lshlrev_b32_e32 v162, 2, v162
	s_delay_alu instid0(VALU_DEP_1) | instskip(NEXT) | instid1(VALU_DEP_1)
	v_or3_b32 v160, v162, v160, v163
	v_cndmask_b32_e32 v151, 0, v160, vcc_lo
.LBB4_1632:                             ;   in Loop: Header=BB4_1455 Depth=3
	s_or_b32 exec_lo, exec_lo, s35
.LBB4_1633:                             ;   in Loop: Header=BB4_1455 Depth=3
	s_delay_alu instid0(SALU_CYCLE_1)
	s_or_b32 exec_lo, exec_lo, s34
	flat_load_u8 v160, v[52:53] offset:448 slc dlc
	s_mov_b32 s13, 0
	s_mov_b32 s35, exec_lo
                                        ; implicit-def: $sgpr34
	s_waitcnt vmcnt(0) lgkmcnt(0)
	v_cmpx_lt_i16_e64 0x7f, v160
	s_xor_b32 s35, exec_lo, s35
	s_cbranch_execnz .LBB4_1714
; %bb.1634:                             ;   in Loop: Header=BB4_1455 Depth=3
	s_or_saveexec_b32 s35, s35
	v_mov_b32_e32 v161, s34
	s_xor_b32 exec_lo, exec_lo, s35
	s_cbranch_execnz .LBB4_1717
.LBB4_1635:                             ;   in Loop: Header=BB4_1455 Depth=3
	s_or_b32 exec_lo, exec_lo, s35
	s_and_saveexec_b32 s34, s13
	s_cbranch_execz .LBB4_1637
.LBB4_1636:                             ;   in Loop: Header=BB4_1455 Depth=3
	v_and_b32_e32 v161, 0xffff, v160
	v_lshlrev_b32_e32 v160, 24, v160
	s_delay_alu instid0(VALU_DEP_2) | instskip(NEXT) | instid1(VALU_DEP_2)
	v_and_b32_e32 v162, 3, v161
	v_and_b32_e32 v160, 0x80000000, v160
	s_delay_alu instid0(VALU_DEP_2) | instskip(NEXT) | instid1(VALU_DEP_1)
	v_clz_i32_u32_e32 v163, v162
	v_min_u32_e32 v163, 32, v163
	s_delay_alu instid0(VALU_DEP_1) | instskip(SKIP_1) | instid1(VALU_DEP_2)
	v_subrev_nc_u32_e32 v164, 29, v163
	v_sub_nc_u32_e32 v163, 30, v163
	v_lshlrev_b32_e32 v164, v164, v161
	v_bfe_u32 v161, v161, 2, 5
	s_delay_alu instid0(VALU_DEP_2) | instskip(NEXT) | instid1(VALU_DEP_2)
	v_and_b32_e32 v164, 3, v164
	v_cmp_eq_u32_e32 vcc_lo, 0, v161
	s_delay_alu instid0(VALU_DEP_2) | instskip(NEXT) | instid1(VALU_DEP_1)
	v_dual_cndmask_b32 v161, v161, v163 :: v_dual_cndmask_b32 v162, v162, v164
	v_lshl_add_u32 v161, v161, 23, 0x37800000
	s_delay_alu instid0(VALU_DEP_2) | instskip(NEXT) | instid1(VALU_DEP_1)
	v_lshlrev_b32_e32 v162, 21, v162
	v_or3_b32 v161, v160, v161, v162
.LBB4_1637:                             ;   in Loop: Header=BB4_1455 Depth=3
	s_or_b32 exec_lo, exec_lo, s34
	s_delay_alu instid0(VALU_DEP_1) | instskip(NEXT) | instid1(VALU_DEP_1)
	v_mul_f32_e32 v161, v129, v161
	v_and_b32_e32 v160, 0x7f800000, v161
	s_delay_alu instid0(VALU_DEP_1)
	v_cmp_ne_u32_e32 vcc_lo, 0x7f800000, v160
	v_mov_b32_e32 v160, 0x80
	s_and_saveexec_b32 s34, vcc_lo
	s_cbranch_execz .LBB4_1645
; %bb.1638:                             ;   in Loop: Header=BB4_1455 Depth=3
	v_mov_b32_e32 v160, 0
	s_mov_b32 s35, exec_lo
	v_cmpx_ne_u32_e32 0, v161
	s_cbranch_execz .LBB4_1644
; %bb.1639:                             ;   in Loop: Header=BB4_1455 Depth=3
	v_bfe_u32 v160, v161, 23, 8
	s_delay_alu instid0(VALU_DEP_1) | instskip(SKIP_1) | instid1(VALU_DEP_2)
	v_sub_nc_u32_e32 v163, 0x70, v160
	v_cmp_gt_u32_e32 vcc_lo, 0x71, v160
	v_dual_cndmask_b32 v163, 0, v163 :: v_dual_and_b32 v162, 0x7fffff, v161
	s_delay_alu instid0(VALU_DEP_1) | instskip(SKIP_2) | instid1(VALU_DEP_4)
	v_or_b32_e32 v164, 0x800000, v162
	v_cmp_eq_u32_e32 vcc_lo, 0, v160
	v_add_nc_u32_e32 v160, 0xffffff91, v160
	v_cndmask_b32_e64 v163, v163, 0x6f, vcc_lo
	s_delay_alu instid0(VALU_DEP_2) | instskip(SKIP_1) | instid1(VALU_DEP_3)
	v_cndmask_b32_e64 v160, v160, 0xffffff92, vcc_lo
	v_cndmask_b32_e32 v162, v164, v162, vcc_lo
	v_lshl_add_u32 v164, 0x200000, v163, -1
	v_lshlrev_b32_e64 v167, v163, 0x100000
	s_delay_alu instid0(VALU_DEP_3) | instskip(SKIP_1) | instid1(VALU_DEP_4)
	v_lshrrev_b32_e32 v165, v163, v162
	v_add_nc_u32_e32 v163, v163, v160
	v_and_b32_e32 v162, v164, v162
	s_delay_alu instid0(VALU_DEP_3) | instskip(NEXT) | instid1(VALU_DEP_2)
	v_bfe_u32 v166, v165, 21, 1
	v_cmp_eq_u32_e64 s13, v162, v167
	s_delay_alu instid0(VALU_DEP_2) | instskip(NEXT) | instid1(VALU_DEP_1)
	v_add_nc_u32_e32 v164, -1, v166
	v_cndmask_b32_e64 v162, 0, v164, s13
	v_lshrrev_b32_e32 v164, 23, v165
	s_mov_b32 s13, exec_lo
	s_delay_alu instid0(VALU_DEP_2) | instskip(NEXT) | instid1(VALU_DEP_2)
	v_add_nc_u32_e32 v162, v162, v165
	v_xor_b32_e32 v164, 1, v164
	s_delay_alu instid0(VALU_DEP_2) | instskip(NEXT) | instid1(VALU_DEP_1)
	v_and_b32_e32 v160, 0x1fffff, v162
	v_add_nc_u32_e32 v162, v160, v165
                                        ; implicit-def: $vgpr160
	s_delay_alu instid0(VALU_DEP_3)
	v_cmpx_ne_u32_e64 v163, v164
	s_xor_b32 s13, exec_lo, s13
; %bb.1640:                             ;   in Loop: Header=BB4_1455 Depth=3
	s_delay_alu instid0(VALU_DEP_2) | instskip(SKIP_2) | instid1(VALU_DEP_2)
	v_cmp_lt_u32_e32 vcc_lo, 0xffffff, v162
	v_sub_nc_u32_e32 v160, v163, v164
	v_cndmask_b32_e64 v163, 0, 1, vcc_lo
	v_add_co_ci_u32_e32 v160, vcc_lo, 0, v160, vcc_lo
	s_delay_alu instid0(VALU_DEP_2)
	v_lshrrev_b32_e32 v162, v163, v162
; %bb.1641:                             ;   in Loop: Header=BB4_1455 Depth=3
	s_and_not1_saveexec_b32 s13, s13
; %bb.1642:                             ;   in Loop: Header=BB4_1455 Depth=3
	s_delay_alu instid0(VALU_DEP_1)
	v_bfe_u32 v160, v162, 23, 1
; %bb.1643:                             ;   in Loop: Header=BB4_1455 Depth=3
	s_or_b32 exec_lo, exec_lo, s13
	v_lshrrev_b32_e32 v162, 21, v162
	s_delay_alu instid0(VALU_DEP_2) | instskip(SKIP_2) | instid1(VALU_DEP_2)
	v_cmp_gt_i32_e32 vcc_lo, 32, v160
	v_lshrrev_b32_e32 v161, 24, v161
	v_min_i32_e32 v163, 31, v160
	v_dual_cndmask_b32 v162, 3, v162 :: v_dual_and_b32 v161, 0x80, v161
	s_delay_alu instid0(VALU_DEP_1) | instskip(SKIP_1) | instid1(VALU_DEP_2)
	v_or_b32_e32 v160, v160, v162
	v_and_b32_e32 v164, 3, v162
	v_cmp_ne_u32_e32 vcc_lo, 0, v160
	v_lshlrev_b32_e32 v163, 2, v163
	s_delay_alu instid0(VALU_DEP_1) | instskip(NEXT) | instid1(VALU_DEP_1)
	v_or3_b32 v161, v163, v161, v164
	v_cndmask_b32_e32 v160, 0, v161, vcc_lo
.LBB4_1644:                             ;   in Loop: Header=BB4_1455 Depth=3
	s_or_b32 exec_lo, exec_lo, s35
.LBB4_1645:                             ;   in Loop: Header=BB4_1455 Depth=3
	s_delay_alu instid0(SALU_CYCLE_1)
	s_or_b32 exec_lo, exec_lo, s34
	flat_load_u8 v52, v[52:53] offset:480 slc dlc
	s_mov_b32 s13, 0
	s_mov_b32 s35, exec_lo
                                        ; implicit-def: $sgpr34
	s_waitcnt vmcnt(0) lgkmcnt(0)
	v_cmpx_lt_i16_e32 0x7f, v52
	s_xor_b32 s35, exec_lo, s35
	s_cbranch_execnz .LBB4_1718
; %bb.1646:                             ;   in Loop: Header=BB4_1455 Depth=3
	s_or_saveexec_b32 s35, s35
	v_mov_b32_e32 v53, s34
	s_xor_b32 exec_lo, exec_lo, s35
	s_cbranch_execnz .LBB4_1721
.LBB4_1647:                             ;   in Loop: Header=BB4_1455 Depth=3
	s_or_b32 exec_lo, exec_lo, s35
	s_and_saveexec_b32 s34, s13
	s_cbranch_execz .LBB4_1649
.LBB4_1648:                             ;   in Loop: Header=BB4_1455 Depth=3
	v_and_b32_e32 v53, 0xffff, v52
	s_delay_alu instid0(VALU_DEP_1) | instskip(NEXT) | instid1(VALU_DEP_1)
	v_and_b32_e32 v161, 3, v53
	v_clz_i32_u32_e32 v162, v161
	s_delay_alu instid0(VALU_DEP_1) | instskip(NEXT) | instid1(VALU_DEP_1)
	v_min_u32_e32 v162, 32, v162
	v_subrev_nc_u32_e32 v163, 29, v162
	v_sub_nc_u32_e32 v162, 30, v162
	s_delay_alu instid0(VALU_DEP_2) | instskip(SKIP_1) | instid1(VALU_DEP_2)
	v_lshlrev_b32_e32 v163, v163, v53
	v_bfe_u32 v53, v53, 2, 5
	v_and_b32_e32 v163, 3, v163
	s_delay_alu instid0(VALU_DEP_2) | instskip(SKIP_1) | instid1(VALU_DEP_1)
	v_cmp_eq_u32_e32 vcc_lo, 0, v53
	v_dual_cndmask_b32 v53, v53, v162 :: v_dual_lshlrev_b32 v52, 24, v52
	v_dual_cndmask_b32 v161, v161, v163 :: v_dual_and_b32 v52, 0x80000000, v52
	s_delay_alu instid0(VALU_DEP_2) | instskip(NEXT) | instid1(VALU_DEP_2)
	v_lshl_add_u32 v53, v53, 23, 0x37800000
	v_lshlrev_b32_e32 v161, 21, v161
	s_delay_alu instid0(VALU_DEP_1)
	v_or3_b32 v53, v52, v53, v161
.LBB4_1649:                             ;   in Loop: Header=BB4_1455 Depth=3
	s_or_b32 exec_lo, exec_lo, s34
	s_delay_alu instid0(VALU_DEP_1) | instskip(NEXT) | instid1(VALU_DEP_1)
	v_mul_f32_e32 v52, v129, v53
	v_and_b32_e32 v53, 0x7f800000, v52
	s_delay_alu instid0(VALU_DEP_1)
	v_cmp_ne_u32_e32 vcc_lo, 0x7f800000, v53
	v_mov_b32_e32 v53, 0x80
	s_and_saveexec_b32 s34, vcc_lo
	s_cbranch_execz .LBB4_1657
; %bb.1650:                             ;   in Loop: Header=BB4_1455 Depth=3
	v_mov_b32_e32 v53, 0
	s_mov_b32 s35, exec_lo
	v_cmpx_ne_u32_e32 0, v52
	s_cbranch_execz .LBB4_1656
; %bb.1651:                             ;   in Loop: Header=BB4_1455 Depth=3
	v_bfe_u32 v53, v52, 23, 8
	v_and_b32_e32 v129, 0x7fffff, v52
	s_delay_alu instid0(VALU_DEP_2) | instskip(SKIP_1) | instid1(VALU_DEP_3)
	v_sub_nc_u32_e32 v161, 0x70, v53
	v_cmp_gt_u32_e32 vcc_lo, 0x71, v53
	v_or_b32_e32 v162, 0x800000, v129
	s_delay_alu instid0(VALU_DEP_3) | instskip(SKIP_2) | instid1(VALU_DEP_3)
	v_cndmask_b32_e32 v161, 0, v161, vcc_lo
	v_cmp_eq_u32_e32 vcc_lo, 0, v53
	v_add_nc_u32_e32 v53, 0xffffff91, v53
	v_cndmask_b32_e64 v161, v161, 0x6f, vcc_lo
	v_cndmask_b32_e32 v129, v162, v129, vcc_lo
	s_delay_alu instid0(VALU_DEP_3) | instskip(NEXT) | instid1(VALU_DEP_3)
	v_cndmask_b32_e64 v53, v53, 0xffffff92, vcc_lo
	v_lshl_add_u32 v162, 0x200000, v161, -1
	s_delay_alu instid0(VALU_DEP_3) | instskip(SKIP_1) | instid1(VALU_DEP_4)
	v_lshrrev_b32_e32 v163, v161, v129
	v_lshlrev_b32_e64 v165, v161, 0x100000
	v_add_nc_u32_e32 v161, v161, v53
	s_delay_alu instid0(VALU_DEP_4) | instskip(NEXT) | instid1(VALU_DEP_4)
	v_and_b32_e32 v129, v162, v129
	v_bfe_u32 v164, v163, 21, 1
	s_delay_alu instid0(VALU_DEP_2) | instskip(NEXT) | instid1(VALU_DEP_2)
	v_cmp_eq_u32_e64 s13, v129, v165
	v_add_nc_u32_e32 v162, -1, v164
	s_delay_alu instid0(VALU_DEP_1) | instskip(SKIP_2) | instid1(VALU_DEP_2)
	v_cndmask_b32_e64 v129, 0, v162, s13
	v_lshrrev_b32_e32 v162, 23, v163
	s_mov_b32 s13, exec_lo
	v_add_nc_u32_e32 v129, v129, v163
	s_delay_alu instid0(VALU_DEP_2) | instskip(NEXT) | instid1(VALU_DEP_2)
	v_xor_b32_e32 v162, 1, v162
	v_and_b32_e32 v53, 0x1fffff, v129
	s_delay_alu instid0(VALU_DEP_1) | instskip(NEXT) | instid1(VALU_DEP_3)
	v_add_nc_u32_e32 v129, v53, v163
                                        ; implicit-def: $vgpr53
	v_cmpx_ne_u32_e64 v161, v162
	s_xor_b32 s13, exec_lo, s13
; %bb.1652:                             ;   in Loop: Header=BB4_1455 Depth=3
	s_delay_alu instid0(VALU_DEP_2) | instskip(SKIP_2) | instid1(VALU_DEP_2)
	v_cmp_lt_u32_e32 vcc_lo, 0xffffff, v129
	v_sub_nc_u32_e32 v53, v161, v162
	v_cndmask_b32_e64 v161, 0, 1, vcc_lo
	v_add_co_ci_u32_e32 v53, vcc_lo, 0, v53, vcc_lo
	s_delay_alu instid0(VALU_DEP_2)
	v_lshrrev_b32_e32 v129, v161, v129
; %bb.1653:                             ;   in Loop: Header=BB4_1455 Depth=3
	s_and_not1_saveexec_b32 s13, s13
; %bb.1654:                             ;   in Loop: Header=BB4_1455 Depth=3
	s_delay_alu instid0(VALU_DEP_1)
	v_bfe_u32 v53, v129, 23, 1
; %bb.1655:                             ;   in Loop: Header=BB4_1455 Depth=3
	s_or_b32 exec_lo, exec_lo, s13
	v_lshrrev_b32_e32 v129, 21, v129
	s_delay_alu instid0(VALU_DEP_2) | instskip(SKIP_2) | instid1(VALU_DEP_2)
	v_cmp_gt_i32_e32 vcc_lo, 32, v53
	v_lshrrev_b32_e32 v52, 24, v52
	v_min_i32_e32 v161, 31, v53
	v_dual_cndmask_b32 v129, 3, v129 :: v_dual_and_b32 v52, 0x80, v52
	s_delay_alu instid0(VALU_DEP_2) | instskip(NEXT) | instid1(VALU_DEP_2)
	v_lshlrev_b32_e32 v161, 2, v161
	v_or_b32_e32 v53, v53, v129
	s_delay_alu instid0(VALU_DEP_1) | instskip(SKIP_1) | instid1(VALU_DEP_1)
	v_cmp_ne_u32_e32 vcc_lo, 0, v53
	v_and_b32_e32 v162, 3, v129
	v_or3_b32 v52, v161, v52, v162
	s_delay_alu instid0(VALU_DEP_1)
	v_cndmask_b32_e32 v53, 0, v52, vcc_lo
.LBB4_1656:                             ;   in Loop: Header=BB4_1455 Depth=3
	s_or_b32 exec_lo, exec_lo, s35
.LBB4_1657:                             ;   in Loop: Header=BB4_1455 Depth=3
	s_delay_alu instid0(SALU_CYCLE_1)
	s_or_b32 exec_lo, exec_lo, s34
	v_add_co_u32 v161, vcc_lo, v68, v8
	v_sub_nc_u32_e32 v2, v2, v81
	v_add_co_ci_u32_e32 v162, vcc_lo, v69, v9, vcc_lo
	v_add_co_u32 v10, vcc_lo, v10, v101
	v_add_co_ci_u32_e32 v11, vcc_lo, v11, v102, vcc_lo
	s_delay_alu instid0(VALU_DEP_4) | instskip(SKIP_1) | instid1(VALU_DEP_1)
	v_cmp_gt_i32_e32 vcc_lo, 1, v2
	v_add_co_u32 v8, s13, v8, v101
	v_add_co_ci_u32_e64 v9, s13, v9, v102, s13
	s_or_b32 s31, vcc_lo, s31
	s_clause 0xf
	flat_store_b8 v[161:162], v130 glc slc dlc
	flat_store_b8 v[161:162], v131 offset:32 glc slc dlc
	flat_store_b8 v[161:162], v132 offset:64 glc slc dlc
	;; [unrolled: 1-line block ×15, first 2 shown]
	s_and_not1_b32 exec_lo, exec_lo, s31
	s_cbranch_execnz .LBB4_1455
	s_branch .LBB4_1722
.LBB4_1658:                             ;   in Loop: Header=BB4_1455 Depth=3
	s_mov_b32 s13, -1
	s_mov_b32 s36, exec_lo
                                        ; implicit-def: $sgpr34
	v_cmpx_eq_u16_e64 0x80, v130
; %bb.1659:                             ;   in Loop: Header=BB4_1455 Depth=3
	s_mov_b32 s34, 0x7f800001
	s_xor_b32 s13, exec_lo, -1
; %bb.1660:                             ;   in Loop: Header=BB4_1455 Depth=3
	s_or_b32 exec_lo, exec_lo, s36
	s_delay_alu instid0(SALU_CYCLE_1)
	s_and_b32 s13, s13, exec_lo
	s_or_saveexec_b32 s35, s35
	v_mov_b32_e32 v131, s34
	s_xor_b32 exec_lo, exec_lo, s35
	s_cbranch_execz .LBB4_1467
.LBB4_1661:                             ;   in Loop: Header=BB4_1455 Depth=3
	v_cmp_ne_u16_e64 vcc_lo, 0, v130
	v_mov_b32_e32 v131, 0
	s_and_not1_b32 s13, s13, exec_lo
	s_delay_alu instid0(VALU_DEP_2) | instskip(NEXT) | instid1(SALU_CYCLE_1)
	s_and_b32 vcc_lo, vcc_lo, exec_lo
	s_or_b32 s13, s13, vcc_lo
	s_or_b32 exec_lo, exec_lo, s35
	s_and_saveexec_b32 s34, s13
	s_cbranch_execnz .LBB4_1468
	s_branch .LBB4_1469
.LBB4_1662:                             ;   in Loop: Header=BB4_1455 Depth=3
	s_mov_b32 s13, -1
	s_mov_b32 s36, exec_lo
                                        ; implicit-def: $sgpr34
	v_cmpx_eq_u16_e64 0x80, v131
; %bb.1663:                             ;   in Loop: Header=BB4_1455 Depth=3
	s_mov_b32 s34, 0x7f800001
	s_xor_b32 s13, exec_lo, -1
; %bb.1664:                             ;   in Loop: Header=BB4_1455 Depth=3
	s_or_b32 exec_lo, exec_lo, s36
	s_delay_alu instid0(SALU_CYCLE_1)
	s_and_b32 s13, s13, exec_lo
	s_or_saveexec_b32 s35, s35
	v_mov_b32_e32 v132, s34
	s_xor_b32 exec_lo, exec_lo, s35
	s_cbranch_execz .LBB4_1479
.LBB4_1665:                             ;   in Loop: Header=BB4_1455 Depth=3
	v_cmp_ne_u16_e64 vcc_lo, 0, v131
	v_mov_b32_e32 v132, 0
	s_and_not1_b32 s13, s13, exec_lo
	s_delay_alu instid0(VALU_DEP_2) | instskip(NEXT) | instid1(SALU_CYCLE_1)
	s_and_b32 vcc_lo, vcc_lo, exec_lo
	s_or_b32 s13, s13, vcc_lo
	s_or_b32 exec_lo, exec_lo, s35
	s_and_saveexec_b32 s34, s13
	s_cbranch_execnz .LBB4_1480
	s_branch .LBB4_1481
.LBB4_1666:                             ;   in Loop: Header=BB4_1455 Depth=3
	s_mov_b32 s13, -1
	s_mov_b32 s36, exec_lo
                                        ; implicit-def: $sgpr34
	v_cmpx_eq_u16_e64 0x80, v132
; %bb.1667:                             ;   in Loop: Header=BB4_1455 Depth=3
	s_mov_b32 s34, 0x7f800001
	s_xor_b32 s13, exec_lo, -1
; %bb.1668:                             ;   in Loop: Header=BB4_1455 Depth=3
	s_or_b32 exec_lo, exec_lo, s36
	s_delay_alu instid0(SALU_CYCLE_1)
	s_and_b32 s13, s13, exec_lo
	s_or_saveexec_b32 s35, s35
	v_mov_b32_e32 v133, s34
	s_xor_b32 exec_lo, exec_lo, s35
	s_cbranch_execz .LBB4_1491
.LBB4_1669:                             ;   in Loop: Header=BB4_1455 Depth=3
	v_cmp_ne_u16_e64 vcc_lo, 0, v132
	v_mov_b32_e32 v133, 0
	s_and_not1_b32 s13, s13, exec_lo
	s_delay_alu instid0(VALU_DEP_2) | instskip(NEXT) | instid1(SALU_CYCLE_1)
	s_and_b32 vcc_lo, vcc_lo, exec_lo
	s_or_b32 s13, s13, vcc_lo
	s_or_b32 exec_lo, exec_lo, s35
	s_and_saveexec_b32 s34, s13
	s_cbranch_execnz .LBB4_1492
	s_branch .LBB4_1493
.LBB4_1670:                             ;   in Loop: Header=BB4_1455 Depth=3
	s_mov_b32 s13, -1
	s_mov_b32 s36, exec_lo
                                        ; implicit-def: $sgpr34
	v_cmpx_eq_u16_e64 0x80, v133
; %bb.1671:                             ;   in Loop: Header=BB4_1455 Depth=3
	s_mov_b32 s34, 0x7f800001
	s_xor_b32 s13, exec_lo, -1
; %bb.1672:                             ;   in Loop: Header=BB4_1455 Depth=3
	s_or_b32 exec_lo, exec_lo, s36
	s_delay_alu instid0(SALU_CYCLE_1)
	s_and_b32 s13, s13, exec_lo
	s_or_saveexec_b32 s35, s35
	v_mov_b32_e32 v134, s34
	s_xor_b32 exec_lo, exec_lo, s35
	s_cbranch_execz .LBB4_1503
.LBB4_1673:                             ;   in Loop: Header=BB4_1455 Depth=3
	v_cmp_ne_u16_e64 vcc_lo, 0, v133
	v_mov_b32_e32 v134, 0
	s_and_not1_b32 s13, s13, exec_lo
	s_delay_alu instid0(VALU_DEP_2) | instskip(NEXT) | instid1(SALU_CYCLE_1)
	s_and_b32 vcc_lo, vcc_lo, exec_lo
	s_or_b32 s13, s13, vcc_lo
	s_or_b32 exec_lo, exec_lo, s35
	s_and_saveexec_b32 s34, s13
	s_cbranch_execnz .LBB4_1504
	s_branch .LBB4_1505
.LBB4_1674:                             ;   in Loop: Header=BB4_1455 Depth=3
	s_mov_b32 s13, -1
	s_mov_b32 s36, exec_lo
                                        ; implicit-def: $sgpr34
	v_cmpx_eq_u16_e64 0x80, v134
; %bb.1675:                             ;   in Loop: Header=BB4_1455 Depth=3
	s_mov_b32 s34, 0x7f800001
	s_xor_b32 s13, exec_lo, -1
; %bb.1676:                             ;   in Loop: Header=BB4_1455 Depth=3
	s_or_b32 exec_lo, exec_lo, s36
	s_delay_alu instid0(SALU_CYCLE_1)
	s_and_b32 s13, s13, exec_lo
	s_or_saveexec_b32 s35, s35
	v_mov_b32_e32 v135, s34
	s_xor_b32 exec_lo, exec_lo, s35
	s_cbranch_execz .LBB4_1515
.LBB4_1677:                             ;   in Loop: Header=BB4_1455 Depth=3
	v_cmp_ne_u16_e64 vcc_lo, 0, v134
	v_mov_b32_e32 v135, 0
	s_and_not1_b32 s13, s13, exec_lo
	s_delay_alu instid0(VALU_DEP_2) | instskip(NEXT) | instid1(SALU_CYCLE_1)
	s_and_b32 vcc_lo, vcc_lo, exec_lo
	s_or_b32 s13, s13, vcc_lo
	s_or_b32 exec_lo, exec_lo, s35
	s_and_saveexec_b32 s34, s13
	s_cbranch_execnz .LBB4_1516
	s_branch .LBB4_1517
.LBB4_1678:                             ;   in Loop: Header=BB4_1455 Depth=3
	s_mov_b32 s13, -1
	s_mov_b32 s36, exec_lo
                                        ; implicit-def: $sgpr34
	v_cmpx_eq_u16_e64 0x80, v135
; %bb.1679:                             ;   in Loop: Header=BB4_1455 Depth=3
	s_mov_b32 s34, 0x7f800001
	s_xor_b32 s13, exec_lo, -1
; %bb.1680:                             ;   in Loop: Header=BB4_1455 Depth=3
	s_or_b32 exec_lo, exec_lo, s36
	s_delay_alu instid0(SALU_CYCLE_1)
	s_and_b32 s13, s13, exec_lo
	s_or_saveexec_b32 s35, s35
	v_mov_b32_e32 v144, s34
	s_xor_b32 exec_lo, exec_lo, s35
	s_cbranch_execz .LBB4_1527
.LBB4_1681:                             ;   in Loop: Header=BB4_1455 Depth=3
	v_cmp_ne_u16_e64 vcc_lo, 0, v135
	v_mov_b32_e32 v144, 0
	s_and_not1_b32 s13, s13, exec_lo
	s_delay_alu instid0(VALU_DEP_2) | instskip(NEXT) | instid1(SALU_CYCLE_1)
	s_and_b32 vcc_lo, vcc_lo, exec_lo
	s_or_b32 s13, s13, vcc_lo
	s_or_b32 exec_lo, exec_lo, s35
	s_and_saveexec_b32 s34, s13
	s_cbranch_execnz .LBB4_1528
	s_branch .LBB4_1529
.LBB4_1682:                             ;   in Loop: Header=BB4_1455 Depth=3
	s_mov_b32 s13, -1
	s_mov_b32 s36, exec_lo
                                        ; implicit-def: $sgpr34
	v_cmpx_eq_u16_e64 0x80, v144
; %bb.1683:                             ;   in Loop: Header=BB4_1455 Depth=3
	s_mov_b32 s34, 0x7f800001
	s_xor_b32 s13, exec_lo, -1
; %bb.1684:                             ;   in Loop: Header=BB4_1455 Depth=3
	s_or_b32 exec_lo, exec_lo, s36
	s_delay_alu instid0(SALU_CYCLE_1)
	s_and_b32 s13, s13, exec_lo
	s_or_saveexec_b32 s35, s35
	v_mov_b32_e32 v145, s34
	s_xor_b32 exec_lo, exec_lo, s35
	s_cbranch_execz .LBB4_1539
.LBB4_1685:                             ;   in Loop: Header=BB4_1455 Depth=3
	v_cmp_ne_u16_e64 vcc_lo, 0, v144
	v_mov_b32_e32 v145, 0
	s_and_not1_b32 s13, s13, exec_lo
	s_delay_alu instid0(VALU_DEP_2) | instskip(NEXT) | instid1(SALU_CYCLE_1)
	s_and_b32 vcc_lo, vcc_lo, exec_lo
	s_or_b32 s13, s13, vcc_lo
	s_or_b32 exec_lo, exec_lo, s35
	s_and_saveexec_b32 s34, s13
	s_cbranch_execnz .LBB4_1540
	s_branch .LBB4_1541
.LBB4_1686:                             ;   in Loop: Header=BB4_1455 Depth=3
	s_mov_b32 s13, -1
	s_mov_b32 s36, exec_lo
                                        ; implicit-def: $sgpr34
	v_cmpx_eq_u16_e64 0x80, v145
; %bb.1687:                             ;   in Loop: Header=BB4_1455 Depth=3
	s_mov_b32 s34, 0x7f800001
	s_xor_b32 s13, exec_lo, -1
; %bb.1688:                             ;   in Loop: Header=BB4_1455 Depth=3
	s_or_b32 exec_lo, exec_lo, s36
	s_delay_alu instid0(SALU_CYCLE_1)
	s_and_b32 s13, s13, exec_lo
	s_or_saveexec_b32 s35, s35
	v_mov_b32_e32 v146, s34
	s_xor_b32 exec_lo, exec_lo, s35
	s_cbranch_execz .LBB4_1551
.LBB4_1689:                             ;   in Loop: Header=BB4_1455 Depth=3
	v_cmp_ne_u16_e64 vcc_lo, 0, v145
	v_mov_b32_e32 v146, 0
	s_and_not1_b32 s13, s13, exec_lo
	s_delay_alu instid0(VALU_DEP_2) | instskip(NEXT) | instid1(SALU_CYCLE_1)
	s_and_b32 vcc_lo, vcc_lo, exec_lo
	s_or_b32 s13, s13, vcc_lo
	s_or_b32 exec_lo, exec_lo, s35
	s_and_saveexec_b32 s34, s13
	s_cbranch_execnz .LBB4_1552
	s_branch .LBB4_1553
.LBB4_1690:                             ;   in Loop: Header=BB4_1455 Depth=3
	s_mov_b32 s13, -1
	s_mov_b32 s36, exec_lo
                                        ; implicit-def: $sgpr34
	v_cmpx_eq_u16_e64 0x80, v146
; %bb.1691:                             ;   in Loop: Header=BB4_1455 Depth=3
	s_mov_b32 s34, 0x7f800001
	s_xor_b32 s13, exec_lo, -1
; %bb.1692:                             ;   in Loop: Header=BB4_1455 Depth=3
	s_or_b32 exec_lo, exec_lo, s36
	s_delay_alu instid0(SALU_CYCLE_1)
	s_and_b32 s13, s13, exec_lo
	s_or_saveexec_b32 s35, s35
	v_mov_b32_e32 v147, s34
	s_xor_b32 exec_lo, exec_lo, s35
	s_cbranch_execz .LBB4_1563
.LBB4_1693:                             ;   in Loop: Header=BB4_1455 Depth=3
	v_cmp_ne_u16_e64 vcc_lo, 0, v146
	v_mov_b32_e32 v147, 0
	s_and_not1_b32 s13, s13, exec_lo
	s_delay_alu instid0(VALU_DEP_2) | instskip(NEXT) | instid1(SALU_CYCLE_1)
	s_and_b32 vcc_lo, vcc_lo, exec_lo
	s_or_b32 s13, s13, vcc_lo
	s_or_b32 exec_lo, exec_lo, s35
	s_and_saveexec_b32 s34, s13
	s_cbranch_execnz .LBB4_1564
	s_branch .LBB4_1565
.LBB4_1694:                             ;   in Loop: Header=BB4_1455 Depth=3
	s_mov_b32 s13, -1
	s_mov_b32 s36, exec_lo
                                        ; implicit-def: $sgpr34
	v_cmpx_eq_u16_e64 0x80, v147
; %bb.1695:                             ;   in Loop: Header=BB4_1455 Depth=3
	s_mov_b32 s34, 0x7f800001
	s_xor_b32 s13, exec_lo, -1
; %bb.1696:                             ;   in Loop: Header=BB4_1455 Depth=3
	s_or_b32 exec_lo, exec_lo, s36
	s_delay_alu instid0(SALU_CYCLE_1)
	s_and_b32 s13, s13, exec_lo
	s_or_saveexec_b32 s35, s35
	v_mov_b32_e32 v148, s34
	s_xor_b32 exec_lo, exec_lo, s35
	s_cbranch_execz .LBB4_1575
.LBB4_1697:                             ;   in Loop: Header=BB4_1455 Depth=3
	v_cmp_ne_u16_e64 vcc_lo, 0, v147
	v_mov_b32_e32 v148, 0
	s_and_not1_b32 s13, s13, exec_lo
	s_delay_alu instid0(VALU_DEP_2) | instskip(NEXT) | instid1(SALU_CYCLE_1)
	s_and_b32 vcc_lo, vcc_lo, exec_lo
	s_or_b32 s13, s13, vcc_lo
	s_or_b32 exec_lo, exec_lo, s35
	s_and_saveexec_b32 s34, s13
	s_cbranch_execnz .LBB4_1576
	s_branch .LBB4_1577
.LBB4_1698:                             ;   in Loop: Header=BB4_1455 Depth=3
	s_mov_b32 s13, -1
	s_mov_b32 s36, exec_lo
                                        ; implicit-def: $sgpr34
	v_cmpx_eq_u16_e64 0x80, v148
; %bb.1699:                             ;   in Loop: Header=BB4_1455 Depth=3
	s_mov_b32 s34, 0x7f800001
	s_xor_b32 s13, exec_lo, -1
; %bb.1700:                             ;   in Loop: Header=BB4_1455 Depth=3
	s_or_b32 exec_lo, exec_lo, s36
	s_delay_alu instid0(SALU_CYCLE_1)
	s_and_b32 s13, s13, exec_lo
	s_or_saveexec_b32 s35, s35
	v_mov_b32_e32 v149, s34
	s_xor_b32 exec_lo, exec_lo, s35
	s_cbranch_execz .LBB4_1587
.LBB4_1701:                             ;   in Loop: Header=BB4_1455 Depth=3
	v_cmp_ne_u16_e64 vcc_lo, 0, v148
	v_mov_b32_e32 v149, 0
	s_and_not1_b32 s13, s13, exec_lo
	s_delay_alu instid0(VALU_DEP_2) | instskip(NEXT) | instid1(SALU_CYCLE_1)
	s_and_b32 vcc_lo, vcc_lo, exec_lo
	s_or_b32 s13, s13, vcc_lo
	s_or_b32 exec_lo, exec_lo, s35
	s_and_saveexec_b32 s34, s13
	s_cbranch_execnz .LBB4_1588
	s_branch .LBB4_1589
.LBB4_1702:                             ;   in Loop: Header=BB4_1455 Depth=3
	s_mov_b32 s13, -1
	s_mov_b32 s36, exec_lo
                                        ; implicit-def: $sgpr34
	v_cmpx_eq_u16_e64 0x80, v149
; %bb.1703:                             ;   in Loop: Header=BB4_1455 Depth=3
	s_mov_b32 s34, 0x7f800001
	s_xor_b32 s13, exec_lo, -1
; %bb.1704:                             ;   in Loop: Header=BB4_1455 Depth=3
	s_or_b32 exec_lo, exec_lo, s36
	s_delay_alu instid0(SALU_CYCLE_1)
	s_and_b32 s13, s13, exec_lo
	s_or_saveexec_b32 s35, s35
	v_mov_b32_e32 v150, s34
	s_xor_b32 exec_lo, exec_lo, s35
	s_cbranch_execz .LBB4_1599
.LBB4_1705:                             ;   in Loop: Header=BB4_1455 Depth=3
	v_cmp_ne_u16_e64 vcc_lo, 0, v149
	v_mov_b32_e32 v150, 0
	s_and_not1_b32 s13, s13, exec_lo
	s_delay_alu instid0(VALU_DEP_2) | instskip(NEXT) | instid1(SALU_CYCLE_1)
	s_and_b32 vcc_lo, vcc_lo, exec_lo
	s_or_b32 s13, s13, vcc_lo
	s_or_b32 exec_lo, exec_lo, s35
	s_and_saveexec_b32 s34, s13
	s_cbranch_execnz .LBB4_1600
	s_branch .LBB4_1601
.LBB4_1706:                             ;   in Loop: Header=BB4_1455 Depth=3
	s_mov_b32 s13, -1
	s_mov_b32 s36, exec_lo
                                        ; implicit-def: $sgpr34
	v_cmpx_eq_u16_e64 0x80, v150
; %bb.1707:                             ;   in Loop: Header=BB4_1455 Depth=3
	s_mov_b32 s34, 0x7f800001
	s_xor_b32 s13, exec_lo, -1
; %bb.1708:                             ;   in Loop: Header=BB4_1455 Depth=3
	s_or_b32 exec_lo, exec_lo, s36
	s_delay_alu instid0(SALU_CYCLE_1)
	s_and_b32 s13, s13, exec_lo
	s_or_saveexec_b32 s35, s35
	v_mov_b32_e32 v151, s34
	s_xor_b32 exec_lo, exec_lo, s35
	s_cbranch_execz .LBB4_1611
.LBB4_1709:                             ;   in Loop: Header=BB4_1455 Depth=3
	v_cmp_ne_u16_e64 vcc_lo, 0, v150
	v_mov_b32_e32 v151, 0
	s_and_not1_b32 s13, s13, exec_lo
	s_delay_alu instid0(VALU_DEP_2) | instskip(NEXT) | instid1(SALU_CYCLE_1)
	s_and_b32 vcc_lo, vcc_lo, exec_lo
	s_or_b32 s13, s13, vcc_lo
	s_or_b32 exec_lo, exec_lo, s35
	s_and_saveexec_b32 s34, s13
	s_cbranch_execnz .LBB4_1612
	s_branch .LBB4_1613
.LBB4_1710:                             ;   in Loop: Header=BB4_1455 Depth=3
	s_mov_b32 s13, -1
	s_mov_b32 s36, exec_lo
                                        ; implicit-def: $sgpr34
	v_cmpx_eq_u16_e64 0x80, v151
; %bb.1711:                             ;   in Loop: Header=BB4_1455 Depth=3
	s_mov_b32 s34, 0x7f800001
	s_xor_b32 s13, exec_lo, -1
; %bb.1712:                             ;   in Loop: Header=BB4_1455 Depth=3
	s_or_b32 exec_lo, exec_lo, s36
	s_delay_alu instid0(SALU_CYCLE_1)
	s_and_b32 s13, s13, exec_lo
	s_or_saveexec_b32 s35, s35
	v_mov_b32_e32 v160, s34
	s_xor_b32 exec_lo, exec_lo, s35
	s_cbranch_execz .LBB4_1623
.LBB4_1713:                             ;   in Loop: Header=BB4_1455 Depth=3
	v_cmp_ne_u16_e64 vcc_lo, 0, v151
	v_mov_b32_e32 v160, 0
	s_and_not1_b32 s13, s13, exec_lo
	s_delay_alu instid0(VALU_DEP_2) | instskip(NEXT) | instid1(SALU_CYCLE_1)
	s_and_b32 vcc_lo, vcc_lo, exec_lo
	s_or_b32 s13, s13, vcc_lo
	s_or_b32 exec_lo, exec_lo, s35
	s_and_saveexec_b32 s34, s13
	s_cbranch_execnz .LBB4_1624
	s_branch .LBB4_1625
.LBB4_1714:                             ;   in Loop: Header=BB4_1455 Depth=3
	s_mov_b32 s13, -1
	s_mov_b32 s36, exec_lo
                                        ; implicit-def: $sgpr34
	v_cmpx_eq_u16_e64 0x80, v160
; %bb.1715:                             ;   in Loop: Header=BB4_1455 Depth=3
	s_mov_b32 s34, 0x7f800001
	s_xor_b32 s13, exec_lo, -1
; %bb.1716:                             ;   in Loop: Header=BB4_1455 Depth=3
	s_or_b32 exec_lo, exec_lo, s36
	s_delay_alu instid0(SALU_CYCLE_1)
	s_and_b32 s13, s13, exec_lo
	s_or_saveexec_b32 s35, s35
	v_mov_b32_e32 v161, s34
	s_xor_b32 exec_lo, exec_lo, s35
	s_cbranch_execz .LBB4_1635
.LBB4_1717:                             ;   in Loop: Header=BB4_1455 Depth=3
	v_cmp_ne_u16_e64 vcc_lo, 0, v160
	v_mov_b32_e32 v161, 0
	s_and_not1_b32 s13, s13, exec_lo
	s_delay_alu instid0(VALU_DEP_2) | instskip(NEXT) | instid1(SALU_CYCLE_1)
	s_and_b32 vcc_lo, vcc_lo, exec_lo
	s_or_b32 s13, s13, vcc_lo
	s_or_b32 exec_lo, exec_lo, s35
	s_and_saveexec_b32 s34, s13
	s_cbranch_execnz .LBB4_1636
	s_branch .LBB4_1637
.LBB4_1718:                             ;   in Loop: Header=BB4_1455 Depth=3
	s_mov_b32 s13, -1
	s_mov_b32 s36, exec_lo
                                        ; implicit-def: $sgpr34
	v_cmpx_eq_u16_e32 0x80, v52
; %bb.1719:                             ;   in Loop: Header=BB4_1455 Depth=3
	s_mov_b32 s34, 0x7f800001
	s_xor_b32 s13, exec_lo, -1
; %bb.1720:                             ;   in Loop: Header=BB4_1455 Depth=3
	s_or_b32 exec_lo, exec_lo, s36
	s_delay_alu instid0(SALU_CYCLE_1)
	s_and_b32 s13, s13, exec_lo
	s_or_saveexec_b32 s35, s35
	v_mov_b32_e32 v53, s34
	s_xor_b32 exec_lo, exec_lo, s35
	s_cbranch_execz .LBB4_1647
.LBB4_1721:                             ;   in Loop: Header=BB4_1455 Depth=3
	v_cmp_ne_u16_e32 vcc_lo, 0, v52
	v_mov_b32_e32 v53, 0
	s_and_not1_b32 s13, s13, exec_lo
	s_and_b32 vcc_lo, vcc_lo, exec_lo
	s_delay_alu instid0(SALU_CYCLE_1)
	s_or_b32 s13, s13, vcc_lo
	s_or_b32 exec_lo, exec_lo, s35
	s_and_saveexec_b32 s34, s13
	s_cbranch_execnz .LBB4_1648
	s_branch .LBB4_1649
.LBB4_1722:                             ;   in Loop: Header=BB4_59 Depth=2
	s_or_b32 exec_lo, exec_lo, s31
.LBB4_1723:                             ;   in Loop: Header=BB4_59 Depth=2
	s_delay_alu instid0(SALU_CYCLE_1) | instskip(SKIP_2) | instid1(VALU_DEP_1)
	s_or_b32 exec_lo, exec_lo, s30
	v_lshlrev_b32_e32 v8, 9, v64
	s_mov_b32 s30, exec_lo
	v_cmpx_ne_u32_e64 v55, v8
	s_cbranch_execz .LBB4_1754
; %bb.1724:                             ;   in Loop: Header=BB4_59 Depth=2
	v_ashrrev_i32_e32 v9, 31, v65
	v_lshlrev_b32_e32 v2, 5, v2
	s_delay_alu instid0(VALU_DEP_2) | instskip(NEXT) | instid1(VALU_DEP_1)
	v_lshrrev_b32_e32 v9, 27, v9
	v_add_nc_u32_e32 v9, v65, v9
	s_delay_alu instid0(VALU_DEP_1) | instskip(NEXT) | instid1(VALU_DEP_1)
	v_and_b32_e32 v9, 0xffffffe0, v9
	v_sub_nc_u32_e32 v9, v65, v9
	s_delay_alu instid0(VALU_DEP_1) | instskip(NEXT) | instid1(VALU_DEP_1)
	v_sub_nc_u32_e32 v2, v9, v2
	v_add_nc_u32_e32 v10, v8, v2
	s_delay_alu instid0(VALU_DEP_1) | instskip(NEXT) | instid1(VALU_DEP_1)
	v_sub_nc_u32_e32 v2, v55, v10
	v_cmp_lt_i32_e32 vcc_lo, 0, v2
	s_and_b32 exec_lo, exec_lo, vcc_lo
	s_cbranch_execz .LBB4_1754
; %bb.1725:                             ;   in Loop: Header=BB4_59 Depth=2
	s_cbranch_execz .LBB4_1726
; %bb.11521:
	s_getpc_b64 s[48:49]
.Lpost_getpc169:
	s_add_u32 s48, s48, (.LBB4_11127-.Lpost_getpc169)&4294967295
	s_addc_u32 s49, s49, (.LBB4_11127-.Lpost_getpc169)>>32
	s_setpc_b64 s[48:49]
.LBB4_1726:                             ;   in Loop: Header=BB4_59 Depth=2
	ds_load_b64 v[8:9], v0
	v_add_nc_u32_e32 v52, v10, v54
	s_mov_b32 s31, 0
	s_delay_alu instid0(VALU_DEP_1)
	v_ashrrev_i32_e32 v53, 31, v52
.LBB4_1727:                             ;   Parent Loop BB4_51 Depth=1
                                        ;     Parent Loop BB4_59 Depth=2
                                        ; =>    This Inner Loop Header: Depth=3
	s_cbranch_execz .LBB4_1728
; %bb.11523:
	s_getpc_b64 s[48:49]
.Lpost_getpc170:
	s_add_u32 s48, s48, (.LBB4_11129-.Lpost_getpc170)&4294967295
	s_addc_u32 s49, s49, (.LBB4_11129-.Lpost_getpc170)>>32
	s_setpc_b64 s[48:49]
.LBB4_1728:                             ;   in Loop: Header=BB4_1727 Depth=3
	ds_load_b64 v[10:11], v0
	s_waitcnt lgkmcnt(0)
	v_and_b32_e32 v11, 0xff, v10
	v_readfirstlane_b32 s13, v10
	s_delay_alu instid0(VALU_DEP_2)
	v_cmp_gt_i16_e32 vcc_lo, 0x80, v11
	s_cbranch_vccnz .LBB4_1732
; %bb.1729:                             ;   in Loop: Header=BB4_1727 Depth=3
	v_cmp_eq_u16_e32 vcc_lo, 0x80, v11
	s_mov_b32 s34, -1
                                        ; implicit-def: $sgpr35
	s_cbranch_vccz .LBB4_1731
; %bb.1730:                             ;   in Loop: Header=BB4_1727 Depth=3
	s_mov_b32 s34, 0
	s_mov_b32 s35, 0x7f800001
.LBB4_1731:                             ;   in Loop: Header=BB4_1727 Depth=3
	s_mov_b32 vcc_lo, 0
	s_branch .LBB4_1733
.LBB4_1732:                             ;   in Loop: Header=BB4_1727 Depth=3
	s_mov_b32 vcc_lo, -1
	s_mov_b32 s34, 0
                                        ; implicit-def: $sgpr35
.LBB4_1733:                             ;   in Loop: Header=BB4_1727 Depth=3
	s_and_b32 vcc_lo, exec_lo, vcc_lo
	s_cbranch_vccz .LBB4_1735
; %bb.1734:                             ;   in Loop: Header=BB4_1727 Depth=3
	v_cmp_ne_u16_e64 s34, 0, v11
	s_mov_b32 s35, 0
.LBB4_1735:                             ;   in Loop: Header=BB4_1727 Depth=3
	s_delay_alu instid0(SALU_CYCLE_1) | instskip(NEXT) | instid1(VALU_DEP_2)
	v_mov_b32_e32 v54, s35
	s_and_not1_b32 vcc_lo, exec_lo, s34
	s_cbranch_vccnz .LBB4_1737
; %bb.1736:                             ;   in Loop: Header=BB4_1727 Depth=3
	s_and_b32 vcc_lo, s13, 3
	s_bfe_u32 s35, s13, 0x50002
	s_clz_i32_u32 s34, vcc_lo
	v_lshlrev_b32_e32 v10, 24, v10
	s_min_u32 s34, s34, 32
	s_delay_alu instid0(SALU_CYCLE_1)
	s_sub_i32 s36, s34, 29
	s_sub_i32 s34, 30, s34
	s_lshl_b32 s13, s13, s36
	v_and_b32_e32 v10, 0x80000000, v10
	s_and_b32 s13, s13, 3
	s_cmp_eq_u32 s35, 0
	s_cselect_b32 s34, s34, s35
	s_cselect_b32 s13, s13, vcc_lo
	s_lshl_b32 vcc_lo, s34, 23
	s_lshl_b32 s13, s13, 21
	s_add_i32 vcc_lo, vcc_lo, 0x37800000
	s_delay_alu instid0(SALU_CYCLE_1) | instskip(NEXT) | instid1(VALU_DEP_1)
	v_or_b32_e32 v10, vcc_lo, v10
	v_or_b32_e32 v54, s13, v10
.LBB4_1737:                             ;   in Loop: Header=BB4_1727 Depth=3
	v_add_co_u32 v10, vcc_lo, v8, v52
	v_add_co_ci_u32_e32 v11, vcc_lo, v9, v53, vcc_lo
	s_mov_b32 s13, 0
	s_mov_b32 s35, exec_lo
                                        ; implicit-def: $sgpr34
	flat_load_u8 v55, v[10:11] slc dlc
	s_waitcnt vmcnt(0) lgkmcnt(0)
	v_cmpx_lt_i16_e32 0x7f, v55
	s_xor_b32 s35, exec_lo, s35
	s_cbranch_execnz .LBB4_1750
; %bb.1738:                             ;   in Loop: Header=BB4_1727 Depth=3
	s_or_saveexec_b32 s35, s35
	v_mov_b32_e32 v64, s34
	s_xor_b32 exec_lo, exec_lo, s35
	s_cbranch_execnz .LBB4_1753
.LBB4_1739:                             ;   in Loop: Header=BB4_1727 Depth=3
	s_or_b32 exec_lo, exec_lo, s35
	s_and_saveexec_b32 s34, s13
	s_cbranch_execz .LBB4_1741
.LBB4_1740:                             ;   in Loop: Header=BB4_1727 Depth=3
	v_and_b32_e32 v64, 0xffff, v55
	v_lshlrev_b32_e32 v55, 24, v55
	s_delay_alu instid0(VALU_DEP_2) | instskip(NEXT) | instid1(VALU_DEP_2)
	v_and_b32_e32 v65, 3, v64
	v_and_b32_e32 v55, 0x80000000, v55
	s_delay_alu instid0(VALU_DEP_2) | instskip(NEXT) | instid1(VALU_DEP_1)
	v_clz_i32_u32_e32 v68, v65
	v_min_u32_e32 v68, 32, v68
	s_delay_alu instid0(VALU_DEP_1) | instskip(SKIP_1) | instid1(VALU_DEP_2)
	v_subrev_nc_u32_e32 v69, 29, v68
	v_sub_nc_u32_e32 v68, 30, v68
	v_lshlrev_b32_e32 v69, v69, v64
	v_bfe_u32 v64, v64, 2, 5
	s_delay_alu instid0(VALU_DEP_1) | instskip(NEXT) | instid1(VALU_DEP_3)
	v_cmp_eq_u32_e32 vcc_lo, 0, v64
	v_dual_cndmask_b32 v64, v64, v68 :: v_dual_and_b32 v69, 3, v69
	s_delay_alu instid0(VALU_DEP_1) | instskip(NEXT) | instid1(VALU_DEP_2)
	v_cndmask_b32_e32 v65, v65, v69, vcc_lo
	v_lshl_add_u32 v64, v64, 23, 0x37800000
	s_delay_alu instid0(VALU_DEP_2) | instskip(NEXT) | instid1(VALU_DEP_1)
	v_lshlrev_b32_e32 v65, 21, v65
	v_or3_b32 v64, v55, v64, v65
.LBB4_1741:                             ;   in Loop: Header=BB4_1727 Depth=3
	s_or_b32 exec_lo, exec_lo, s34
	s_delay_alu instid0(VALU_DEP_1) | instskip(NEXT) | instid1(VALU_DEP_1)
	v_mul_f32_e32 v54, v54, v64
	v_and_b32_e32 v55, 0x7f800000, v54
	s_delay_alu instid0(VALU_DEP_1)
	v_cmp_ne_u32_e32 vcc_lo, 0x7f800000, v55
	v_mov_b32_e32 v55, 0x80
	s_and_saveexec_b32 s34, vcc_lo
	s_cbranch_execz .LBB4_1749
; %bb.1742:                             ;   in Loop: Header=BB4_1727 Depth=3
	v_mov_b32_e32 v55, 0
	s_mov_b32 s35, exec_lo
	v_cmpx_ne_u32_e32 0, v54
	s_cbranch_execz .LBB4_1748
; %bb.1743:                             ;   in Loop: Header=BB4_1727 Depth=3
	v_bfe_u32 v55, v54, 23, 8
	s_delay_alu instid0(VALU_DEP_1) | instskip(SKIP_1) | instid1(VALU_DEP_2)
	v_sub_nc_u32_e32 v65, 0x70, v55
	v_cmp_gt_u32_e32 vcc_lo, 0x71, v55
	v_dual_cndmask_b32 v65, 0, v65 :: v_dual_and_b32 v64, 0x7fffff, v54
	s_delay_alu instid0(VALU_DEP_1) | instskip(SKIP_2) | instid1(VALU_DEP_4)
	v_or_b32_e32 v68, 0x800000, v64
	v_cmp_eq_u32_e32 vcc_lo, 0, v55
	v_add_nc_u32_e32 v55, 0xffffff91, v55
	v_cndmask_b32_e64 v65, v65, 0x6f, vcc_lo
	s_delay_alu instid0(VALU_DEP_4) | instskip(NEXT) | instid1(VALU_DEP_3)
	v_cndmask_b32_e32 v64, v68, v64, vcc_lo
	v_cndmask_b32_e64 v55, v55, 0xffffff92, vcc_lo
	s_delay_alu instid0(VALU_DEP_3) | instskip(NEXT) | instid1(VALU_DEP_3)
	v_lshl_add_u32 v68, 0x200000, v65, -1
	v_lshrrev_b32_e32 v69, v65, v64
	v_lshlrev_b32_e64 v130, v65, 0x100000
	s_delay_alu instid0(VALU_DEP_4) | instskip(NEXT) | instid1(VALU_DEP_4)
	v_add_nc_u32_e32 v65, v65, v55
	v_and_b32_e32 v64, v68, v64
	s_delay_alu instid0(VALU_DEP_4) | instskip(NEXT) | instid1(VALU_DEP_2)
	v_bfe_u32 v129, v69, 21, 1
	v_cmp_eq_u32_e64 s13, v64, v130
	s_delay_alu instid0(VALU_DEP_2) | instskip(NEXT) | instid1(VALU_DEP_1)
	v_add_nc_u32_e32 v68, -1, v129
	v_cndmask_b32_e64 v64, 0, v68, s13
	v_lshrrev_b32_e32 v68, 23, v69
	s_mov_b32 s13, exec_lo
	s_delay_alu instid0(VALU_DEP_2) | instskip(NEXT) | instid1(VALU_DEP_2)
	v_add_nc_u32_e32 v64, v64, v69
	v_xor_b32_e32 v68, 1, v68
	s_delay_alu instid0(VALU_DEP_2) | instskip(NEXT) | instid1(VALU_DEP_1)
	v_and_b32_e32 v55, 0x1fffff, v64
	v_add_nc_u32_e32 v64, v55, v69
                                        ; implicit-def: $vgpr55
	s_delay_alu instid0(VALU_DEP_3)
	v_cmpx_ne_u32_e64 v65, v68
	s_xor_b32 s13, exec_lo, s13
; %bb.1744:                             ;   in Loop: Header=BB4_1727 Depth=3
	s_delay_alu instid0(VALU_DEP_2) | instskip(SKIP_2) | instid1(VALU_DEP_2)
	v_cmp_lt_u32_e32 vcc_lo, 0xffffff, v64
	v_sub_nc_u32_e32 v55, v65, v68
	v_cndmask_b32_e64 v65, 0, 1, vcc_lo
	v_add_co_ci_u32_e32 v55, vcc_lo, 0, v55, vcc_lo
	s_delay_alu instid0(VALU_DEP_2)
	v_lshrrev_b32_e32 v64, v65, v64
; %bb.1745:                             ;   in Loop: Header=BB4_1727 Depth=3
	s_and_not1_saveexec_b32 s13, s13
; %bb.1746:                             ;   in Loop: Header=BB4_1727 Depth=3
	s_delay_alu instid0(VALU_DEP_1)
	v_bfe_u32 v55, v64, 23, 1
; %bb.1747:                             ;   in Loop: Header=BB4_1727 Depth=3
	s_or_b32 exec_lo, exec_lo, s13
	v_lshrrev_b32_e32 v64, 21, v64
	s_delay_alu instid0(VALU_DEP_2) | instskip(SKIP_2) | instid1(VALU_DEP_2)
	v_cmp_gt_i32_e32 vcc_lo, 32, v55
	v_min_i32_e32 v65, 31, v55
	v_lshrrev_b32_e32 v54, 24, v54
	v_dual_cndmask_b32 v64, 3, v64 :: v_dual_lshlrev_b32 v65, 2, v65
	s_delay_alu instid0(VALU_DEP_2) | instskip(NEXT) | instid1(VALU_DEP_2)
	v_and_b32_e32 v54, 0x80, v54
	v_or_b32_e32 v55, v55, v64
	s_delay_alu instid0(VALU_DEP_1) | instskip(SKIP_1) | instid1(VALU_DEP_1)
	v_cmp_ne_u32_e32 vcc_lo, 0, v55
	v_and_b32_e32 v68, 3, v64
	v_or3_b32 v54, v65, v54, v68
	s_delay_alu instid0(VALU_DEP_1)
	v_cndmask_b32_e32 v55, 0, v54, vcc_lo
.LBB4_1748:                             ;   in Loop: Header=BB4_1727 Depth=3
	s_or_b32 exec_lo, exec_lo, s35
.LBB4_1749:                             ;   in Loop: Header=BB4_1727 Depth=3
	s_delay_alu instid0(SALU_CYCLE_1) | instskip(SKIP_2) | instid1(VALU_DEP_1)
	s_or_b32 exec_lo, exec_lo, s34
	v_sub_nc_u32_e32 v2, v2, v82
	v_add_co_u32 v52, s13, v52, v112
	v_add_co_ci_u32_e64 v53, s13, v53, v113, s13
	s_delay_alu instid0(VALU_DEP_3) | instskip(SKIP_2) | instid1(SALU_CYCLE_1)
	v_cmp_gt_i32_e32 vcc_lo, 1, v2
	flat_store_b8 v[10:11], v55 glc slc dlc
	s_or_b32 s31, vcc_lo, s31
	s_and_not1_b32 exec_lo, exec_lo, s31
	s_cbranch_execnz .LBB4_1727
	s_branch .LBB4_1754
.LBB4_1750:                             ;   in Loop: Header=BB4_1727 Depth=3
	s_mov_b32 s13, -1
	s_mov_b32 s36, exec_lo
                                        ; implicit-def: $sgpr34
	v_cmpx_eq_u16_e32 0x80, v55
; %bb.1751:                             ;   in Loop: Header=BB4_1727 Depth=3
	s_mov_b32 s34, 0x7f800001
	s_xor_b32 s13, exec_lo, -1
; %bb.1752:                             ;   in Loop: Header=BB4_1727 Depth=3
	s_or_b32 exec_lo, exec_lo, s36
	s_delay_alu instid0(SALU_CYCLE_1)
	s_and_b32 s13, s13, exec_lo
	s_or_saveexec_b32 s35, s35
	v_mov_b32_e32 v64, s34
	s_xor_b32 exec_lo, exec_lo, s35
	s_cbranch_execz .LBB4_1739
.LBB4_1753:                             ;   in Loop: Header=BB4_1727 Depth=3
	v_cmp_ne_u16_e32 vcc_lo, 0, v55
	v_mov_b32_e32 v64, 0
	s_and_not1_b32 s13, s13, exec_lo
	s_and_b32 vcc_lo, vcc_lo, exec_lo
	s_delay_alu instid0(SALU_CYCLE_1)
	s_or_b32 s13, s13, vcc_lo
	s_or_b32 exec_lo, exec_lo, s35
	s_and_saveexec_b32 s34, s13
	s_cbranch_execnz .LBB4_1740
	s_branch .LBB4_1741
.LBB4_1754:                             ;   in Loop: Header=BB4_59 Depth=2
	s_or_b32 exec_lo, exec_lo, s30
.LBB4_1755:                             ;   in Loop: Header=BB4_59 Depth=2
	s_delay_alu instid0(SALU_CYCLE_1)
	s_or_b32 exec_lo, exec_lo, s14
	v_readlane_b32 s35, v122, 5
	v_readlane_b32 s34, v122, 4
	;; [unrolled: 1-line block ×6, first 2 shown]
.LBB4_1756:                             ;   in Loop: Header=BB4_59 Depth=2
	s_and_saveexec_b32 s13, s3
	s_cbranch_execz .LBB4_1778
; %bb.1757:                             ;   in Loop: Header=BB4_59 Depth=2
	s_and_saveexec_b32 vcc_lo, s4
	s_delay_alu instid0(SALU_CYCLE_1)
	s_xor_b32 s37, exec_lo, vcc_lo
	s_cbranch_execz .LBB4_1775
; %bb.1758:                             ;   in Loop: Header=BB4_59 Depth=2
	s_and_saveexec_b32 s38, s1
	s_cbranch_execz .LBB4_1774
; %bb.1759:                             ;   in Loop: Header=BB4_59 Depth=2
	s_mov_b32 s40, exec_lo
	s_mov_b32 s39, exec_lo
	v_mbcnt_lo_u32_b32 v2, s40, 0
	s_waitcnt lgkmcnt(0)
	s_waitcnt_vscnt null, 0x0
	buffer_gl1_inv
	buffer_gl0_inv
	v_cmpx_eq_u32_e32 0, v2
	s_cbranch_execz .LBB4_1761
; %bb.1760:                             ;   in Loop: Header=BB4_59 Depth=2
	s_bcnt1_i32_b32 vcc_lo, s40
	s_delay_alu instid0(SALU_CYCLE_1)
	v_mov_b32_e32 v2, vcc_lo
	ds_add_u64 v0, v[2:3]
	s_cbranch_execz .LBB4_1761
; %bb.11525:
	s_getpc_b64 s[48:49]
.Lpost_getpc171:
	s_add_u32 s48, s48, (.LBB4_11085-.Lpost_getpc171)&4294967295
	s_addc_u32 s49, s49, (.LBB4_11085-.Lpost_getpc171)>>32
	s_setpc_b64 s[48:49]
.LBB4_1761:                             ;   in Loop: Header=BB4_59 Depth=2
	s_or_b32 exec_lo, exec_lo, s39
	s_cbranch_execz .LBB4_1762
; %bb.11527:
	s_getpc_b64 s[48:49]
.Lpost_getpc172:
	s_add_u32 s48, s48, (.LBB4_11059-.Lpost_getpc172)&4294967295
	s_addc_u32 s49, s49, (.LBB4_11059-.Lpost_getpc172)>>32
	s_setpc_b64 s[48:49]
.LBB4_1762:                             ;   in Loop: Header=BB4_59 Depth=2
	ds_load_b64 v[8:9], v0
	v_add_co_u32 v32, vcc_lo, v32, v81
	v_add_co_ci_u32_e32 v33, vcc_lo, 0, v33, vcc_lo
	s_mov_b32 s39, exec_lo
	s_waitcnt lgkmcnt(0)
	s_delay_alu instid0(VALU_DEP_1)
	v_cmpx_lt_u64_e64 v[8:9], v[32:33]
	s_cbranch_execz .LBB4_1773
; %bb.1763:                             ;   in Loop: Header=BB4_59 Depth=2
	s_mov_b32 s40, 0
	s_mov_b32 s43, 0
                                        ; implicit-def: $sgpr41
                                        ; implicit-def: $sgpr42
	s_branch .LBB4_1765
.LBB4_1764:                             ;   in Loop: Header=BB4_1765 Depth=3
	s_or_b32 exec_lo, exec_lo, s45
	s_delay_alu instid0(SALU_CYCLE_1) | instskip(NEXT) | instid1(SALU_CYCLE_1)
	s_and_b32 vcc_lo, exec_lo, vcc_lo
	s_or_b32 s40, vcc_lo, s40
	s_and_not1_b32 vcc_lo, s41, exec_lo
	s_and_b32 s41, s42, exec_lo
	s_delay_alu instid0(SALU_CYCLE_1)
	s_or_b32 s41, vcc_lo, s41
	s_and_not1_b32 exec_lo, exec_lo, s40
	s_cbranch_execz .LBB4_1771
.LBB4_1765:                             ;   Parent Loop BB4_51 Depth=1
                                        ;     Parent Loop BB4_59 Depth=2
                                        ; =>    This Inner Loop Header: Depth=3
	s_add_i32 s43, s43, 1
                                        ; implicit-def: $sgpr45
	s_delay_alu instid0(SALU_CYCLE_1) | instskip(SKIP_1) | instid1(SALU_CYCLE_1)
	s_cmpk_lg_i32 s43, 0x2710
	s_cselect_b32 s44, -1, 0
	s_and_b32 vcc_lo, exec_lo, s44
	s_cbranch_vccz .LBB4_1769
.LBB4_1766:                             ;   in Loop: Header=BB4_1765 Depth=3
	s_and_not1_b32 s42, s42, exec_lo
	s_and_b32 s45, s45, exec_lo
	s_mov_b32 vcc_lo, -1
	s_or_b32 s42, s42, s45
	s_and_saveexec_b32 s45, s44
	s_cbranch_execz .LBB4_1764
; %bb.1767:                             ;   in Loop: Header=BB4_1765 Depth=3
	s_sleep 1
	s_cbranch_execz .LBB4_1768
; %bb.11529:
	s_getpc_b64 s[48:49]
.Lpost_getpc173:
	s_add_u32 s48, s48, (.LBB4_11133-.Lpost_getpc173)&4294967295
	s_addc_u32 s49, s49, (.LBB4_11133-.Lpost_getpc173)>>32
	s_setpc_b64 s[48:49]
.LBB4_1768:                             ;   in Loop: Header=BB4_1765 Depth=3
	ds_load_b64 v[8:9], v0
	s_and_not1_b32 s42, s42, exec_lo
	s_waitcnt lgkmcnt(0)
	v_cmp_ge_u64_e32 vcc_lo, v[8:9], v[32:33]
	s_or_not1_b32 vcc_lo, vcc_lo, exec_lo
	s_branch .LBB4_1764
.LBB4_1769:                             ;   in Loop: Header=BB4_1765 Depth=3
	s_cbranch_execz .LBB4_1770
; %bb.11531:
	s_getpc_b64 s[48:49]
.Lpost_getpc174:
	s_add_u32 s48, s48, (.LBB4_11153-.Lpost_getpc174)&4294967295
	s_addc_u32 s49, s49, (.LBB4_11153-.Lpost_getpc174)>>32
	s_setpc_b64 s[48:49]
.LBB4_1770:                             ;   in Loop: Header=BB4_1765 Depth=3
	ds_load_b64 v[8:9], v0
	s_and_not1_b32 s44, s44, exec_lo
	s_mov_b32 s43, 0
	s_mov_b32 s45, -1
	s_waitcnt lgkmcnt(0)
	flat_load_b32 v2, v[8:9] glc
	s_waitcnt vmcnt(0) lgkmcnt(0)
	buffer_gl1_inv
	buffer_gl0_inv
	v_cmp_eq_u32_e32 vcc_lo, 0, v2
	s_and_b32 vcc_lo, vcc_lo, exec_lo
	s_delay_alu instid0(SALU_CYCLE_1)
	s_or_b32 s44, s44, vcc_lo
	s_branch .LBB4_1766
.LBB4_1771:                             ;   in Loop: Header=BB4_59 Depth=2
	s_or_b32 exec_lo, exec_lo, s40
	s_and_saveexec_b32 vcc_lo, s41
	s_delay_alu instid0(SALU_CYCLE_1)
	s_xor_b32 vcc_lo, exec_lo, vcc_lo
	s_cbranch_execz .LBB4_1773
; %bb.1772:                             ;   in Loop: Header=BB4_59 Depth=2
	ds_store_b32 v0, v118
	s_cbranch_execz .LBB4_1773
; %bb.11533:
	s_getpc_b64 s[48:49]
.Lpost_getpc175:
	s_add_u32 s48, s48, (.LBB4_11371-.Lpost_getpc175)&4294967295
	s_addc_u32 s49, s49, (.LBB4_11371-.Lpost_getpc175)>>32
	s_setpc_b64 s[48:49]
.LBB4_1773:                             ;   in Loop: Header=BB4_59 Depth=2
	s_or_b32 exec_lo, exec_lo, s39
	;;#ASMSTART
	s_wakeup
	;;#ASMEND
.LBB4_1774:                             ;   in Loop: Header=BB4_59 Depth=2
	s_or_b32 exec_lo, exec_lo, s38
.LBB4_1775:                             ;   in Loop: Header=BB4_59 Depth=2
	s_and_not1_saveexec_b32 vcc_lo, s37
	s_cbranch_execz .LBB4_1777
; %bb.1776:                             ;   in Loop: Header=BB4_59 Depth=2
	s_waitcnt lgkmcnt(0)
	s_waitcnt_vscnt null, 0x0
	buffer_gl1_inv
	buffer_gl0_inv
	s_barrier
.LBB4_1777:                             ;   in Loop: Header=BB4_59 Depth=2
	s_or_b32 exec_lo, exec_lo, vcc_lo
.LBB4_1778:                             ;   in Loop: Header=BB4_59 Depth=2
	s_delay_alu instid0(SALU_CYCLE_1) | instskip(SKIP_1) | instid1(SALU_CYCLE_1)
	s_or_b32 exec_lo, exec_lo, s13
                                        ; implicit-def: $vgpr2
	s_and_saveexec_b32 s13, s7
	s_xor_b32 s37, exec_lo, s13
	s_cbranch_execz .LBB4_1782
; %bb.1779:                             ;   in Loop: Header=BB4_59 Depth=2
	v_and_b32_e32 v2, 16, v30
	v_cmp_lt_i32_e32 vcc_lo, 0, v13
	s_delay_alu instid0(VALU_DEP_2) | instskip(SKIP_1) | instid1(VALU_DEP_2)
	v_cmp_ne_u32_e64 s13, 0, v2
	v_and_b32_e32 v2, 16, v30
	s_and_b32 vcc_lo, s13, vcc_lo
	s_delay_alu instid0(SALU_CYCLE_1)
	s_and_saveexec_b32 s13, vcc_lo
	s_cbranch_execz .LBB4_1781
; %bb.1780:                             ;   in Loop: Header=BB4_59 Depth=2
	v_mov_b32_e32 v2, 1
	s_waitcnt lgkmcnt(0)
	s_waitcnt_vscnt null, 0x0
	buffer_gl1_inv
	buffer_gl0_inv
.LBB4_1781:                             ;   in Loop: Header=BB4_59 Depth=2
	s_or_b32 exec_lo, exec_lo, s13
.LBB4_1782:                             ;   in Loop: Header=BB4_59 Depth=2
	s_and_not1_saveexec_b32 s13, s37
	s_cbranch_execz .LBB4_1804
; %bb.1783:                             ;   in Loop: Header=BB4_59 Depth=2
	s_and_saveexec_b32 vcc_lo, s4
	s_delay_alu instid0(SALU_CYCLE_1)
	s_xor_b32 s37, exec_lo, vcc_lo
	s_cbranch_execz .LBB4_1801
; %bb.1784:                             ;   in Loop: Header=BB4_59 Depth=2
	s_and_saveexec_b32 s38, s1
	s_cbranch_execz .LBB4_1800
; %bb.1785:                             ;   in Loop: Header=BB4_59 Depth=2
	s_mov_b32 s40, exec_lo
	s_mov_b32 s39, exec_lo
	v_mbcnt_lo_u32_b32 v2, s40, 0
	;;#ASMSTART
	s_waitcnt lgkmcnt(0) vmcnt(0)
	;;#ASMEND
	s_delay_alu instid0(VALU_DEP_1)
	v_cmpx_eq_u32_e32 0, v2
	s_cbranch_execz .LBB4_1787
; %bb.1786:                             ;   in Loop: Header=BB4_59 Depth=2
	s_bcnt1_i32_b32 vcc_lo, s40
	s_delay_alu instid0(SALU_CYCLE_1)
	v_mov_b32_e32 v2, vcc_lo
	ds_add_u64 v0, v[2:3]
	s_cbranch_execz .LBB4_1787
; %bb.11535:
	s_getpc_b64 s[48:49]
.Lpost_getpc176:
	s_add_u32 s48, s48, (.LBB4_11091-.Lpost_getpc176)&4294967295
	s_addc_u32 s49, s49, (.LBB4_11091-.Lpost_getpc176)>>32
	s_setpc_b64 s[48:49]
.LBB4_1787:                             ;   in Loop: Header=BB4_59 Depth=2
	s_or_b32 exec_lo, exec_lo, s39
	s_cbranch_execz .LBB4_1788
; %bb.11537:
	s_getpc_b64 s[48:49]
.Lpost_getpc177:
	s_add_u32 s48, s48, (.LBB4_11069-.Lpost_getpc177)&4294967295
	s_addc_u32 s49, s49, (.LBB4_11069-.Lpost_getpc177)>>32
	s_setpc_b64 s[48:49]
.LBB4_1788:                             ;   in Loop: Header=BB4_59 Depth=2
	ds_load_b64 v[8:9], v0
	v_add_co_u32 v32, vcc_lo, v32, v81
	v_add_co_ci_u32_e32 v33, vcc_lo, 0, v33, vcc_lo
	s_mov_b32 s39, exec_lo
	s_waitcnt lgkmcnt(0)
	s_delay_alu instid0(VALU_DEP_1)
	v_cmpx_lt_u64_e64 v[8:9], v[32:33]
	s_cbranch_execz .LBB4_1799
; %bb.1789:                             ;   in Loop: Header=BB4_59 Depth=2
	s_mov_b32 s40, 0
	s_mov_b32 s43, 0
                                        ; implicit-def: $sgpr41
                                        ; implicit-def: $sgpr42
	s_branch .LBB4_1791
.LBB4_1790:                             ;   in Loop: Header=BB4_1791 Depth=3
	s_or_b32 exec_lo, exec_lo, s45
	s_delay_alu instid0(SALU_CYCLE_1) | instskip(NEXT) | instid1(SALU_CYCLE_1)
	s_and_b32 vcc_lo, exec_lo, vcc_lo
	s_or_b32 s40, vcc_lo, s40
	s_and_not1_b32 vcc_lo, s41, exec_lo
	s_and_b32 s41, s42, exec_lo
	s_delay_alu instid0(SALU_CYCLE_1)
	s_or_b32 s41, vcc_lo, s41
	s_and_not1_b32 exec_lo, exec_lo, s40
	s_cbranch_execz .LBB4_1797
.LBB4_1791:                             ;   Parent Loop BB4_51 Depth=1
                                        ;     Parent Loop BB4_59 Depth=2
                                        ; =>    This Inner Loop Header: Depth=3
	s_add_i32 s43, s43, 1
                                        ; implicit-def: $sgpr45
	s_delay_alu instid0(SALU_CYCLE_1) | instskip(SKIP_1) | instid1(SALU_CYCLE_1)
	s_cmpk_lg_i32 s43, 0x2710
	s_cselect_b32 s44, -1, 0
	s_and_b32 vcc_lo, exec_lo, s44
	s_cbranch_vccz .LBB4_1795
.LBB4_1792:                             ;   in Loop: Header=BB4_1791 Depth=3
	s_and_not1_b32 s42, s42, exec_lo
	s_and_b32 s45, s45, exec_lo
	s_mov_b32 vcc_lo, -1
	s_or_b32 s42, s42, s45
	s_and_saveexec_b32 s45, s44
	s_cbranch_execz .LBB4_1790
; %bb.1793:                             ;   in Loop: Header=BB4_1791 Depth=3
	s_sleep 1
	s_cbranch_execz .LBB4_1794
; %bb.11539:
	s_getpc_b64 s[48:49]
.Lpost_getpc178:
	s_add_u32 s48, s48, (.LBB4_11139-.Lpost_getpc178)&4294967295
	s_addc_u32 s49, s49, (.LBB4_11139-.Lpost_getpc178)>>32
	s_setpc_b64 s[48:49]
.LBB4_1794:                             ;   in Loop: Header=BB4_1791 Depth=3
	ds_load_b64 v[8:9], v0
	s_and_not1_b32 s42, s42, exec_lo
	s_waitcnt lgkmcnt(0)
	v_cmp_ge_u64_e32 vcc_lo, v[8:9], v[32:33]
	s_or_not1_b32 vcc_lo, vcc_lo, exec_lo
	s_branch .LBB4_1790
.LBB4_1795:                             ;   in Loop: Header=BB4_1791 Depth=3
	s_cbranch_execz .LBB4_1796
; %bb.11541:
	s_getpc_b64 s[48:49]
.Lpost_getpc179:
	s_add_u32 s48, s48, (.LBB4_11159-.Lpost_getpc179)&4294967295
	s_addc_u32 s49, s49, (.LBB4_11159-.Lpost_getpc179)>>32
	s_setpc_b64 s[48:49]
.LBB4_1796:                             ;   in Loop: Header=BB4_1791 Depth=3
	ds_load_b64 v[8:9], v0
	s_and_not1_b32 s44, s44, exec_lo
	s_mov_b32 s43, 0
	s_mov_b32 s45, -1
	s_waitcnt lgkmcnt(0)
	s_waitcnt_vscnt null, 0x0
	flat_load_b32 v2, v[8:9] glc
	s_waitcnt vmcnt(0) lgkmcnt(0)
	buffer_gl1_inv
	buffer_gl0_inv
	v_cmp_eq_u32_e32 vcc_lo, 0, v2
	s_and_b32 vcc_lo, vcc_lo, exec_lo
	s_delay_alu instid0(SALU_CYCLE_1)
	s_or_b32 s44, s44, vcc_lo
	s_branch .LBB4_1792
.LBB4_1797:                             ;   in Loop: Header=BB4_59 Depth=2
	s_or_b32 exec_lo, exec_lo, s40
	s_and_saveexec_b32 vcc_lo, s41
	s_delay_alu instid0(SALU_CYCLE_1)
	s_xor_b32 vcc_lo, exec_lo, vcc_lo
	s_cbranch_execz .LBB4_1799
; %bb.1798:                             ;   in Loop: Header=BB4_59 Depth=2
	ds_store_b32 v0, v118
	s_cbranch_execz .LBB4_1799
; %bb.11543:
	s_getpc_b64 s[48:49]
.Lpost_getpc180:
	s_add_u32 s48, s48, (.LBB4_11373-.Lpost_getpc180)&4294967295
	s_addc_u32 s49, s49, (.LBB4_11373-.Lpost_getpc180)>>32
	s_setpc_b64 s[48:49]
.LBB4_1799:                             ;   in Loop: Header=BB4_59 Depth=2
	s_or_b32 exec_lo, exec_lo, s39
	;;#ASMSTART
	s_wakeup
	;;#ASMEND
.LBB4_1800:                             ;   in Loop: Header=BB4_59 Depth=2
	s_or_b32 exec_lo, exec_lo, s38
.LBB4_1801:                             ;   in Loop: Header=BB4_59 Depth=2
	s_and_not1_saveexec_b32 vcc_lo, s37
	s_cbranch_execz .LBB4_1803
; %bb.1802:                             ;   in Loop: Header=BB4_59 Depth=2
	;;#ASMSTART
	s_waitcnt lgkmcnt(0) vmcnt(0)
	;;#ASMEND
	s_waitcnt lgkmcnt(0)
	s_waitcnt_vscnt null, 0x0
	s_barrier
.LBB4_1803:                             ;   in Loop: Header=BB4_59 Depth=2
	s_or_b32 exec_lo, exec_lo, vcc_lo
	v_and_b32_e32 v2, 16, v30
.LBB4_1804:                             ;   in Loop: Header=BB4_59 Depth=2
	s_or_b32 exec_lo, exec_lo, s13
	s_delay_alu instid0(SALU_CYCLE_1) | instskip(NEXT) | instid1(VALU_DEP_1)
	s_mov_b32 s13, exec_lo
	v_cmpx_ne_u32_e32 0, v2
	s_cbranch_execz .LBB4_1808
; %bb.1805:                             ;   in Loop: Header=BB4_59 Depth=2
	s_and_saveexec_b32 vcc_lo, s11
	s_cbranch_execz .LBB4_1807
; %bb.1806:                             ;   in Loop: Header=BB4_59 Depth=2
	s_waitcnt lgkmcnt(0)
	s_waitcnt_vscnt null, 0x0
	flat_store_b32 v[28:29], v118
.LBB4_1807:                             ;   in Loop: Header=BB4_59 Depth=2
	s_or_b32 exec_lo, exec_lo, vcc_lo
	v_add_co_u32 v24, vcc_lo, v24, 2
	v_add_co_ci_u32_e32 v25, vcc_lo, 0, v25, vcc_lo
	s_waitcnt lgkmcnt(0)
	s_waitcnt_vscnt null, 0x0
	flat_store_b64 v[22:23], v[24:25]
.LBB4_1808:                             ;   in Loop: Header=BB4_59 Depth=2
	s_or_b32 exec_lo, exec_lo, s13
	v_dual_mov_b32 v2, s36 :: v_dual_add_nc_u32 v67, v12, v67
	s_xor_b32 s13, s17, -1
	s_mov_b32 s17, 0
	s_mov_b32 s36, 2
	s_delay_alu instid0(VALU_DEP_1) | instskip(SKIP_1) | instid1(SALU_CYCLE_1)
	v_cmp_ge_i32_e32 vcc_lo, v67, v66
	s_or_b32 s13, s13, vcc_lo
	s_and_b32 s13, exec_lo, s13
	s_delay_alu instid0(SALU_CYCLE_1) | instskip(NEXT) | instid1(SALU_CYCLE_1)
	s_or_b32 s16, s13, s16
	s_and_not1_b32 exec_lo, exec_lo, s16
	s_cbranch_execnz .LBB4_59
; %bb.1809:                             ;   in Loop: Header=BB4_51 Depth=1
	s_or_b32 exec_lo, exec_lo, s16
.LBB4_1810:                             ;   in Loop: Header=BB4_51 Depth=1
	s_delay_alu instid0(SALU_CYCLE_1) | instskip(NEXT) | instid1(SALU_CYCLE_1)
	s_or_b32 exec_lo, exec_lo, s15
	s_mov_b32 s15, exec_lo
	v_cmpx_gt_i32_e32 2, v2
	s_cbranch_execz .LBB4_1891
; %bb.1811:                             ;   in Loop: Header=BB4_51 Depth=1
	v_cmp_eq_u32_e64 s13, 0, v2
	s_mov_b32 s16, 0
.LBB4_1812:                             ;   Parent Loop BB4_51 Depth=1
                                        ; =>  This Loop Header: Depth=2
                                        ;       Child Loop BB4_1818 Depth 3
                                        ;       Child Loop BB4_1845 Depth 3
	;; [unrolled: 1-line block ×3, first 2 shown]
	v_and_b32_e32 v2, 8, v30
	s_mov_b32 s36, -1
	s_mov_b32 s17, exec_lo
	s_delay_alu instid0(VALU_DEP_1)
	v_cmpx_ne_u32_e32 0, v2
	s_cbranch_execz .LBB4_1826
; %bb.1813:                             ;   in Loop: Header=BB4_1812 Depth=2
	v_add_co_u32 v10, vcc_lo, v34, 8
	v_add_co_ci_u32_e32 v11, vcc_lo, 0, v35, vcc_lo
	v_add_co_u32 v8, vcc_lo, v24, 2
	v_add_co_ci_u32_e32 v9, vcc_lo, 0, v25, vcc_lo
	v_mov_b32_e32 v2, 1
	s_mov_b32 s36, exec_lo
	s_delay_alu instid0(VALU_DEP_2)
	v_cmpx_lt_u64_e64 v[10:11], v[8:9]
	s_cbranch_execz .LBB4_1825
; %bb.1814:                             ;   in Loop: Header=BB4_1812 Depth=2
	v_mov_b32_e32 v2, 0
	s_mov_b32 s37, 0
                                        ; implicit-def: $sgpr38
	s_branch .LBB4_1818
.LBB4_1815:                             ;   in Loop: Header=BB4_1818 Depth=3
	s_or_b32 exec_lo, exec_lo, s42
	v_mov_b32_e32 v10, 0
	s_or_not1_b32 s41, s41, exec_lo
.LBB4_1816:                             ;   in Loop: Header=BB4_1818 Depth=3
	s_or_b32 exec_lo, exec_lo, s40
	s_delay_alu instid0(VALU_DEP_1) | instskip(SKIP_2) | instid1(SALU_CYCLE_1)
	v_mov_b32_e32 v2, v10
	s_and_not1_b32 vcc_lo, s38, exec_lo
	s_and_b32 s38, s41, exec_lo
	s_or_b32 s38, vcc_lo, s38
.LBB4_1817:                             ;   in Loop: Header=BB4_1818 Depth=3
	s_or_b32 exec_lo, exec_lo, s39
	s_waitcnt vmcnt(0) lgkmcnt(0)
	v_add_co_u32 v10, vcc_lo, v34, 8
	v_add_co_ci_u32_e32 v11, vcc_lo, 0, v35, vcc_lo
	s_xor_b32 s39, s38, -1
	s_delay_alu instid0(VALU_DEP_1) | instskip(SKIP_1) | instid1(SALU_CYCLE_1)
	v_cmp_ge_u64_e32 vcc_lo, v[10:11], v[8:9]
	s_or_b32 vcc_lo, s39, vcc_lo
	s_and_b32 vcc_lo, exec_lo, vcc_lo
	s_delay_alu instid0(SALU_CYCLE_1) | instskip(NEXT) | instid1(SALU_CYCLE_1)
	s_or_b32 s37, vcc_lo, s37
	s_and_not1_b32 exec_lo, exec_lo, s37
	s_cbranch_execz .LBB4_1824
.LBB4_1818:                             ;   Parent Loop BB4_51 Depth=1
                                        ;     Parent Loop BB4_1812 Depth=2
                                        ; =>    This Inner Loop Header: Depth=3
	s_sleep 1
	flat_load_b64 v[34:35], v[22:23] glc
	v_and_b32_e32 v10, 64, v30
	s_and_not1_b32 s38, s38, exec_lo
	s_mov_b32 s39, exec_lo
	s_delay_alu instid0(VALU_DEP_1)
	v_cmpx_eq_u32_e32 0, v10
	s_cbranch_execz .LBB4_1817
; %bb.1819:                             ;   in Loop: Header=BB4_1818 Depth=3
	v_add_nc_u32_e32 v10, 1, v2
	s_mov_b32 s41, -1
	s_mov_b32 s40, exec_lo
	v_cmpx_lt_i32_e32 0x270e, v2
	s_cbranch_execz .LBB4_1816
; %bb.1820:                             ;   in Loop: Header=BB4_1818 Depth=3
	s_cbranch_execz .LBB4_1821
; %bb.11545:
	s_getpc_b64 s[48:49]
.Lpost_getpc181:
	s_add_u32 s48, s48, (.LBB4_10960-.Lpost_getpc181)&4294967295
	s_addc_u32 s49, s49, (.LBB4_10960-.Lpost_getpc181)>>32
	s_setpc_b64 s[48:49]
.LBB4_1821:                             ;   in Loop: Header=BB4_1818 Depth=3
	ds_load_b64 v[10:11], v0
	s_mov_b32 s42, exec_lo
	s_waitcnt vmcnt(0) lgkmcnt(0)
	s_waitcnt_vscnt null, 0x0
	flat_load_b32 v2, v[10:11] glc
	s_waitcnt vmcnt(0) lgkmcnt(0)
	buffer_gl1_inv
	buffer_gl0_inv
	v_cmpx_ne_u32_e32 0, v2
	s_cbranch_execz .LBB4_1815
; %bb.1822:                             ;   in Loop: Header=BB4_1818 Depth=3
	ds_store_b32 v0, v2
	s_cbranch_execz .LBB4_1823
; %bb.11547:
	s_getpc_b64 s[48:49]
.Lpost_getpc182:
	s_add_u32 s48, s48, (.LBB4_10972-.Lpost_getpc182)&4294967295
	s_addc_u32 s49, s49, (.LBB4_10972-.Lpost_getpc182)>>32
	s_setpc_b64 s[48:49]
.LBB4_1823:                             ;   in Loop: Header=BB4_1818 Depth=3
	v_or_b32_e32 v30, 64, v30
	s_xor_b32 s41, exec_lo, -1
	s_branch .LBB4_1815
.LBB4_1824:                             ;   in Loop: Header=BB4_1812 Depth=2
	s_or_b32 exec_lo, exec_lo, s37
	v_and_b32_e32 v2, 8, v30
.LBB4_1825:                             ;   in Loop: Header=BB4_1812 Depth=2
	s_or_b32 exec_lo, exec_lo, s36
	s_delay_alu instid0(VALU_DEP_1)
	v_cmp_eq_u32_e32 vcc_lo, 0, v2
	;;#ASMSTART
	s_wakeup
	;;#ASMEND
	s_or_not1_b32 s36, vcc_lo, exec_lo
.LBB4_1826:                             ;   in Loop: Header=BB4_1812 Depth=2
	s_or_b32 exec_lo, exec_lo, s17
	v_sub_nc_u32_e32 v2, v66, v67
	s_xor_b32 s13, s13, -1
	s_delay_alu instid0(SALU_CYCLE_1) | instskip(NEXT) | instid1(SALU_CYCLE_1)
	s_and_b32 s13, exec_lo, s13
	s_or_b32 s16, s13, s16
	s_delay_alu instid0(VALU_DEP_1) | instskip(SKIP_1) | instid1(SALU_CYCLE_1)
	v_min_i32_e32 v12, v12, v2
	s_xor_b32 s13, s36, -1
	s_and_saveexec_b32 s17, s13
	s_cbranch_execz .LBB4_1836
; %bb.1827:                             ;   in Loop: Header=BB4_1812 Depth=2
	v_and_b32_e32 v2, 0x100, v30
	s_mov_b32 s13, -1
                                        ; implicit-def: $vgpr8_vgpr9
	s_delay_alu instid0(VALU_DEP_1)
	v_cmp_ne_u32_e32 vcc_lo, 0, v2
	v_and_b32_e32 v2, 7, v24
	s_and_saveexec_b32 s36, vcc_lo
	s_cbranch_execz .LBB4_1831
; %bb.1828:                             ;   in Loop: Header=BB4_1812 Depth=2
	s_delay_alu instid0(VALU_DEP_1)
	v_mad_u64_u32 v[10:11], null, v2, 24, v[6:7]
	v_ashrrev_i32_e32 v13, 31, v12
	flat_load_b32 v8, v[10:11]
	flat_store_b64 v[10:11], v[12:13] offset:8
	s_waitcnt vmcnt(0) lgkmcnt(1)
	v_cmp_ne_u32_e32 vcc_lo, 1, v8
	v_cmp_eq_u32_e64 s13, 1, v8
                                        ; implicit-def: $vgpr8_vgpr9
	s_delay_alu instid0(VALU_DEP_1)
	s_and_saveexec_b32 s37, s13
	s_cbranch_execz .LBB4_1830
; %bb.1829:                             ;   in Loop: Header=BB4_1812 Depth=2
	flat_load_b32 v8, v[10:11] offset:4 glc
	s_waitcnt vmcnt(0) lgkmcnt(0)
	v_ashrrev_i32_e32 v9, 31, v8
.LBB4_1830:                             ;   in Loop: Header=BB4_1812 Depth=2
	s_or_b32 exec_lo, exec_lo, s37
	s_delay_alu instid0(SALU_CYCLE_1)
	s_or_not1_b32 s13, vcc_lo, exec_lo
.LBB4_1831:                             ;   in Loop: Header=BB4_1812 Depth=2
	s_or_b32 exec_lo, exec_lo, s36
	s_and_saveexec_b32 vcc_lo, s13
; %bb.1832:                             ;   in Loop: Header=BB4_1812 Depth=2
	v_mad_i64_i32 v[8:9], null, v2, v70, 0
; %bb.1833:                             ;   in Loop: Header=BB4_1812 Depth=2
	s_or_b32 exec_lo, exec_lo, vcc_lo
	s_delay_alu instid0(VALU_DEP_1) | instskip(SKIP_1) | instid1(VALU_DEP_3)
	v_add_co_u32 v8, vcc_lo, v26, v8
	v_and_b32_e32 v2, 0x2000, v30
	v_add_co_ci_u32_e32 v9, vcc_lo, v27, v9, vcc_lo
	s_mov_b32 s13, exec_lo
	ds_store_b64 v0, v[8:9] offset:784
	v_cmpx_ne_u32_e32 0, v2
	s_cbranch_execz .LBB4_1835
; %bb.1834:                             ;   in Loop: Header=BB4_1812 Depth=2
	ds_load_b64 v[8:9], v0 offset:584
	s_waitcnt lgkmcnt(0)
	v_add_co_u32 v8, vcc_lo, v8, 1
	v_add_co_ci_u32_e32 v9, vcc_lo, 0, v9, vcc_lo
	ds_store_b64 v0, v[8:9] offset:584
.LBB4_1835:                             ;   in Loop: Header=BB4_1812 Depth=2
	s_or_b32 exec_lo, exec_lo, s13
	v_add_co_u32 v24, vcc_lo, v24, 2
	v_add_co_ci_u32_e32 v25, vcc_lo, 0, v25, vcc_lo
.LBB4_1836:                             ;   in Loop: Header=BB4_1812 Depth=2
	s_or_b32 exec_lo, exec_lo, s17
	s_and_saveexec_b32 s13, s3
	s_cbranch_execz .LBB4_1858
; %bb.1837:                             ;   in Loop: Header=BB4_1812 Depth=2
	s_and_saveexec_b32 s17, s4
	s_delay_alu instid0(SALU_CYCLE_1)
	s_xor_b32 s17, exec_lo, s17
	s_cbranch_execz .LBB4_1855
; %bb.1838:                             ;   in Loop: Header=BB4_1812 Depth=2
	s_and_saveexec_b32 s36, s1
	s_cbranch_execz .LBB4_1854
; %bb.1839:                             ;   in Loop: Header=BB4_1812 Depth=2
	s_mov_b32 s38, exec_lo
	s_mov_b32 s37, exec_lo
	v_mbcnt_lo_u32_b32 v2, s38, 0
	s_waitcnt lgkmcnt(0)
	s_waitcnt_vscnt null, 0x0
	buffer_gl1_inv
	buffer_gl0_inv
	v_cmpx_eq_u32_e32 0, v2
	s_cbranch_execz .LBB4_1841
; %bb.1840:                             ;   in Loop: Header=BB4_1812 Depth=2
	s_bcnt1_i32_b32 vcc_lo, s38
	s_delay_alu instid0(SALU_CYCLE_1)
	v_mov_b32_e32 v2, vcc_lo
	ds_add_u64 v0, v[2:3]
	s_cbranch_execz .LBB4_1841
; %bb.11549:
	s_getpc_b64 s[48:49]
.Lpost_getpc183:
	s_add_u32 s48, s48, (.LBB4_11003-.Lpost_getpc183)&4294967295
	s_addc_u32 s49, s49, (.LBB4_11003-.Lpost_getpc183)>>32
	s_setpc_b64 s[48:49]
.LBB4_1841:                             ;   in Loop: Header=BB4_1812 Depth=2
	s_or_b32 exec_lo, exec_lo, s37
	s_cbranch_execz .LBB4_1842
; %bb.11551:
	s_getpc_b64 s[48:49]
.Lpost_getpc184:
	s_add_u32 s48, s48, (.LBB4_10985-.Lpost_getpc184)&4294967295
	s_addc_u32 s49, s49, (.LBB4_10985-.Lpost_getpc184)>>32
	s_setpc_b64 s[48:49]
.LBB4_1842:                             ;   in Loop: Header=BB4_1812 Depth=2
	ds_load_b64 v[8:9], v0
	v_add_co_u32 v32, vcc_lo, v32, v81
	v_add_co_ci_u32_e32 v33, vcc_lo, 0, v33, vcc_lo
	s_mov_b32 s37, exec_lo
	s_waitcnt lgkmcnt(0)
	s_delay_alu instid0(VALU_DEP_1)
	v_cmpx_lt_u64_e64 v[8:9], v[32:33]
	s_cbranch_execz .LBB4_1853
; %bb.1843:                             ;   in Loop: Header=BB4_1812 Depth=2
	s_mov_b32 s38, 0
	s_mov_b32 s41, 0
                                        ; implicit-def: $sgpr39
                                        ; implicit-def: $sgpr40
	s_branch .LBB4_1845
.LBB4_1844:                             ;   in Loop: Header=BB4_1845 Depth=3
	s_or_b32 exec_lo, exec_lo, s43
	s_delay_alu instid0(SALU_CYCLE_1) | instskip(NEXT) | instid1(SALU_CYCLE_1)
	s_and_b32 vcc_lo, exec_lo, vcc_lo
	s_or_b32 s38, vcc_lo, s38
	s_and_not1_b32 vcc_lo, s39, exec_lo
	s_and_b32 s39, s40, exec_lo
	s_delay_alu instid0(SALU_CYCLE_1)
	s_or_b32 s39, vcc_lo, s39
	s_and_not1_b32 exec_lo, exec_lo, s38
	s_cbranch_execz .LBB4_1851
.LBB4_1845:                             ;   Parent Loop BB4_51 Depth=1
                                        ;     Parent Loop BB4_1812 Depth=2
                                        ; =>    This Inner Loop Header: Depth=3
	s_add_i32 s41, s41, 1
                                        ; implicit-def: $sgpr43
	s_delay_alu instid0(SALU_CYCLE_1) | instskip(SKIP_1) | instid1(SALU_CYCLE_1)
	s_cmpk_lg_i32 s41, 0x2710
	s_cselect_b32 s42, -1, 0
	s_and_b32 vcc_lo, exec_lo, s42
	s_cbranch_vccz .LBB4_1849
.LBB4_1846:                             ;   in Loop: Header=BB4_1845 Depth=3
	s_and_not1_b32 s40, s40, exec_lo
	s_and_b32 s43, s43, exec_lo
	s_mov_b32 vcc_lo, -1
	s_or_b32 s40, s40, s43
	s_and_saveexec_b32 s43, s42
	s_cbranch_execz .LBB4_1844
; %bb.1847:                             ;   in Loop: Header=BB4_1845 Depth=3
	s_sleep 1
	s_cbranch_execz .LBB4_1848
; %bb.11553:
	s_getpc_b64 s[48:49]
.Lpost_getpc185:
	s_add_u32 s48, s48, (.LBB4_11033-.Lpost_getpc185)&4294967295
	s_addc_u32 s49, s49, (.LBB4_11033-.Lpost_getpc185)>>32
	s_setpc_b64 s[48:49]
.LBB4_1848:                             ;   in Loop: Header=BB4_1845 Depth=3
	ds_load_b64 v[8:9], v0
	s_and_not1_b32 s40, s40, exec_lo
	s_waitcnt lgkmcnt(0)
	v_cmp_ge_u64_e32 vcc_lo, v[8:9], v[32:33]
	s_or_not1_b32 vcc_lo, vcc_lo, exec_lo
	s_branch .LBB4_1844
.LBB4_1849:                             ;   in Loop: Header=BB4_1845 Depth=3
	s_cbranch_execz .LBB4_1850
; %bb.11555:
	s_getpc_b64 s[48:49]
.Lpost_getpc186:
	s_add_u32 s48, s48, (.LBB4_11039-.Lpost_getpc186)&4294967295
	s_addc_u32 s49, s49, (.LBB4_11039-.Lpost_getpc186)>>32
	s_setpc_b64 s[48:49]
.LBB4_1850:                             ;   in Loop: Header=BB4_1845 Depth=3
	ds_load_b64 v[8:9], v0
	s_and_not1_b32 s42, s42, exec_lo
	s_mov_b32 s41, 0
	s_mov_b32 s43, -1
	s_waitcnt lgkmcnt(0)
	flat_load_b32 v2, v[8:9] glc
	s_waitcnt vmcnt(0) lgkmcnt(0)
	buffer_gl1_inv
	buffer_gl0_inv
	v_cmp_eq_u32_e32 vcc_lo, 0, v2
	s_and_b32 vcc_lo, vcc_lo, exec_lo
	s_delay_alu instid0(SALU_CYCLE_1)
	s_or_b32 s42, s42, vcc_lo
	s_branch .LBB4_1846
.LBB4_1851:                             ;   in Loop: Header=BB4_1812 Depth=2
	s_or_b32 exec_lo, exec_lo, s38
	s_and_saveexec_b32 vcc_lo, s39
	s_delay_alu instid0(SALU_CYCLE_1)
	s_xor_b32 vcc_lo, exec_lo, vcc_lo
	s_cbranch_execz .LBB4_1853
; %bb.1852:                             ;   in Loop: Header=BB4_1812 Depth=2
	ds_store_b32 v0, v118
	s_cbranch_execz .LBB4_1853
; %bb.11557:
	s_getpc_b64 s[48:49]
.Lpost_getpc187:
	s_add_u32 s48, s48, (.LBB4_11257-.Lpost_getpc187)&4294967295
	s_addc_u32 s49, s49, (.LBB4_11257-.Lpost_getpc187)>>32
	s_setpc_b64 s[48:49]
.LBB4_1853:                             ;   in Loop: Header=BB4_1812 Depth=2
	s_or_b32 exec_lo, exec_lo, s37
	;;#ASMSTART
	s_wakeup
	;;#ASMEND
.LBB4_1854:                             ;   in Loop: Header=BB4_1812 Depth=2
	s_or_b32 exec_lo, exec_lo, s36
.LBB4_1855:                             ;   in Loop: Header=BB4_1812 Depth=2
	s_and_not1_saveexec_b32 s17, s17
	s_cbranch_execz .LBB4_1857
; %bb.1856:                             ;   in Loop: Header=BB4_1812 Depth=2
	s_waitcnt lgkmcnt(0)
	s_waitcnt_vscnt null, 0x0
	buffer_gl1_inv
	buffer_gl0_inv
	s_barrier
.LBB4_1857:                             ;   in Loop: Header=BB4_1812 Depth=2
	s_or_b32 exec_lo, exec_lo, s17
.LBB4_1858:                             ;   in Loop: Header=BB4_1812 Depth=2
	s_delay_alu instid0(SALU_CYCLE_1) | instskip(SKIP_1) | instid1(SALU_CYCLE_1)
	s_or_b32 exec_lo, exec_lo, s13
                                        ; implicit-def: $vgpr2
	s_and_saveexec_b32 s13, s7
	s_xor_b32 s17, exec_lo, s13
	s_cbranch_execz .LBB4_1863
; %bb.1859:                             ;   in Loop: Header=BB4_1812 Depth=2
	s_cbranch_execz .LBB4_1860
; %bb.11559:
	s_getpc_b64 s[48:49]
.Lpost_getpc188:
	s_add_u32 s48, s48, (.LBB4_10958-.Lpost_getpc188)&4294967295
	s_addc_u32 s49, s49, (.LBB4_10958-.Lpost_getpc188)>>32
	s_setpc_b64 s[48:49]
.LBB4_1860:                             ;   in Loop: Header=BB4_1812 Depth=2
	ds_load_b32 v2, v0
	v_cmp_lt_i32_e32 vcc_lo, 0, v12
	s_waitcnt lgkmcnt(0)
	v_readfirstlane_b32 s13, v2
	v_and_b32_e32 v2, 16, v30
	s_delay_alu instid0(VALU_DEP_2) | instskip(NEXT) | instid1(VALU_DEP_1)
	s_cmp_eq_u32 s13, 0
	v_cmp_ne_u32_e64 s13, 0, v2
	s_cselect_b32 s36, -1, 0
	v_and_b32_e32 v2, 16, v30
	s_and_b32 vcc_lo, vcc_lo, s36
	s_delay_alu instid0(VALU_DEP_2) | instid1(SALU_CYCLE_1)
	s_and_b32 vcc_lo, s13, vcc_lo
	s_delay_alu instid0(SALU_CYCLE_1)
	s_and_saveexec_b32 s13, vcc_lo
	s_cbranch_execz .LBB4_1862
; %bb.1861:                             ;   in Loop: Header=BB4_1812 Depth=2
	v_mov_b32_e32 v2, 1
	s_waitcnt_vscnt null, 0x0
	buffer_gl1_inv
	buffer_gl0_inv
.LBB4_1862:                             ;   in Loop: Header=BB4_1812 Depth=2
	s_or_b32 exec_lo, exec_lo, s13
.LBB4_1863:                             ;   in Loop: Header=BB4_1812 Depth=2
	s_and_not1_saveexec_b32 s13, s17
	s_cbranch_execz .LBB4_1885
; %bb.1864:                             ;   in Loop: Header=BB4_1812 Depth=2
	s_and_saveexec_b32 s17, s4
	s_delay_alu instid0(SALU_CYCLE_1)
	s_xor_b32 s17, exec_lo, s17
	s_cbranch_execz .LBB4_1882
; %bb.1865:                             ;   in Loop: Header=BB4_1812 Depth=2
	s_and_saveexec_b32 s36, s1
	s_cbranch_execz .LBB4_1881
; %bb.1866:                             ;   in Loop: Header=BB4_1812 Depth=2
	s_mov_b32 s38, exec_lo
	s_mov_b32 s37, exec_lo
	v_mbcnt_lo_u32_b32 v2, s38, 0
	;;#ASMSTART
	s_waitcnt lgkmcnt(0) vmcnt(0)
	;;#ASMEND
	s_delay_alu instid0(VALU_DEP_1)
	v_cmpx_eq_u32_e32 0, v2
	s_cbranch_execz .LBB4_1868
; %bb.1867:                             ;   in Loop: Header=BB4_1812 Depth=2
	s_bcnt1_i32_b32 vcc_lo, s38
	s_delay_alu instid0(SALU_CYCLE_1)
	v_mov_b32_e32 v2, vcc_lo
	ds_add_u64 v0, v[2:3]
	s_cbranch_execz .LBB4_1868
; %bb.11561:
	s_getpc_b64 s[48:49]
.Lpost_getpc189:
	s_add_u32 s48, s48, (.LBB4_11021-.Lpost_getpc189)&4294967295
	s_addc_u32 s49, s49, (.LBB4_11021-.Lpost_getpc189)>>32
	s_setpc_b64 s[48:49]
.LBB4_1868:                             ;   in Loop: Header=BB4_1812 Depth=2
	s_or_b32 exec_lo, exec_lo, s37
	s_cbranch_execz .LBB4_1869
; %bb.11563:
	s_getpc_b64 s[48:49]
.Lpost_getpc190:
	s_add_u32 s48, s48, (.LBB4_11001-.Lpost_getpc190)&4294967295
	s_addc_u32 s49, s49, (.LBB4_11001-.Lpost_getpc190)>>32
	s_setpc_b64 s[48:49]
.LBB4_1869:                             ;   in Loop: Header=BB4_1812 Depth=2
	ds_load_b64 v[8:9], v0
	v_add_co_u32 v32, vcc_lo, v32, v81
	v_add_co_ci_u32_e32 v33, vcc_lo, 0, v33, vcc_lo
	s_mov_b32 s37, exec_lo
	s_waitcnt lgkmcnt(0)
	s_delay_alu instid0(VALU_DEP_1)
	v_cmpx_lt_u64_e64 v[8:9], v[32:33]
	s_cbranch_execz .LBB4_1880
; %bb.1870:                             ;   in Loop: Header=BB4_1812 Depth=2
	s_mov_b32 s38, 0
	s_mov_b32 s41, 0
                                        ; implicit-def: $sgpr39
                                        ; implicit-def: $sgpr40
	s_branch .LBB4_1872
.LBB4_1871:                             ;   in Loop: Header=BB4_1872 Depth=3
	s_or_b32 exec_lo, exec_lo, s43
	s_delay_alu instid0(SALU_CYCLE_1) | instskip(NEXT) | instid1(SALU_CYCLE_1)
	s_and_b32 vcc_lo, exec_lo, vcc_lo
	s_or_b32 s38, vcc_lo, s38
	s_and_not1_b32 vcc_lo, s39, exec_lo
	s_and_b32 s39, s40, exec_lo
	s_delay_alu instid0(SALU_CYCLE_1)
	s_or_b32 s39, vcc_lo, s39
	s_and_not1_b32 exec_lo, exec_lo, s38
	s_cbranch_execz .LBB4_1878
.LBB4_1872:                             ;   Parent Loop BB4_51 Depth=1
                                        ;     Parent Loop BB4_1812 Depth=2
                                        ; =>    This Inner Loop Header: Depth=3
	s_add_i32 s41, s41, 1
                                        ; implicit-def: $sgpr43
	s_delay_alu instid0(SALU_CYCLE_1) | instskip(SKIP_1) | instid1(SALU_CYCLE_1)
	s_cmpk_lg_i32 s41, 0x2710
	s_cselect_b32 s42, -1, 0
	s_and_b32 vcc_lo, exec_lo, s42
	s_cbranch_vccz .LBB4_1876
.LBB4_1873:                             ;   in Loop: Header=BB4_1872 Depth=3
	s_and_not1_b32 s40, s40, exec_lo
	s_and_b32 s43, s43, exec_lo
	s_mov_b32 vcc_lo, -1
	s_or_b32 s40, s40, s43
	s_and_saveexec_b32 s43, s42
	s_cbranch_execz .LBB4_1871
; %bb.1874:                             ;   in Loop: Header=BB4_1872 Depth=3
	s_sleep 1
	s_cbranch_execz .LBB4_1875
; %bb.11565:
	s_getpc_b64 s[48:49]
.Lpost_getpc191:
	s_add_u32 s48, s48, (.LBB4_11047-.Lpost_getpc191)&4294967295
	s_addc_u32 s49, s49, (.LBB4_11047-.Lpost_getpc191)>>32
	s_setpc_b64 s[48:49]
.LBB4_1875:                             ;   in Loop: Header=BB4_1872 Depth=3
	ds_load_b64 v[8:9], v0
	s_and_not1_b32 s40, s40, exec_lo
	s_waitcnt lgkmcnt(0)
	v_cmp_ge_u64_e32 vcc_lo, v[8:9], v[32:33]
	s_or_not1_b32 vcc_lo, vcc_lo, exec_lo
	s_branch .LBB4_1871
.LBB4_1876:                             ;   in Loop: Header=BB4_1872 Depth=3
	s_cbranch_execz .LBB4_1877
; %bb.11567:
	s_getpc_b64 s[48:49]
.Lpost_getpc192:
	s_add_u32 s48, s48, (.LBB4_11057-.Lpost_getpc192)&4294967295
	s_addc_u32 s49, s49, (.LBB4_11057-.Lpost_getpc192)>>32
	s_setpc_b64 s[48:49]
.LBB4_1877:                             ;   in Loop: Header=BB4_1872 Depth=3
	ds_load_b64 v[8:9], v0
	s_and_not1_b32 s42, s42, exec_lo
	s_mov_b32 s41, 0
	s_mov_b32 s43, -1
	s_waitcnt lgkmcnt(0)
	s_waitcnt_vscnt null, 0x0
	flat_load_b32 v2, v[8:9] glc
	s_waitcnt vmcnt(0) lgkmcnt(0)
	buffer_gl1_inv
	buffer_gl0_inv
	v_cmp_eq_u32_e32 vcc_lo, 0, v2
	s_and_b32 vcc_lo, vcc_lo, exec_lo
	s_delay_alu instid0(SALU_CYCLE_1)
	s_or_b32 s42, s42, vcc_lo
	s_branch .LBB4_1873
.LBB4_1878:                             ;   in Loop: Header=BB4_1812 Depth=2
	s_or_b32 exec_lo, exec_lo, s38
	s_and_saveexec_b32 vcc_lo, s39
	s_delay_alu instid0(SALU_CYCLE_1)
	s_xor_b32 vcc_lo, exec_lo, vcc_lo
	s_cbranch_execz .LBB4_1880
; %bb.1879:                             ;   in Loop: Header=BB4_1812 Depth=2
	ds_store_b32 v0, v118
	s_cbranch_execz .LBB4_1880
; %bb.11569:
	s_getpc_b64 s[48:49]
.Lpost_getpc193:
	s_add_u32 s48, s48, (.LBB4_11279-.Lpost_getpc193)&4294967295
	s_addc_u32 s49, s49, (.LBB4_11279-.Lpost_getpc193)>>32
	s_setpc_b64 s[48:49]
.LBB4_1880:                             ;   in Loop: Header=BB4_1812 Depth=2
	s_or_b32 exec_lo, exec_lo, s37
	;;#ASMSTART
	s_wakeup
	;;#ASMEND
.LBB4_1881:                             ;   in Loop: Header=BB4_1812 Depth=2
	s_or_b32 exec_lo, exec_lo, s36
.LBB4_1882:                             ;   in Loop: Header=BB4_1812 Depth=2
	s_and_not1_saveexec_b32 s17, s17
	s_cbranch_execz .LBB4_1884
; %bb.1883:                             ;   in Loop: Header=BB4_1812 Depth=2
	;;#ASMSTART
	s_waitcnt lgkmcnt(0) vmcnt(0)
	;;#ASMEND
	s_waitcnt lgkmcnt(0)
	s_waitcnt_vscnt null, 0x0
	s_barrier
.LBB4_1884:                             ;   in Loop: Header=BB4_1812 Depth=2
	s_or_b32 exec_lo, exec_lo, s17
	v_and_b32_e32 v2, 16, v30
.LBB4_1885:                             ;   in Loop: Header=BB4_1812 Depth=2
	s_or_b32 exec_lo, exec_lo, s13
	s_delay_alu instid0(SALU_CYCLE_1) | instskip(NEXT) | instid1(VALU_DEP_1)
	s_mov_b32 s13, exec_lo
	v_cmpx_ne_u32_e32 0, v2
	s_cbranch_execz .LBB4_1889
; %bb.1886:                             ;   in Loop: Header=BB4_1812 Depth=2
	s_and_saveexec_b32 s17, s11
	s_cbranch_execz .LBB4_1888
; %bb.1887:                             ;   in Loop: Header=BB4_1812 Depth=2
	s_waitcnt lgkmcnt(0)
	s_waitcnt_vscnt null, 0x0
	flat_store_b32 v[28:29], v118
.LBB4_1888:                             ;   in Loop: Header=BB4_1812 Depth=2
	s_or_b32 exec_lo, exec_lo, s17
	v_add_co_u32 v24, vcc_lo, v24, 2
	v_add_co_ci_u32_e32 v25, vcc_lo, 0, v25, vcc_lo
	s_waitcnt lgkmcnt(0)
	s_waitcnt_vscnt null, 0x0
	flat_store_b64 v[22:23], v[24:25]
.LBB4_1889:                             ;   in Loop: Header=BB4_1812 Depth=2
	s_or_b32 exec_lo, exec_lo, s13
	v_add_nc_u32_e32 v67, v12, v67
	s_mov_b32 s13, 0
	s_and_not1_b32 exec_lo, exec_lo, s16
	s_cbranch_execnz .LBB4_1812
; %bb.1890:                             ;   in Loop: Header=BB4_51 Depth=1
	s_or_b32 exec_lo, exec_lo, s16
.LBB4_1891:                             ;   in Loop: Header=BB4_51 Depth=1
	s_delay_alu instid0(SALU_CYCLE_1) | instskip(NEXT) | instid1(SALU_CYCLE_1)
	s_or_b32 exec_lo, exec_lo, s15
	s_and_not1_b32 vcc_lo, exec_lo, s29
	s_cbranch_vccnz .LBB4_4784
; %bb.1892:                             ;   in Loop: Header=BB4_51 Depth=1
	s_mov_b32 s15, 2
.LBB4_1893:                             ;   Parent Loop BB4_51 Depth=1
                                        ; =>  This Loop Header: Depth=2
                                        ;       Child Loop BB4_1895 Depth 3
                                        ;         Child Loop BB4_1904 Depth 4
                                        ;         Child Loop BB4_1936 Depth 4
	;; [unrolled: 1-line block ×9, first 2 shown]
                                        ;       Child Loop BB4_4701 Depth 3
                                        ;         Child Loop BB4_4707 Depth 4
                                        ;         Child Loop BB4_4737 Depth 4
	;; [unrolled: 1-line block ×3, first 2 shown]
	s_delay_alu instid0(SALU_CYCLE_1) | instskip(SKIP_4) | instid1(SALU_CYCLE_1)
	s_sub_i32 s13, s25, s15
	v_mov_b32_e32 v130, 0
	s_cmp_le_i32 s19, s13
	s_mov_b32 s17, 0
	s_cselect_b32 s16, s19, 0
	s_sub_i32 s13, s13, s16
	s_delay_alu instid0(SALU_CYCLE_1) | instskip(SKIP_3) | instid1(VALU_DEP_1)
	s_ashr_i32 s16, s13, 31
	v_mul_lo_u32 v2, v49, s13
	v_mad_u64_u32 v[54:55], null, v48, s13, 0
	v_mul_lo_u32 v8, v48, s16
	v_add3_u32 v55, v55, v8, v2
	s_delay_alu instid0(VALU_DEP_3) | instskip(NEXT) | instid1(VALU_DEP_2)
	v_sub_co_u32 v8, vcc_lo, v50, v54
	v_sub_co_ci_u32_e32 v9, vcc_lo, v51, v55, vcc_lo
	s_delay_alu instid0(VALU_DEP_1) | instskip(SKIP_1) | instid1(VALU_DEP_1)
	v_cmp_lt_i64_e32 vcc_lo, v[48:49], v[8:9]
	v_cndmask_b32_e32 v8, v8, v48, vcc_lo
	v_max_i32_e32 v129, 0, v8
	s_delay_alu instid0(VALU_DEP_1) | instskip(NEXT) | instid1(VALU_DEP_1)
	v_add_nc_u32_e32 v2, 31, v129
	v_lshrrev_b32_e32 v2, 1, v2
	s_delay_alu instid0(VALU_DEP_1) | instskip(SKIP_2) | instid1(VALU_DEP_3)
	v_and_b32_e32 v9, 0x3ffffff0, v2
	v_cmp_lt_i32_e32 vcc_lo, 0, v8
	v_mov_b32_e32 v2, 0
	v_max_i32_e32 v52, s28, v9
	s_and_b32 s13, s30, vcc_lo
	s_delay_alu instid0(SALU_CYCLE_1)
	s_and_saveexec_b32 s16, s13
	s_cbranch_execz .LBB4_4699
; %bb.1894:                             ;   in Loop: Header=BB4_1893 Depth=2
	v_mov_b32_e32 v130, 0
	s_mov_b32 s37, 1
	s_mov_b32 s36, -1
.LBB4_1895:                             ;   Parent Loop BB4_51 Depth=1
                                        ;     Parent Loop BB4_1893 Depth=2
                                        ; =>    This Loop Header: Depth=3
                                        ;         Child Loop BB4_1904 Depth 4
                                        ;         Child Loop BB4_1936 Depth 4
	;; [unrolled: 1-line block ×9, first 2 shown]
	s_and_saveexec_b32 s13, s0
	s_cbranch_execz .LBB4_1898
; %bb.1896:                             ;   in Loop: Header=BB4_1895 Depth=3
	s_cbranch_execz .LBB4_1897
; %bb.11571:
	s_getpc_b64 s[48:49]
.Lpost_getpc194:
	s_add_u32 s48, s48, (.LBB4_10968-.Lpost_getpc194)&4294967295
	s_addc_u32 s49, s49, (.LBB4_10968-.Lpost_getpc194)>>32
	s_setpc_b64 s[48:49]
.LBB4_1897:                             ;   in Loop: Header=BB4_1895 Depth=3
	ds_load_b64 v[8:9], v0
	s_waitcnt lgkmcnt(0)
	v_add_co_u32 v2, vcc_lo, v8, v119
	v_add_co_ci_u32_e32 v8, vcc_lo, v9, v128, vcc_lo
	v_ashrrev_i32_e32 v9, 31, v130
	s_delay_alu instid0(VALU_DEP_3) | instskip(NEXT) | instid1(VALU_DEP_3)
	v_add_co_u32 v2, vcc_lo, v2, v54
	v_add_co_ci_u32_e32 v10, vcc_lo, v8, v55, vcc_lo
	s_delay_alu instid0(VALU_DEP_2) | instskip(NEXT) | instid1(VALU_DEP_2)
	v_add_co_u32 v8, vcc_lo, v2, v130
	v_add_co_ci_u32_e32 v9, vcc_lo, v10, v9, vcc_lo
	v_mov_b32_e32 v2, v3
	ds_store_b64 v0, v[8:9]
	ds_store_b64 v0, v[2:3]
.LBB4_1898:                             ;   in Loop: Header=BB4_1895 Depth=3
	s_or_b32 exec_lo, exec_lo, s13
	v_and_b32_e32 v2, 12, v30
	s_mov_b32 s38, -1
	s_mov_b32 s13, exec_lo
	s_delay_alu instid0(VALU_DEP_1)
	v_cmpx_ne_u32_e32 0, v2
	v_writelane_b32 v122, s36, 10
	v_writelane_b32 v122, s37, 11
	s_cbranch_execz .LBB4_1912
; %bb.1899:                             ;   in Loop: Header=BB4_1895 Depth=3
	v_and_b32_e32 v2, 8, v30
	s_delay_alu instid0(VALU_DEP_1) | instskip(SKIP_3) | instid1(VALU_DEP_1)
	v_add_co_u32 v10, vcc_lo, v34, v2
	v_add_co_ci_u32_e32 v11, vcc_lo, 0, v35, vcc_lo
	v_add_co_u32 v8, vcc_lo, v24, 2
	v_add_co_ci_u32_e32 v9, vcc_lo, 0, v25, vcc_lo
	v_cmp_lt_u64_e32 vcc_lo, v[10:11], v[8:9]
	v_mov_b32_e32 v10, 1
	s_and_saveexec_b32 s36, vcc_lo
	s_cbranch_execz .LBB4_1911
; %bb.1900:                             ;   in Loop: Header=BB4_1895 Depth=3
	v_mov_b32_e32 v10, 0
	s_mov_b32 s37, 0
                                        ; implicit-def: $sgpr38
	s_branch .LBB4_1904
.LBB4_1901:                             ;   in Loop: Header=BB4_1904 Depth=4
	s_or_b32 exec_lo, exec_lo, s42
	v_mov_b32_e32 v11, 0
	s_or_not1_b32 s41, s41, exec_lo
.LBB4_1902:                             ;   in Loop: Header=BB4_1904 Depth=4
	s_or_b32 exec_lo, exec_lo, s40
	s_delay_alu instid0(VALU_DEP_1) | instskip(SKIP_2) | instid1(SALU_CYCLE_1)
	v_mov_b32_e32 v10, v11
	s_and_not1_b32 vcc_lo, s38, exec_lo
	s_and_b32 s38, s41, exec_lo
	s_or_b32 s38, vcc_lo, s38
.LBB4_1903:                             ;   in Loop: Header=BB4_1904 Depth=4
	s_or_b32 exec_lo, exec_lo, s39
	s_waitcnt vmcnt(0) lgkmcnt(0)
	v_add_co_u32 v11, vcc_lo, v34, v2
	v_add_co_ci_u32_e32 v12, vcc_lo, 0, v35, vcc_lo
	s_xor_b32 s39, s38, -1
	s_delay_alu instid0(VALU_DEP_1) | instskip(SKIP_1) | instid1(SALU_CYCLE_1)
	v_cmp_ge_u64_e32 vcc_lo, v[11:12], v[8:9]
	s_or_b32 vcc_lo, s39, vcc_lo
	s_and_b32 vcc_lo, exec_lo, vcc_lo
	s_delay_alu instid0(SALU_CYCLE_1) | instskip(NEXT) | instid1(SALU_CYCLE_1)
	s_or_b32 s37, vcc_lo, s37
	s_and_not1_b32 exec_lo, exec_lo, s37
	s_cbranch_execz .LBB4_1910
.LBB4_1904:                             ;   Parent Loop BB4_51 Depth=1
                                        ;     Parent Loop BB4_1893 Depth=2
                                        ;       Parent Loop BB4_1895 Depth=3
                                        ; =>      This Inner Loop Header: Depth=4
	s_sleep 1
	flat_load_b64 v[34:35], v[22:23] glc
	v_and_b32_e32 v11, 64, v30
	s_and_not1_b32 s38, s38, exec_lo
	s_mov_b32 s39, exec_lo
	s_delay_alu instid0(VALU_DEP_1)
	v_cmpx_eq_u32_e32 0, v11
	s_cbranch_execz .LBB4_1903
; %bb.1905:                             ;   in Loop: Header=BB4_1904 Depth=4
	v_add_nc_u32_e32 v11, 1, v10
	s_mov_b32 s41, -1
	s_mov_b32 s40, exec_lo
	v_cmpx_lt_i32_e32 0x270e, v10
	s_cbranch_execz .LBB4_1902
; %bb.1906:                             ;   in Loop: Header=BB4_1904 Depth=4
	s_cbranch_execz .LBB4_1907
; %bb.11573:
	s_getpc_b64 s[48:49]
.Lpost_getpc195:
	s_add_u32 s48, s48, (.LBB4_10999-.Lpost_getpc195)&4294967295
	s_addc_u32 s49, s49, (.LBB4_10999-.Lpost_getpc195)>>32
	s_setpc_b64 s[48:49]
.LBB4_1907:                             ;   in Loop: Header=BB4_1904 Depth=4
	ds_load_b64 v[10:11], v0
	s_mov_b32 s42, exec_lo
	s_waitcnt vmcnt(0) lgkmcnt(0)
	s_waitcnt_vscnt null, 0x0
	flat_load_b32 v10, v[10:11] glc
	s_waitcnt vmcnt(0) lgkmcnt(0)
	buffer_gl1_inv
	buffer_gl0_inv
	v_cmpx_ne_u32_e32 0, v10
	s_cbranch_execz .LBB4_1901
; %bb.1908:                             ;   in Loop: Header=BB4_1904 Depth=4
	ds_store_b32 v0, v10
	s_cbranch_execz .LBB4_1909
; %bb.11575:
	s_getpc_b64 s[48:49]
.Lpost_getpc196:
	s_add_u32 s48, s48, (.LBB4_11051-.Lpost_getpc196)&4294967295
	s_addc_u32 s49, s49, (.LBB4_11051-.Lpost_getpc196)>>32
	s_setpc_b64 s[48:49]
.LBB4_1909:                             ;   in Loop: Header=BB4_1904 Depth=4
	v_or_b32_e32 v30, 64, v30
	s_xor_b32 s41, exec_lo, -1
	s_branch .LBB4_1901
.LBB4_1910:                             ;   in Loop: Header=BB4_1895 Depth=3
	s_or_b32 exec_lo, exec_lo, s37
	v_and_b32_e32 v10, 12, v30
.LBB4_1911:                             ;   in Loop: Header=BB4_1895 Depth=3
	s_or_b32 exec_lo, exec_lo, s36
	s_delay_alu instid0(VALU_DEP_1)
	v_cmp_eq_u32_e32 vcc_lo, 0, v10
	;;#ASMSTART
	s_wakeup
	;;#ASMEND
	s_or_not1_b32 s38, vcc_lo, exec_lo
.LBB4_1912:                             ;   in Loop: Header=BB4_1895 Depth=3
	s_or_b32 exec_lo, exec_lo, s13
	v_sub_nc_u32_e32 v2, v129, v130
	s_xor_b32 s13, s38, -1
	s_delay_alu instid0(VALU_DEP_1)
	v_min_i32_e32 v52, v52, v2
	s_and_saveexec_b32 s36, s13
	s_cbranch_execz .LBB4_1927
; %bb.1913:                             ;   in Loop: Header=BB4_1895 Depth=3
	v_and_b32_e32 v2, 0x108, v30
	s_mov_b32 s13, exec_lo
	s_delay_alu instid0(VALU_DEP_1)
	v_cmpx_ne_u32_e32 0x108, v2
	s_xor_b32 s13, exec_lo, s13
                                        ; implicit-def: $vgpr8_vgpr9
; %bb.1914:                             ;   in Loop: Header=BB4_1895 Depth=3
	v_and_b32_e32 v8, 7, v24
; %bb.1915:                             ;   in Loop: Header=BB4_1895 Depth=3
	s_and_not1_saveexec_b32 s13, s13
	s_cbranch_execz .LBB4_1917
; %bb.1916:                             ;   in Loop: Header=BB4_1895 Depth=3
	v_and_b32_e32 v8, 7, v24
	v_ashrrev_i32_e32 v53, 31, v52
	s_delay_alu instid0(VALU_DEP_2)
	v_mad_u64_u32 v[9:10], null, v8, 24, v[6:7]
	flat_store_b64 v[9:10], v[52:53] offset:8
.LBB4_1917:                             ;   in Loop: Header=BB4_1895 Depth=3
	s_or_b32 exec_lo, exec_lo, s13
	v_and_b32_e32 v2, 0x100, v30
	s_mov_b32 s13, -1
	s_mov_b32 s37, exec_lo
                                        ; implicit-def: $vgpr9_vgpr10
	s_delay_alu instid0(VALU_DEP_1)
	v_cmpx_ne_u32_e32 0, v2
	s_cbranch_execnz .LBB4_1920
; %bb.1918:                             ;   in Loop: Header=BB4_1895 Depth=3
	s_or_b32 exec_lo, exec_lo, s37
	s_and_saveexec_b32 vcc_lo, s13
	s_cbranch_execnz .LBB4_1923
.LBB4_1919:                             ;   in Loop: Header=BB4_1895 Depth=3
	s_or_b32 exec_lo, exec_lo, vcc_lo
	s_cbranch_execz .LBB4_1924
; %bb.11577:
	s_getpc_b64 s[48:49]
.Lpost_getpc197:
	s_add_u32 s48, s48, (.LBB4_10995-.Lpost_getpc197)&4294967295
	s_addc_u32 s49, s49, (.LBB4_10995-.Lpost_getpc197)>>32
	s_setpc_b64 s[48:49]
.LBB4_1920:                             ;   in Loop: Header=BB4_1895 Depth=3
	v_mad_u64_u32 v[11:12], null, v8, 24, v[6:7]
	s_mov_b32 s38, exec_lo
	s_delay_alu instid0(VALU_DEP_1) | instskip(NEXT) | instid1(VALU_DEP_1)
	v_mov_b32_e32 v2, v12
	v_mad_u64_u32 v[9:10], null, v3, 24, v[2:3]
	s_delay_alu instid0(VALU_DEP_1)
	v_mov_b32_e32 v12, v9
                                        ; implicit-def: $vgpr9_vgpr10
	flat_load_b32 v2, v[11:12]
	s_waitcnt vmcnt(0) lgkmcnt(0)
	v_cmp_ne_u32_e32 vcc_lo, 1, v2
	v_cmpx_eq_u32_e32 1, v2
	s_cbranch_execz .LBB4_1922
; %bb.1921:                             ;   in Loop: Header=BB4_1895 Depth=3
	flat_load_b32 v9, v[11:12] offset:4 glc
	s_waitcnt vmcnt(0) lgkmcnt(0)
	v_ashrrev_i32_e32 v10, 31, v9
.LBB4_1922:                             ;   in Loop: Header=BB4_1895 Depth=3
	s_or_b32 exec_lo, exec_lo, s38
	s_delay_alu instid0(SALU_CYCLE_1)
	s_or_not1_b32 s13, vcc_lo, exec_lo
	s_or_b32 exec_lo, exec_lo, s37
	s_and_saveexec_b32 vcc_lo, s13
	s_cbranch_execz .LBB4_1919
.LBB4_1923:                             ;   in Loop: Header=BB4_1895 Depth=3
	v_mul_lo_u32 v2, v3, v70
	v_mul_lo_u32 v11, v8, v80
	v_mad_u64_u32 v[9:10], null, v8, v70, 0
	s_delay_alu instid0(VALU_DEP_1)
	v_add3_u32 v10, v10, v11, v2
	s_or_b32 exec_lo, exec_lo, vcc_lo
	s_cbranch_execz .LBB4_1924
; %bb.11579:
	s_getpc_b64 s[48:49]
.Lpost_getpc198:
	s_add_u32 s48, s48, (.LBB4_10995-.Lpost_getpc198)&4294967295
	s_addc_u32 s49, s49, (.LBB4_10995-.Lpost_getpc198)>>32
	s_setpc_b64 s[48:49]
.LBB4_1924:                             ;   in Loop: Header=BB4_1895 Depth=3
	s_delay_alu instid0(VALU_DEP_2)
	v_add_co_u32 v8, vcc_lo, v26, v9
	v_and_b32_e32 v2, 0x2000, v30
	v_add_co_ci_u32_e32 v9, vcc_lo, v27, v10, vcc_lo
	s_mov_b32 s13, exec_lo
	ds_store_b64 v0, v[8:9]
	v_cmpx_ne_u32_e32 0, v2
	s_cbranch_execz .LBB4_1926
; %bb.1925:                             ;   in Loop: Header=BB4_1895 Depth=3
	ds_load_b64 v[8:9], v0 offset:584
	s_waitcnt lgkmcnt(0)
	v_add_co_u32 v8, vcc_lo, v8, 1
	v_add_co_ci_u32_e32 v9, vcc_lo, 0, v9, vcc_lo
	ds_store_b64 v0, v[8:9] offset:584
.LBB4_1926:                             ;   in Loop: Header=BB4_1895 Depth=3
	s_or_b32 exec_lo, exec_lo, s13
	v_add_co_u32 v24, vcc_lo, v24, 2
	v_add_co_ci_u32_e32 v25, vcc_lo, 0, v25, vcc_lo
.LBB4_1927:                             ;   in Loop: Header=BB4_1895 Depth=3
	s_or_b32 exec_lo, exec_lo, s36
	s_and_saveexec_b32 s13, s3
	s_cbranch_execz .LBB4_1949
; %bb.1928:                             ;   in Loop: Header=BB4_1895 Depth=3
	s_and_saveexec_b32 vcc_lo, s4
	s_delay_alu instid0(SALU_CYCLE_1)
	s_xor_b32 s36, exec_lo, vcc_lo
	s_cbranch_execz .LBB4_1946
; %bb.1929:                             ;   in Loop: Header=BB4_1895 Depth=3
	s_and_saveexec_b32 s37, s1
	s_cbranch_execz .LBB4_1945
; %bb.1930:                             ;   in Loop: Header=BB4_1895 Depth=3
	s_mov_b32 s39, exec_lo
	s_mov_b32 s38, exec_lo
	v_mbcnt_lo_u32_b32 v2, s39, 0
	s_waitcnt lgkmcnt(0)
	s_waitcnt_vscnt null, 0x0
	buffer_gl1_inv
	buffer_gl0_inv
	v_cmpx_eq_u32_e32 0, v2
	s_cbranch_execz .LBB4_1932
; %bb.1931:                             ;   in Loop: Header=BB4_1895 Depth=3
	s_bcnt1_i32_b32 vcc_lo, s39
	s_delay_alu instid0(SALU_CYCLE_1)
	v_mov_b32_e32 v2, vcc_lo
	ds_add_u64 v0, v[2:3]
	s_cbranch_execz .LBB4_1932
; %bb.11581:
	s_getpc_b64 s[48:49]
.Lpost_getpc199:
	s_add_u32 s48, s48, (.LBB4_11105-.Lpost_getpc199)&4294967295
	s_addc_u32 s49, s49, (.LBB4_11105-.Lpost_getpc199)>>32
	s_setpc_b64 s[48:49]
.LBB4_1932:                             ;   in Loop: Header=BB4_1895 Depth=3
	s_or_b32 exec_lo, exec_lo, s38
	s_cbranch_execz .LBB4_1933
; %bb.11583:
	s_getpc_b64 s[48:49]
.Lpost_getpc200:
	s_add_u32 s48, s48, (.LBB4_11073-.Lpost_getpc200)&4294967295
	s_addc_u32 s49, s49, (.LBB4_11073-.Lpost_getpc200)>>32
	s_setpc_b64 s[48:49]
.LBB4_1933:                             ;   in Loop: Header=BB4_1895 Depth=3
	ds_load_b64 v[8:9], v0
	v_add_co_u32 v32, vcc_lo, v32, v81
	v_add_co_ci_u32_e32 v33, vcc_lo, 0, v33, vcc_lo
	s_mov_b32 s38, exec_lo
	s_waitcnt lgkmcnt(0)
	s_delay_alu instid0(VALU_DEP_1)
	v_cmpx_lt_u64_e64 v[8:9], v[32:33]
	s_cbranch_execz .LBB4_1944
; %bb.1934:                             ;   in Loop: Header=BB4_1895 Depth=3
	s_mov_b32 s39, 0
	s_mov_b32 s42, 0
                                        ; implicit-def: $sgpr40
                                        ; implicit-def: $sgpr41
	s_branch .LBB4_1936
.LBB4_1935:                             ;   in Loop: Header=BB4_1936 Depth=4
	s_or_b32 exec_lo, exec_lo, s44
	s_delay_alu instid0(SALU_CYCLE_1) | instskip(NEXT) | instid1(SALU_CYCLE_1)
	s_and_b32 vcc_lo, exec_lo, vcc_lo
	s_or_b32 s39, vcc_lo, s39
	s_and_not1_b32 vcc_lo, s40, exec_lo
	s_and_b32 s40, s41, exec_lo
	s_delay_alu instid0(SALU_CYCLE_1)
	s_or_b32 s40, vcc_lo, s40
	s_and_not1_b32 exec_lo, exec_lo, s39
	s_cbranch_execz .LBB4_1942
.LBB4_1936:                             ;   Parent Loop BB4_51 Depth=1
                                        ;     Parent Loop BB4_1893 Depth=2
                                        ;       Parent Loop BB4_1895 Depth=3
                                        ; =>      This Inner Loop Header: Depth=4
	s_add_i32 s42, s42, 1
                                        ; implicit-def: $sgpr44
	s_delay_alu instid0(SALU_CYCLE_1) | instskip(SKIP_1) | instid1(SALU_CYCLE_1)
	s_cmpk_lg_i32 s42, 0x2710
	s_cselect_b32 s43, -1, 0
	s_and_b32 vcc_lo, exec_lo, s43
	s_cbranch_vccz .LBB4_1940
.LBB4_1937:                             ;   in Loop: Header=BB4_1936 Depth=4
	s_and_not1_b32 s41, s41, exec_lo
	s_and_b32 s44, s44, exec_lo
	s_mov_b32 vcc_lo, -1
	s_or_b32 s41, s41, s44
	s_and_saveexec_b32 s44, s43
	s_cbranch_execz .LBB4_1935
; %bb.1938:                             ;   in Loop: Header=BB4_1936 Depth=4
	s_sleep 1
	s_cbranch_execz .LBB4_1939
; %bb.11585:
	s_getpc_b64 s[48:49]
.Lpost_getpc201:
	s_add_u32 s48, s48, (.LBB4_11155-.Lpost_getpc201)&4294967295
	s_addc_u32 s49, s49, (.LBB4_11155-.Lpost_getpc201)>>32
	s_setpc_b64 s[48:49]
.LBB4_1939:                             ;   in Loop: Header=BB4_1936 Depth=4
	ds_load_b64 v[8:9], v0
	s_and_not1_b32 s41, s41, exec_lo
	s_waitcnt lgkmcnt(0)
	v_cmp_ge_u64_e32 vcc_lo, v[8:9], v[32:33]
	s_or_not1_b32 vcc_lo, vcc_lo, exec_lo
	s_branch .LBB4_1935
.LBB4_1940:                             ;   in Loop: Header=BB4_1936 Depth=4
	s_cbranch_execz .LBB4_1941
; %bb.11587:
	s_getpc_b64 s[48:49]
.Lpost_getpc202:
	s_add_u32 s48, s48, (.LBB4_11169-.Lpost_getpc202)&4294967295
	s_addc_u32 s49, s49, (.LBB4_11169-.Lpost_getpc202)>>32
	s_setpc_b64 s[48:49]
.LBB4_1941:                             ;   in Loop: Header=BB4_1936 Depth=4
	ds_load_b64 v[8:9], v0
	s_and_not1_b32 s43, s43, exec_lo
	s_mov_b32 s42, 0
	s_mov_b32 s44, -1
	s_waitcnt lgkmcnt(0)
	flat_load_b32 v2, v[8:9] glc
	s_waitcnt vmcnt(0) lgkmcnt(0)
	buffer_gl1_inv
	buffer_gl0_inv
	v_cmp_eq_u32_e32 vcc_lo, 0, v2
	s_and_b32 vcc_lo, vcc_lo, exec_lo
	s_delay_alu instid0(SALU_CYCLE_1)
	s_or_b32 s43, s43, vcc_lo
	s_branch .LBB4_1937
.LBB4_1942:                             ;   in Loop: Header=BB4_1895 Depth=3
	s_or_b32 exec_lo, exec_lo, s39
	s_and_saveexec_b32 vcc_lo, s40
	s_delay_alu instid0(SALU_CYCLE_1)
	s_xor_b32 vcc_lo, exec_lo, vcc_lo
	s_cbranch_execz .LBB4_1944
; %bb.1943:                             ;   in Loop: Header=BB4_1895 Depth=3
	ds_store_b32 v0, v118
	s_cbranch_execz .LBB4_1944
; %bb.11589:
	s_getpc_b64 s[48:49]
.Lpost_getpc203:
	s_add_u32 s48, s48, (.LBB4_11375-.Lpost_getpc203)&4294967295
	s_addc_u32 s49, s49, (.LBB4_11375-.Lpost_getpc203)>>32
	s_setpc_b64 s[48:49]
.LBB4_1944:                             ;   in Loop: Header=BB4_1895 Depth=3
	s_or_b32 exec_lo, exec_lo, s38
	;;#ASMSTART
	s_wakeup
	;;#ASMEND
.LBB4_1945:                             ;   in Loop: Header=BB4_1895 Depth=3
	s_or_b32 exec_lo, exec_lo, s37
.LBB4_1946:                             ;   in Loop: Header=BB4_1895 Depth=3
	s_and_not1_saveexec_b32 vcc_lo, s36
	s_cbranch_execz .LBB4_1948
; %bb.1947:                             ;   in Loop: Header=BB4_1895 Depth=3
	s_waitcnt lgkmcnt(0)
	s_waitcnt_vscnt null, 0x0
	buffer_gl1_inv
	buffer_gl0_inv
	s_barrier
.LBB4_1948:                             ;   in Loop: Header=BB4_1895 Depth=3
	s_or_b32 exec_lo, exec_lo, vcc_lo
.LBB4_1949:                             ;   in Loop: Header=BB4_1895 Depth=3
	v_writelane_b32 v122, s35, 5
	v_writelane_b32 v122, s31, 1
	;; [unrolled: 1-line block ×5, first 2 shown]
	s_or_b32 exec_lo, exec_lo, s13
	s_cbranch_execz .LBB4_1950
; %bb.11591:
	s_getpc_b64 s[48:49]
.Lpost_getpc204:
	s_add_u32 s48, s48, (.LBB4_10974-.Lpost_getpc204)&4294967295
	s_addc_u32 s49, s49, (.LBB4_10974-.Lpost_getpc204)>>32
	s_setpc_b64 s[48:49]
.LBB4_1950:                             ;   in Loop: Header=BB4_1895 Depth=3
	ds_load_b32 v8, v0
	v_and_b32_e32 v2, 0x4000, v30
	s_xor_b32 s13, s2, -1
	s_delay_alu instid0(VALU_DEP_1) | instskip(SKIP_1) | instid1(SALU_CYCLE_1)
	v_cmp_ne_u32_e32 vcc_lo, 0, v2
	s_and_b32 s14, s13, vcc_lo
	s_and_saveexec_b32 s13, s14
	s_cbranch_execz .LBB4_1972
; %bb.1951:                             ;   in Loop: Header=BB4_1895 Depth=3
	s_and_saveexec_b32 s14, s4
	s_delay_alu instid0(SALU_CYCLE_1)
	s_xor_b32 s14, exec_lo, s14
	s_cbranch_execz .LBB4_1969
; %bb.1952:                             ;   in Loop: Header=BB4_1895 Depth=3
	s_and_saveexec_b32 s30, s1
	s_cbranch_execz .LBB4_1968
; %bb.1953:                             ;   in Loop: Header=BB4_1895 Depth=3
	s_mov_b32 s34, exec_lo
	s_mov_b32 s31, exec_lo
	v_mbcnt_lo_u32_b32 v2, s34, 0
	s_waitcnt lgkmcnt(0)
	s_waitcnt_vscnt null, 0x0
	buffer_gl1_inv
	buffer_gl0_inv
	v_cmpx_eq_u32_e32 0, v2
	s_cbranch_execz .LBB4_1955
; %bb.1954:                             ;   in Loop: Header=BB4_1895 Depth=3
	s_bcnt1_i32_b32 vcc_lo, s34
	s_delay_alu instid0(SALU_CYCLE_1)
	v_mov_b32_e32 v2, vcc_lo
	ds_add_u64 v0, v[2:3]
	s_cbranch_execz .LBB4_1955
; %bb.11593:
	s_getpc_b64 s[48:49]
.Lpost_getpc205:
	s_add_u32 s48, s48, (.LBB4_11141-.Lpost_getpc205)&4294967295
	s_addc_u32 s49, s49, (.LBB4_11141-.Lpost_getpc205)>>32
	s_setpc_b64 s[48:49]
.LBB4_1955:                             ;   in Loop: Header=BB4_1895 Depth=3
	s_or_b32 exec_lo, exec_lo, s31
	s_cbranch_execz .LBB4_1956
; %bb.11595:
	s_getpc_b64 s[48:49]
.Lpost_getpc206:
	s_add_u32 s48, s48, (.LBB4_11131-.Lpost_getpc206)&4294967295
	s_addc_u32 s49, s49, (.LBB4_11131-.Lpost_getpc206)>>32
	s_setpc_b64 s[48:49]
.LBB4_1956:                             ;   in Loop: Header=BB4_1895 Depth=3
	ds_load_b64 v[9:10], v0
	v_add_co_u32 v32, vcc_lo, v32, v81
	v_add_co_ci_u32_e32 v33, vcc_lo, 0, v33, vcc_lo
	s_mov_b32 s31, exec_lo
	s_waitcnt lgkmcnt(0)
	s_delay_alu instid0(VALU_DEP_1)
	v_cmpx_lt_u64_e64 v[9:10], v[32:33]
	s_cbranch_execz .LBB4_1967
; %bb.1957:                             ;   in Loop: Header=BB4_1895 Depth=3
	s_mov_b32 s34, 0
	s_mov_b32 s37, 0
                                        ; implicit-def: $sgpr35
                                        ; implicit-def: $sgpr36
	s_branch .LBB4_1959
.LBB4_1958:                             ;   in Loop: Header=BB4_1959 Depth=4
	s_or_b32 exec_lo, exec_lo, s39
	s_delay_alu instid0(SALU_CYCLE_1) | instskip(NEXT) | instid1(SALU_CYCLE_1)
	s_and_b32 vcc_lo, exec_lo, vcc_lo
	s_or_b32 s34, vcc_lo, s34
	s_and_not1_b32 vcc_lo, s35, exec_lo
	s_and_b32 s35, s36, exec_lo
	s_delay_alu instid0(SALU_CYCLE_1)
	s_or_b32 s35, vcc_lo, s35
	s_and_not1_b32 exec_lo, exec_lo, s34
	s_cbranch_execz .LBB4_1965
.LBB4_1959:                             ;   Parent Loop BB4_51 Depth=1
                                        ;     Parent Loop BB4_1893 Depth=2
                                        ;       Parent Loop BB4_1895 Depth=3
                                        ; =>      This Inner Loop Header: Depth=4
	s_add_i32 s37, s37, 1
                                        ; implicit-def: $sgpr39
	s_delay_alu instid0(SALU_CYCLE_1) | instskip(SKIP_1) | instid1(SALU_CYCLE_1)
	s_cmpk_lg_i32 s37, 0x2710
	s_cselect_b32 s38, -1, 0
	s_and_b32 vcc_lo, exec_lo, s38
	s_cbranch_vccz .LBB4_1963
.LBB4_1960:                             ;   in Loop: Header=BB4_1959 Depth=4
	s_and_not1_b32 s36, s36, exec_lo
	s_and_b32 s39, s39, exec_lo
	s_mov_b32 vcc_lo, -1
	s_or_b32 s36, s36, s39
	s_and_saveexec_b32 s39, s38
	s_cbranch_execz .LBB4_1958
; %bb.1961:                             ;   in Loop: Header=BB4_1959 Depth=4
	s_sleep 1
	s_cbranch_execz .LBB4_1962
; %bb.11597:
	s_getpc_b64 s[48:49]
.Lpost_getpc207:
	s_add_u32 s48, s48, (.LBB4_11209-.Lpost_getpc207)&4294967295
	s_addc_u32 s49, s49, (.LBB4_11209-.Lpost_getpc207)>>32
	s_setpc_b64 s[48:49]
.LBB4_1962:                             ;   in Loop: Header=BB4_1959 Depth=4
	ds_load_b64 v[9:10], v0
	s_and_not1_b32 s36, s36, exec_lo
	s_waitcnt lgkmcnt(0)
	v_cmp_ge_u64_e32 vcc_lo, v[9:10], v[32:33]
	s_or_not1_b32 vcc_lo, vcc_lo, exec_lo
	s_branch .LBB4_1958
.LBB4_1963:                             ;   in Loop: Header=BB4_1959 Depth=4
	s_cbranch_execz .LBB4_1964
; %bb.11599:
	s_getpc_b64 s[48:49]
.Lpost_getpc208:
	s_add_u32 s48, s48, (.LBB4_11223-.Lpost_getpc208)&4294967295
	s_addc_u32 s49, s49, (.LBB4_11223-.Lpost_getpc208)>>32
	s_setpc_b64 s[48:49]
.LBB4_1964:                             ;   in Loop: Header=BB4_1959 Depth=4
	ds_load_b64 v[9:10], v0
	s_and_not1_b32 s38, s38, exec_lo
	s_mov_b32 s37, 0
	s_mov_b32 s39, -1
	s_waitcnt lgkmcnt(0)
	flat_load_b32 v2, v[9:10] glc
	s_waitcnt vmcnt(0) lgkmcnt(0)
	buffer_gl1_inv
	buffer_gl0_inv
	v_cmp_eq_u32_e32 vcc_lo, 0, v2
	s_and_b32 vcc_lo, vcc_lo, exec_lo
	s_delay_alu instid0(SALU_CYCLE_1)
	s_or_b32 s38, s38, vcc_lo
	s_branch .LBB4_1960
.LBB4_1965:                             ;   in Loop: Header=BB4_1895 Depth=3
	s_or_b32 exec_lo, exec_lo, s34
	s_and_saveexec_b32 vcc_lo, s35
	s_delay_alu instid0(SALU_CYCLE_1)
	s_xor_b32 vcc_lo, exec_lo, vcc_lo
	s_cbranch_execz .LBB4_1967
; %bb.1966:                             ;   in Loop: Header=BB4_1895 Depth=3
	ds_store_b32 v0, v118
	s_cbranch_execz .LBB4_1967
; %bb.11601:
	s_getpc_b64 s[48:49]
.Lpost_getpc209:
	s_add_u32 s48, s48, (.LBB4_11411-.Lpost_getpc209)&4294967295
	s_addc_u32 s49, s49, (.LBB4_11411-.Lpost_getpc209)>>32
	s_setpc_b64 s[48:49]
.LBB4_1967:                             ;   in Loop: Header=BB4_1895 Depth=3
	s_or_b32 exec_lo, exec_lo, s31
	;;#ASMSTART
	s_wakeup
	;;#ASMEND
.LBB4_1968:                             ;   in Loop: Header=BB4_1895 Depth=3
	s_or_b32 exec_lo, exec_lo, s30
.LBB4_1969:                             ;   in Loop: Header=BB4_1895 Depth=3
	s_and_not1_saveexec_b32 s14, s14
	s_cbranch_execz .LBB4_1971
; %bb.1970:                             ;   in Loop: Header=BB4_1895 Depth=3
	s_waitcnt lgkmcnt(0)
	s_waitcnt_vscnt null, 0x0
	buffer_gl1_inv
	buffer_gl0_inv
	s_barrier
.LBB4_1971:                             ;   in Loop: Header=BB4_1895 Depth=3
	s_or_b32 exec_lo, exec_lo, s14
.LBB4_1972:                             ;   in Loop: Header=BB4_1895 Depth=3
	s_delay_alu instid0(SALU_CYCLE_1)
	s_or_b32 exec_lo, exec_lo, s13
	s_cbranch_execz .LBB4_1973
; %bb.11603:
	s_getpc_b64 s[48:49]
.Lpost_getpc210:
	s_add_u32 s48, s48, (.LBB4_11017-.Lpost_getpc210)&4294967295
	s_addc_u32 s49, s49, (.LBB4_11017-.Lpost_getpc210)>>32
	s_setpc_b64 s[48:49]
.LBB4_1973:                             ;   in Loop: Header=BB4_1895 Depth=3
	ds_load_b64 v[9:10], v0
	v_mov_b32_e32 v53, 0
	s_waitcnt lgkmcnt(0)
	v_cmp_eq_u64_e32 vcc_lo, 0, v[9:10]
	s_or_b32 s13, vcc_lo, vcc_lo
	s_delay_alu instid0(SALU_CYCLE_1)
	s_and_b32 vcc_lo, exec_lo, s13
	s_cbranch_vccnz .LBB4_4645
; %bb.1974:                             ;   in Loop: Header=BB4_1895 Depth=3
	s_mov_b32 s13, -1
	s_and_saveexec_b32 s14, s12
	s_cbranch_execz .LBB4_1976
; %bb.1975:                             ;   in Loop: Header=BB4_1895 Depth=3
	ds_load_b32 v2, v0 offset:720
	s_waitcnt lgkmcnt(0)
	v_and_b32_e32 v2, 15, v2
	s_delay_alu instid0(VALU_DEP_1)
	v_cmp_eq_u32_e32 vcc_lo, 0, v2
	s_or_not1_b32 s13, vcc_lo, exec_lo
.LBB4_1976:                             ;   in Loop: Header=BB4_1895 Depth=3
	s_or_b32 exec_lo, exec_lo, s14
	s_and_saveexec_b32 s14, s6
	s_cbranch_execz .LBB4_1978
; %bb.1977:                             ;   in Loop: Header=BB4_1895 Depth=3
	ds_load_b32 v2, v0 offset:784
	s_waitcnt lgkmcnt(0)
	v_and_b32_e32 v2, 15, v2
	s_delay_alu instid0(VALU_DEP_1) | instskip(SKIP_3) | instid1(SALU_CYCLE_1)
	v_cmp_eq_u32_e32 vcc_lo, 0, v2
	s_and_b32 vcc_lo, s13, vcc_lo
	s_and_not1_b32 s13, s13, exec_lo
	s_and_b32 vcc_lo, vcc_lo, exec_lo
	s_or_b32 s13, s13, vcc_lo
.LBB4_1978:                             ;   in Loop: Header=BB4_1895 Depth=3
	s_or_b32 exec_lo, exec_lo, s14
	v_cmp_eq_u32_e32 vcc_lo, 0, v8
	s_xor_b32 s13, s13, -1
	v_mov_b32_e32 v8, v83
	v_cndmask_b32_e64 v2, 0, 1, s13
	;;#ASMSTART
	;;#ASMEND
	v_dual_cndmask_b32 v53, 0, v52 :: v_dual_mov_b32 v64, 0
	s_delay_alu instid0(VALU_DEP_2) | instskip(SKIP_1) | instid1(VALU_DEP_2)
	v_cmp_ne_u32_e32 vcc_lo, 0, v2
	s_mov_b32 s13, -1
	v_dual_mov_b32 v66, v0 :: v_dual_mov_b32 v65, v53
	s_cbranch_vccnz .LBB4_3932
; %bb.1979:                             ;   in Loop: Header=BB4_1895 Depth=3
	v_ashrrev_i32_e32 v2, 31, v53
	s_mov_b32 s14, exec_lo
	s_delay_alu instid0(VALU_DEP_1) | instskip(NEXT) | instid1(VALU_DEP_1)
	v_lshrrev_b32_e32 v2, 22, v2
	v_add_nc_u32_e32 v2, v53, v2
	s_delay_alu instid0(VALU_DEP_1) | instskip(NEXT) | instid1(VALU_DEP_1)
	v_ashrrev_i32_e32 v131, 10, v2
	v_sub_nc_u32_e32 v2, v131, v83
	s_delay_alu instid0(VALU_DEP_1)
	v_cmpx_lt_i32_e32 0, v2
	s_cbranch_execz .LBB4_3273
; %bb.1980:                             ;   in Loop: Header=BB4_1895 Depth=3
	s_cbranch_execz .LBB4_1981
; %bb.11605:
	s_getpc_b64 s[48:49]
.Lpost_getpc211:
	s_add_u32 s48, s48, (.LBB4_11173-.Lpost_getpc211)&4294967295
	s_addc_u32 s49, s49, (.LBB4_11173-.Lpost_getpc211)>>32
	s_setpc_b64 s[48:49]
.LBB4_1981:                             ;   in Loop: Header=BB4_1895 Depth=3
	ds_load_b64 v[12:13], v0
	ds_load_b128 v[8:11], v0
	s_waitcnt lgkmcnt(1)
	v_readfirstlane_b32 s13, v12
	s_waitcnt lgkmcnt(0)
	v_add_co_u32 v64, vcc_lo, v8, v114
	v_add_co_ci_u32_e32 v65, vcc_lo, v9, v115, vcc_lo
	s_delay_alu instid0(VALU_DEP_3)
	s_and_b32 s30, s13, 3
	v_add_co_u32 v66, vcc_lo, v10, v114
	s_clz_i32_u32 s31, s30
	v_add_co_ci_u32_e32 v67, vcc_lo, v11, v115, vcc_lo
	s_min_u32 s31, s31, 32
	s_bfe_u32 s34, s13, 0x50002
	s_sub_i32 vcc_lo, s31, 29
	s_sub_i32 s31, 30, s31
	s_lshl_b32 vcc_lo, s13, vcc_lo
	v_and_b32_e32 v132, 0xff, v12
	s_and_b32 s35, vcc_lo, 3
	v_add_co_u32 v68, vcc_lo, v12, v114
	s_cmp_eq_u32 s34, 0
	v_add_co_ci_u32_e32 v69, vcc_lo, v13, v115, vcc_lo
	s_cselect_b32 vcc_lo, s31, s34
	s_cselect_b32 s30, s35, s30
	s_lshl_b32 s13, s13, 24
	s_lshl_b32 vcc_lo, vcc_lo, 23
	s_and_b32 s13, s13, 0x80000000
	s_add_i32 vcc_lo, vcc_lo, 0x37800000
	s_lshl_b32 s31, s30, 21
	s_or_b32 s13, s13, vcc_lo
	s_mov_b32 s30, 0
	s_or_b32 s31, s13, s31
	s_branch .LBB4_1985
.LBB4_1982:                             ;   in Loop: Header=BB4_1985 Depth=4
	s_or_b32 exec_lo, exec_lo, s13
	s_delay_alu instid0(VALU_DEP_1) | instskip(NEXT) | instid1(VALU_DEP_2)
	v_lshrrev_b32_e32 v149, 21, v149
	v_min_i32_e32 v163, 31, v146
	v_cmp_gt_i32_e32 vcc_lo, 32, v146
	v_lshrrev_b32_e32 v11, 24, v11
	s_delay_alu instid0(VALU_DEP_3) | instskip(SKIP_1) | instid1(VALU_DEP_3)
	v_lshlrev_b32_e32 v163, 2, v163
	v_cndmask_b32_e32 v149, 3, v149, vcc_lo
	v_and_b32_e32 v11, 0x80, v11
	s_delay_alu instid0(VALU_DEP_3) | instskip(NEXT) | instid1(VALU_DEP_3)
	v_and_b32_e32 v163, 0xfc, v163
	v_and_b32_e32 v167, 3, v149
	v_or_b32_e32 v146, v146, v149
	s_delay_alu instid0(VALU_DEP_2) | instskip(NEXT) | instid1(VALU_DEP_2)
	v_or3_b32 v11, v11, v163, v167
	v_cmp_ne_u32_e32 vcc_lo, 0, v146
	s_delay_alu instid0(VALU_DEP_2) | instskip(NEXT) | instid1(VALU_DEP_1)
	v_lshlrev_b32_e32 v11, 8, v11
	v_cndmask_b32_e32 v146, 0, v11, vcc_lo
.LBB4_1983:                             ;   in Loop: Header=BB4_1985 Depth=4
	s_or_b32 exec_lo, exec_lo, s35
.LBB4_1984:                             ;   in Loop: Header=BB4_1985 Depth=4
	s_delay_alu instid0(SALU_CYCLE_1)
	s_or_b32 exec_lo, exec_lo, s34
	v_or_b32_e32 v11, v13, v182
	v_and_b32_e32 v149, 0xff, v151
	v_lshlrev_b32_e32 v151, 24, v12
	v_lshlrev_b32_e32 v12, 8, v145
	v_and_b32_e32 v145, 0xff, v183
	v_lshlrev_b32_e32 v163, 8, v40
	v_and_b32_e32 v13, 0xff, v166
	v_lshlrev_b32_e32 v11, 16, v11
	v_lshlrev_b32_e32 v149, 16, v149
	v_perm_b32 v133, v12, v133, 0xc0c0500
	v_lshlrev_b32_e32 v14, 24, v14
	v_lshlrev_b32_e32 v145, 16, v145
	v_perm_b32 v163, v163, v42, 0xc0c0500
	v_or_b32_e32 v15, v15, v178
	v_or3_b32 v12, v177, v13, v11
	v_or3_b32 v11, v151, v149, v133
	v_or_b32_e32 v9, v9, v160
	v_and_b32_e32 v133, 0xff, v164
	v_lshlrev_b32_e32 v149, 8, v165
	v_and_b32_e32 v147, 0xff, v147
	v_lshlrev_b32_e32 v148, 8, v148
	v_or_b32_e32 v134, v146, v134
	v_or3_b32 v13, v14, v145, v163
	v_and_b32_e32 v14, 0xff, v179
	v_lshlrev_b32_e32 v15, 16, v15
	v_and_b32_e32 v145, 0xff, v161
	v_lshlrev_b32_e32 v9, 16, v9
	v_lshlrev_b32_e32 v8, 24, v8
	;; [unrolled: 1-line block ×3, first 2 shown]
	v_perm_b32 v149, v149, v176, 0xc0c0500
	v_lshlrev_b32_e32 v10, 24, v10
	v_lshlrev_b32_e32 v147, 16, v147
	v_perm_b32 v148, v148, v150, 0xc0c0500
	v_and_b32_e32 v135, 0xff, v135
	v_lshlrev_b32_e32 v134, 16, v134
	v_add_co_u32 v64, vcc_lo, v64, v116
	v_or3_b32 v14, v180, v14, v15
	v_sub_nc_u32_e32 v2, v2, v81
	v_or3_b32 v146, v162, v145, v9
	v_or3_b32 v145, v8, v133, v149
	;; [unrolled: 1-line block ×4, first 2 shown]
	v_add_co_ci_u32_e32 v65, vcc_lo, v65, v117, vcc_lo
	v_add_co_u32 v66, vcc_lo, v66, v116
	v_add_co_ci_u32_e32 v67, vcc_lo, v67, v117, vcc_lo
	s_clause 0x1
	global_store_b128 v[68:69], v[11:14], off glc slc dlc
	global_store_b128 v[68:69], v[145:148], off offset:512 glc slc dlc
	v_cmp_gt_i32_e32 vcc_lo, 1, v2
	v_add_co_u32 v68, s13, v68, v116
	s_delay_alu instid0(VALU_DEP_1) | instskip(SKIP_1) | instid1(SALU_CYCLE_1)
	v_add_co_ci_u32_e64 v69, s13, v69, v117, s13
	s_or_b32 s30, vcc_lo, s30
	s_and_not1_b32 exec_lo, exec_lo, s30
	s_cbranch_execz .LBB4_3272
.LBB4_1985:                             ;   Parent Loop BB4_51 Depth=1
                                        ;     Parent Loop BB4_1893 Depth=2
                                        ;       Parent Loop BB4_1895 Depth=3
                                        ; =>      This Inner Loop Header: Depth=4
	v_cmp_gt_i16_e64 vcc_lo, 0x80, v132
	s_delay_alu instid0(VALU_DEP_1)
	s_and_b32 vcc_lo, exec_lo, vcc_lo
	s_cbranch_vccnz .LBB4_1989
; %bb.1986:                             ;   in Loop: Header=BB4_1985 Depth=4
	v_cmp_eq_u16_e64 vcc_lo, 0x80, v132
	s_mov_b32 s13, -1
                                        ; implicit-def: $sgpr34
	s_delay_alu instid0(VALU_DEP_1)
	s_and_b32 vcc_lo, exec_lo, vcc_lo
	s_cbranch_vccz .LBB4_1988
; %bb.1987:                             ;   in Loop: Header=BB4_1985 Depth=4
	s_mov_b32 s13, 0
	s_mov_b32 s34, 0x7f800001
.LBB4_1988:                             ;   in Loop: Header=BB4_1985 Depth=4
	s_mov_b32 vcc_lo, 0
	s_branch .LBB4_1990
.LBB4_1989:                             ;   in Loop: Header=BB4_1985 Depth=4
	s_mov_b32 vcc_lo, -1
	s_mov_b32 s13, 0
                                        ; implicit-def: $sgpr34
.LBB4_1990:                             ;   in Loop: Header=BB4_1985 Depth=4
	s_and_b32 vcc_lo, exec_lo, vcc_lo
	s_cbranch_vccz .LBB4_1992
; %bb.1991:                             ;   in Loop: Header=BB4_1985 Depth=4
	v_cmp_ne_u16_e64 s13, 0, v132
	s_mov_b32 s34, 0
.LBB4_1992:                             ;   in Loop: Header=BB4_1985 Depth=4
	s_delay_alu instid0(VALU_DEP_1)
	s_and_not1_b32 vcc_lo, exec_lo, s13
	s_cbranch_vccnz .LBB4_1994
; %bb.1993:                             ;   in Loop: Header=BB4_1985 Depth=4
	s_mov_b32 s34, s31
.LBB4_1994:                             ;   in Loop: Header=BB4_1985 Depth=4
	global_load_b128 v[8:11], v[64:65], off slc dlc
	s_mov_b32 s13, 0
	s_mov_b32 s36, exec_lo
                                        ; implicit-def: $sgpr35
	s_waitcnt vmcnt(0)
	v_and_b32_e32 v13, 0xff, v8
	s_delay_alu instid0(VALU_DEP_1)
	v_cmpx_lt_i16_e32 0x7f, v13
	s_xor_b32 s36, exec_lo, s36
	s_cbranch_execnz .LBB4_2888
; %bb.1995:                             ;   in Loop: Header=BB4_1985 Depth=4
	s_or_saveexec_b32 s36, s36
	v_mov_b32_e32 v12, s35
	s_xor_b32 exec_lo, exec_lo, s36
	s_cbranch_execnz .LBB4_2891
.LBB4_1996:                             ;   in Loop: Header=BB4_1985 Depth=4
	s_or_b32 exec_lo, exec_lo, s36
	s_and_saveexec_b32 s35, s13
	s_cbranch_execz .LBB4_1998
.LBB4_1997:                             ;   in Loop: Header=BB4_1985 Depth=4
	v_bfe_u32 v15, v8, 2, 5
	s_delay_alu instid0(VALU_DEP_1) | instskip(SKIP_1) | instid1(VALU_DEP_1)
	v_cmp_eq_u32_e32 vcc_lo, 0, v15
	v_and_b32_e32 v12, 3, v8
	v_clz_i32_u32_e32 v13, v12
	s_delay_alu instid0(VALU_DEP_1) | instskip(NEXT) | instid1(VALU_DEP_1)
	v_min_u32_e32 v13, 32, v13
	v_subrev_nc_u32_e32 v14, 29, v13
	v_sub_nc_u32_e32 v13, 30, v13
	s_delay_alu instid0(VALU_DEP_1) | instskip(NEXT) | instid1(VALU_DEP_1)
	v_dual_cndmask_b32 v13, v15, v13 :: v_dual_lshlrev_b32 v14, v14, v8
	v_and_b32_e32 v14, 3, v14
	v_lshlrev_b32_e32 v133, 24, v8
	s_delay_alu instid0(VALU_DEP_3) | instskip(NEXT) | instid1(VALU_DEP_3)
	v_lshl_add_u32 v13, v13, 23, 0x37800000
	v_cndmask_b32_e32 v12, v12, v14, vcc_lo
	s_delay_alu instid0(VALU_DEP_3) | instskip(NEXT) | instid1(VALU_DEP_2)
	v_and_b32_e32 v14, 0x80000000, v133
	v_lshlrev_b32_e32 v12, 21, v12
	s_delay_alu instid0(VALU_DEP_1)
	v_or3_b32 v12, v14, v13, v12
.LBB4_1998:                             ;   in Loop: Header=BB4_1985 Depth=4
	s_or_b32 exec_lo, exec_lo, s35
	s_delay_alu instid0(VALU_DEP_1) | instskip(SKIP_1) | instid1(VALU_DEP_1)
	v_dual_mul_f32 v12, s34, v12 :: v_dual_mov_b32 v133, 0x80
	s_mov_b32 s35, exec_lo
	v_and_b32_e32 v13, 0x7f800000, v12
	s_delay_alu instid0(VALU_DEP_1)
	v_cmpx_ne_u32_e32 0x7f800000, v13
	s_cbranch_execz .LBB4_2006
; %bb.1999:                             ;   in Loop: Header=BB4_1985 Depth=4
	v_mov_b32_e32 v133, 0
	s_mov_b32 s36, exec_lo
	v_cmpx_ne_u32_e32 0, v12
	s_cbranch_execz .LBB4_2005
; %bb.2000:                             ;   in Loop: Header=BB4_1985 Depth=4
	v_bfe_u32 v13, v12, 23, 8
	s_delay_alu instid0(VALU_DEP_1) | instskip(SKIP_1) | instid1(VALU_DEP_2)
	v_sub_nc_u32_e32 v15, 0x70, v13
	v_cmp_gt_u32_e32 vcc_lo, 0x71, v13
	v_dual_cndmask_b32 v15, 0, v15 :: v_dual_and_b32 v14, 0x7fffff, v12
	s_delay_alu instid0(VALU_DEP_1) | instskip(SKIP_2) | instid1(VALU_DEP_4)
	v_or_b32_e32 v133, 0x800000, v14
	v_cmp_eq_u32_e32 vcc_lo, 0, v13
	v_add_nc_u32_e32 v13, 0xffffff91, v13
	v_cndmask_b32_e64 v15, v15, 0x6f, vcc_lo
	s_delay_alu instid0(VALU_DEP_4) | instskip(NEXT) | instid1(VALU_DEP_3)
	v_cndmask_b32_e32 v14, v133, v14, vcc_lo
	v_cndmask_b32_e64 v13, v13, 0xffffff92, vcc_lo
	s_delay_alu instid0(VALU_DEP_3) | instskip(NEXT) | instid1(VALU_DEP_3)
	v_lshl_add_u32 v133, 0x200000, v15, -1
	v_lshrrev_b32_e32 v134, v15, v14
	v_lshlrev_b32_e64 v144, v15, 0x100000
	s_delay_alu instid0(VALU_DEP_4) | instskip(NEXT) | instid1(VALU_DEP_4)
	v_add_nc_u32_e32 v15, v15, v13
	v_and_b32_e32 v14, v133, v14
	s_delay_alu instid0(VALU_DEP_4) | instskip(NEXT) | instid1(VALU_DEP_2)
	v_bfe_u32 v135, v134, 21, 1
	v_cmp_eq_u32_e64 s13, v14, v144
	s_delay_alu instid0(VALU_DEP_2) | instskip(NEXT) | instid1(VALU_DEP_1)
	v_add_nc_u32_e32 v133, -1, v135
	v_cndmask_b32_e64 v14, 0, v133, s13
	v_lshrrev_b32_e32 v133, 23, v134
	s_mov_b32 s13, exec_lo
	s_delay_alu instid0(VALU_DEP_2) | instskip(NEXT) | instid1(VALU_DEP_2)
	v_add_nc_u32_e32 v14, v14, v134
	v_xor_b32_e32 v133, 1, v133
	s_delay_alu instid0(VALU_DEP_2) | instskip(NEXT) | instid1(VALU_DEP_1)
	v_and_b32_e32 v13, 0x1fffff, v14
	v_add_nc_u32_e32 v14, v13, v134
                                        ; implicit-def: $vgpr13
	s_delay_alu instid0(VALU_DEP_3)
	v_cmpx_ne_u32_e64 v15, v133
	s_xor_b32 s13, exec_lo, s13
; %bb.2001:                             ;   in Loop: Header=BB4_1985 Depth=4
	s_delay_alu instid0(VALU_DEP_2) | instskip(SKIP_2) | instid1(VALU_DEP_2)
	v_cmp_lt_u32_e32 vcc_lo, 0xffffff, v14
	v_sub_nc_u32_e32 v13, v15, v133
	v_cndmask_b32_e64 v15, 0, 1, vcc_lo
	v_add_co_ci_u32_e32 v13, vcc_lo, 0, v13, vcc_lo
	s_delay_alu instid0(VALU_DEP_2)
	v_lshrrev_b32_e32 v14, v15, v14
; %bb.2002:                             ;   in Loop: Header=BB4_1985 Depth=4
	s_and_not1_saveexec_b32 s13, s13
; %bb.2003:                             ;   in Loop: Header=BB4_1985 Depth=4
	s_delay_alu instid0(VALU_DEP_1)
	v_bfe_u32 v13, v14, 23, 1
; %bb.2004:                             ;   in Loop: Header=BB4_1985 Depth=4
	s_or_b32 exec_lo, exec_lo, s13
	v_lshrrev_b32_e32 v14, 21, v14
	s_delay_alu instid0(VALU_DEP_2) | instskip(SKIP_2) | instid1(VALU_DEP_4)
	v_cmp_gt_i32_e32 vcc_lo, 32, v13
	v_lshrrev_b32_e32 v12, 24, v12
	v_min_i32_e32 v15, 31, v13
	v_cndmask_b32_e32 v14, 3, v14, vcc_lo
	s_delay_alu instid0(VALU_DEP_3) | instskip(NEXT) | instid1(VALU_DEP_3)
	v_and_b32_e32 v12, 0x80, v12
	v_lshlrev_b32_e32 v15, 2, v15
	s_delay_alu instid0(VALU_DEP_3) | instskip(SKIP_1) | instid1(VALU_DEP_2)
	v_and_b32_e32 v133, 3, v14
	v_or_b32_e32 v13, v13, v14
	v_or3_b32 v12, v15, v12, v133
	s_delay_alu instid0(VALU_DEP_2) | instskip(NEXT) | instid1(VALU_DEP_2)
	v_cmp_ne_u32_e32 vcc_lo, 0, v13
	v_cndmask_b32_e32 v133, 0, v12, vcc_lo
.LBB4_2005:                             ;   in Loop: Header=BB4_1985 Depth=4
	s_or_b32 exec_lo, exec_lo, s36
.LBB4_2006:                             ;   in Loop: Header=BB4_1985 Depth=4
	s_delay_alu instid0(SALU_CYCLE_1) | instskip(SKIP_3) | instid1(VALU_DEP_1)
	s_or_b32 exec_lo, exec_lo, s35
	v_lshrrev_b16 v12, 8, v8
	s_mov_b32 s13, 0
	s_mov_b32 s36, exec_lo
                                        ; implicit-def: $sgpr35
	v_cmpx_lt_i16_e32 0x7f, v12
	s_xor_b32 s36, exec_lo, s36
	s_cbranch_execnz .LBB4_2892
; %bb.2007:                             ;   in Loop: Header=BB4_1985 Depth=4
	s_or_saveexec_b32 s36, s36
	v_mov_b32_e32 v13, s35
	s_xor_b32 exec_lo, exec_lo, s36
	s_cbranch_execnz .LBB4_2895
.LBB4_2008:                             ;   in Loop: Header=BB4_1985 Depth=4
	s_or_b32 exec_lo, exec_lo, s36
	s_and_saveexec_b32 s35, s13
	s_cbranch_execz .LBB4_2010
.LBB4_2009:                             ;   in Loop: Header=BB4_1985 Depth=4
	v_and_b32_e32 v13, 0xffff, v12
	v_lshlrev_b32_e32 v12, 24, v12
	s_delay_alu instid0(VALU_DEP_2) | instskip(NEXT) | instid1(VALU_DEP_2)
	v_and_b32_e32 v14, 3, v13
	v_and_b32_e32 v12, 0x80000000, v12
	s_delay_alu instid0(VALU_DEP_2) | instskip(NEXT) | instid1(VALU_DEP_1)
	v_clz_i32_u32_e32 v15, v14
	v_min_u32_e32 v15, 32, v15
	s_delay_alu instid0(VALU_DEP_1) | instskip(SKIP_1) | instid1(VALU_DEP_2)
	v_subrev_nc_u32_e32 v134, 29, v15
	v_sub_nc_u32_e32 v15, 30, v15
	v_lshlrev_b32_e32 v134, v134, v13
	v_bfe_u32 v13, v13, 2, 5
	s_delay_alu instid0(VALU_DEP_2) | instskip(NEXT) | instid1(VALU_DEP_2)
	v_and_b32_e32 v134, 3, v134
	v_cmp_eq_u32_e32 vcc_lo, 0, v13
	s_delay_alu instid0(VALU_DEP_2) | instskip(NEXT) | instid1(VALU_DEP_1)
	v_dual_cndmask_b32 v13, v13, v15 :: v_dual_cndmask_b32 v14, v14, v134
	v_lshl_add_u32 v13, v13, 23, 0x37800000
	s_delay_alu instid0(VALU_DEP_2) | instskip(NEXT) | instid1(VALU_DEP_1)
	v_lshlrev_b32_e32 v14, 21, v14
	v_or3_b32 v13, v12, v13, v14
.LBB4_2010:                             ;   in Loop: Header=BB4_1985 Depth=4
	s_or_b32 exec_lo, exec_lo, s35
	s_delay_alu instid0(VALU_DEP_1) | instskip(SKIP_1) | instid1(VALU_DEP_1)
	v_dual_mul_f32 v12, s34, v13 :: v_dual_mov_b32 v145, 0x80
	s_mov_b32 s35, exec_lo
	v_and_b32_e32 v13, 0x7f800000, v12
	s_delay_alu instid0(VALU_DEP_1)
	v_cmpx_ne_u32_e32 0x7f800000, v13
	s_cbranch_execz .LBB4_2018
; %bb.2011:                             ;   in Loop: Header=BB4_1985 Depth=4
	v_mov_b32_e32 v145, 0
	s_mov_b32 s36, exec_lo
	v_cmpx_ne_u32_e32 0, v12
	s_cbranch_execz .LBB4_2017
; %bb.2012:                             ;   in Loop: Header=BB4_1985 Depth=4
	v_bfe_u32 v13, v12, 23, 8
	s_delay_alu instid0(VALU_DEP_1) | instskip(SKIP_1) | instid1(VALU_DEP_2)
	v_sub_nc_u32_e32 v15, 0x70, v13
	v_cmp_gt_u32_e32 vcc_lo, 0x71, v13
	v_dual_cndmask_b32 v15, 0, v15 :: v_dual_and_b32 v14, 0x7fffff, v12
	s_delay_alu instid0(VALU_DEP_1) | instskip(SKIP_2) | instid1(VALU_DEP_4)
	v_or_b32_e32 v134, 0x800000, v14
	v_cmp_eq_u32_e32 vcc_lo, 0, v13
	v_add_nc_u32_e32 v13, 0xffffff91, v13
	v_cndmask_b32_e64 v15, v15, 0x6f, vcc_lo
	s_delay_alu instid0(VALU_DEP_4) | instskip(NEXT) | instid1(VALU_DEP_3)
	v_cndmask_b32_e32 v14, v134, v14, vcc_lo
	v_cndmask_b32_e64 v13, v13, 0xffffff92, vcc_lo
	s_delay_alu instid0(VALU_DEP_3) | instskip(NEXT) | instid1(VALU_DEP_3)
	v_lshl_add_u32 v134, 0x200000, v15, -1
	v_lshrrev_b32_e32 v135, v15, v14
	v_lshlrev_b32_e64 v145, v15, 0x100000
	s_delay_alu instid0(VALU_DEP_4) | instskip(NEXT) | instid1(VALU_DEP_4)
	v_add_nc_u32_e32 v15, v15, v13
	v_and_b32_e32 v14, v134, v14
	s_delay_alu instid0(VALU_DEP_4) | instskip(NEXT) | instid1(VALU_DEP_2)
	v_bfe_u32 v144, v135, 21, 1
	v_cmp_eq_u32_e64 s13, v14, v145
	s_delay_alu instid0(VALU_DEP_2) | instskip(NEXT) | instid1(VALU_DEP_1)
	v_add_nc_u32_e32 v134, -1, v144
	v_cndmask_b32_e64 v14, 0, v134, s13
	v_lshrrev_b32_e32 v134, 23, v135
	s_mov_b32 s13, exec_lo
	s_delay_alu instid0(VALU_DEP_2) | instskip(NEXT) | instid1(VALU_DEP_2)
	v_add_nc_u32_e32 v14, v14, v135
	v_xor_b32_e32 v134, 1, v134
	s_delay_alu instid0(VALU_DEP_2) | instskip(NEXT) | instid1(VALU_DEP_1)
	v_and_b32_e32 v13, 0x1fffff, v14
	v_add_nc_u32_e32 v14, v13, v135
                                        ; implicit-def: $vgpr13
	s_delay_alu instid0(VALU_DEP_3)
	v_cmpx_ne_u32_e64 v15, v134
	s_xor_b32 s13, exec_lo, s13
; %bb.2013:                             ;   in Loop: Header=BB4_1985 Depth=4
	s_delay_alu instid0(VALU_DEP_2) | instskip(SKIP_2) | instid1(VALU_DEP_2)
	v_cmp_lt_u32_e32 vcc_lo, 0xffffff, v14
	v_sub_nc_u32_e32 v13, v15, v134
	v_cndmask_b32_e64 v15, 0, 1, vcc_lo
	v_add_co_ci_u32_e32 v13, vcc_lo, 0, v13, vcc_lo
	s_delay_alu instid0(VALU_DEP_2)
	v_lshrrev_b32_e32 v14, v15, v14
; %bb.2014:                             ;   in Loop: Header=BB4_1985 Depth=4
	s_and_not1_saveexec_b32 s13, s13
; %bb.2015:                             ;   in Loop: Header=BB4_1985 Depth=4
	s_delay_alu instid0(VALU_DEP_1)
	v_bfe_u32 v13, v14, 23, 1
; %bb.2016:                             ;   in Loop: Header=BB4_1985 Depth=4
	s_or_b32 exec_lo, exec_lo, s13
	v_lshrrev_b32_e32 v14, 21, v14
	s_delay_alu instid0(VALU_DEP_2) | instskip(SKIP_2) | instid1(VALU_DEP_2)
	v_cmp_gt_i32_e32 vcc_lo, 32, v13
	v_min_i32_e32 v15, 31, v13
	v_lshrrev_b32_e32 v12, 24, v12
	v_dual_cndmask_b32 v14, 3, v14 :: v_dual_lshlrev_b32 v15, 2, v15
	s_delay_alu instid0(VALU_DEP_2) | instskip(NEXT) | instid1(VALU_DEP_2)
	v_and_b32_e32 v12, 0x80, v12
	v_or_b32_e32 v13, v13, v14
	s_delay_alu instid0(VALU_DEP_1) | instskip(SKIP_1) | instid1(VALU_DEP_1)
	v_cmp_ne_u32_e32 vcc_lo, 0, v13
	v_and_b32_e32 v134, 3, v14
	v_or3_b32 v12, v15, v12, v134
	s_delay_alu instid0(VALU_DEP_1)
	v_cndmask_b32_e32 v145, 0, v12, vcc_lo
.LBB4_2017:                             ;   in Loop: Header=BB4_1985 Depth=4
	s_or_b32 exec_lo, exec_lo, s36
.LBB4_2018:                             ;   in Loop: Header=BB4_1985 Depth=4
	s_delay_alu instid0(SALU_CYCLE_1) | instskip(SKIP_3) | instid1(VALU_DEP_1)
	s_or_b32 exec_lo, exec_lo, s35
	v_lshrrev_b32_e32 v12, 16, v8
	s_mov_b32 s13, 0
	s_mov_b32 s36, exec_lo
                                        ; implicit-def: $sgpr35
	v_and_b32_e32 v14, 0xff, v12
	s_delay_alu instid0(VALU_DEP_1)
	v_cmpx_lt_i16_e32 0x7f, v14
	s_xor_b32 s36, exec_lo, s36
	s_cbranch_execnz .LBB4_2896
; %bb.2019:                             ;   in Loop: Header=BB4_1985 Depth=4
	s_or_saveexec_b32 s36, s36
	v_mov_b32_e32 v13, s35
	s_xor_b32 exec_lo, exec_lo, s36
	s_cbranch_execnz .LBB4_2899
.LBB4_2020:                             ;   in Loop: Header=BB4_1985 Depth=4
	s_or_b32 exec_lo, exec_lo, s36
	s_and_saveexec_b32 s35, s13
	s_cbranch_execz .LBB4_2022
.LBB4_2021:                             ;   in Loop: Header=BB4_1985 Depth=4
	v_bfe_u32 v13, v8, 16, 2
	v_lshlrev_b32_e32 v134, 8, v8
	s_delay_alu instid0(VALU_DEP_2) | instskip(NEXT) | instid1(VALU_DEP_1)
	v_clz_i32_u32_e32 v14, v13
	v_min_u32_e32 v14, 32, v14
	s_delay_alu instid0(VALU_DEP_1) | instskip(SKIP_1) | instid1(VALU_DEP_2)
	v_subrev_nc_u32_e32 v15, 29, v14
	v_sub_nc_u32_e32 v14, 30, v14
	v_lshlrev_b32_e32 v12, v15, v12
	v_bfe_u32 v15, v8, 18, 5
	s_delay_alu instid0(VALU_DEP_2) | instskip(NEXT) | instid1(VALU_DEP_2)
	v_and_b32_e32 v12, 3, v12
	v_cmp_eq_u32_e32 vcc_lo, 0, v15
	v_cndmask_b32_e32 v14, v15, v14, vcc_lo
	s_delay_alu instid0(VALU_DEP_3) | instskip(NEXT) | instid1(VALU_DEP_2)
	v_dual_cndmask_b32 v12, v13, v12 :: v_dual_and_b32 v13, 0x80000000, v134
	v_lshl_add_u32 v14, v14, 23, 0x37800000
	s_delay_alu instid0(VALU_DEP_2) | instskip(NEXT) | instid1(VALU_DEP_1)
	v_lshlrev_b32_e32 v12, 21, v12
	v_or3_b32 v13, v13, v14, v12
.LBB4_2022:                             ;   in Loop: Header=BB4_1985 Depth=4
	s_or_b32 exec_lo, exec_lo, s35
	s_delay_alu instid0(VALU_DEP_1) | instskip(SKIP_1) | instid1(VALU_DEP_1)
	v_dual_mul_f32 v12, s34, v13 :: v_dual_mov_b32 v151, 0x80
	s_mov_b32 s35, exec_lo
	v_and_b32_e32 v13, 0x7f800000, v12
	s_delay_alu instid0(VALU_DEP_1)
	v_cmpx_ne_u32_e32 0x7f800000, v13
	s_cbranch_execz .LBB4_2030
; %bb.2023:                             ;   in Loop: Header=BB4_1985 Depth=4
	v_mov_b32_e32 v151, 0
	s_mov_b32 s36, exec_lo
	v_cmpx_ne_u32_e32 0, v12
	s_cbranch_execz .LBB4_2029
; %bb.2024:                             ;   in Loop: Header=BB4_1985 Depth=4
	v_bfe_u32 v13, v12, 23, 8
	s_delay_alu instid0(VALU_DEP_1) | instskip(SKIP_1) | instid1(VALU_DEP_2)
	v_sub_nc_u32_e32 v15, 0x70, v13
	v_cmp_gt_u32_e32 vcc_lo, 0x71, v13
	v_dual_cndmask_b32 v15, 0, v15 :: v_dual_and_b32 v14, 0x7fffff, v12
	s_delay_alu instid0(VALU_DEP_1) | instskip(SKIP_2) | instid1(VALU_DEP_4)
	v_or_b32_e32 v134, 0x800000, v14
	v_cmp_eq_u32_e32 vcc_lo, 0, v13
	v_add_nc_u32_e32 v13, 0xffffff91, v13
	v_cndmask_b32_e64 v15, v15, 0x6f, vcc_lo
	s_delay_alu instid0(VALU_DEP_4) | instskip(NEXT) | instid1(VALU_DEP_3)
	v_cndmask_b32_e32 v14, v134, v14, vcc_lo
	v_cndmask_b32_e64 v13, v13, 0xffffff92, vcc_lo
	s_delay_alu instid0(VALU_DEP_3) | instskip(NEXT) | instid1(VALU_DEP_3)
	v_lshl_add_u32 v134, 0x200000, v15, -1
	v_lshrrev_b32_e32 v135, v15, v14
	v_lshlrev_b32_e64 v146, v15, 0x100000
	s_delay_alu instid0(VALU_DEP_4) | instskip(NEXT) | instid1(VALU_DEP_4)
	v_add_nc_u32_e32 v15, v15, v13
	v_and_b32_e32 v14, v134, v14
	s_delay_alu instid0(VALU_DEP_4) | instskip(NEXT) | instid1(VALU_DEP_2)
	v_bfe_u32 v144, v135, 21, 1
	v_cmp_eq_u32_e64 s13, v14, v146
	s_delay_alu instid0(VALU_DEP_2) | instskip(NEXT) | instid1(VALU_DEP_1)
	v_add_nc_u32_e32 v134, -1, v144
	v_cndmask_b32_e64 v14, 0, v134, s13
	v_lshrrev_b32_e32 v134, 23, v135
	s_mov_b32 s13, exec_lo
	s_delay_alu instid0(VALU_DEP_2) | instskip(NEXT) | instid1(VALU_DEP_2)
	v_add_nc_u32_e32 v14, v14, v135
	v_xor_b32_e32 v134, 1, v134
	s_delay_alu instid0(VALU_DEP_2) | instskip(NEXT) | instid1(VALU_DEP_1)
	v_and_b32_e32 v13, 0x1fffff, v14
	v_add_nc_u32_e32 v14, v13, v135
                                        ; implicit-def: $vgpr13
	s_delay_alu instid0(VALU_DEP_3)
	v_cmpx_ne_u32_e64 v15, v134
	s_xor_b32 s13, exec_lo, s13
; %bb.2025:                             ;   in Loop: Header=BB4_1985 Depth=4
	s_delay_alu instid0(VALU_DEP_2) | instskip(SKIP_2) | instid1(VALU_DEP_2)
	v_cmp_lt_u32_e32 vcc_lo, 0xffffff, v14
	v_sub_nc_u32_e32 v13, v15, v134
	v_cndmask_b32_e64 v15, 0, 1, vcc_lo
	v_add_co_ci_u32_e32 v13, vcc_lo, 0, v13, vcc_lo
	s_delay_alu instid0(VALU_DEP_2)
	v_lshrrev_b32_e32 v14, v15, v14
; %bb.2026:                             ;   in Loop: Header=BB4_1985 Depth=4
	s_and_not1_saveexec_b32 s13, s13
; %bb.2027:                             ;   in Loop: Header=BB4_1985 Depth=4
	s_delay_alu instid0(VALU_DEP_1)
	v_bfe_u32 v13, v14, 23, 1
; %bb.2028:                             ;   in Loop: Header=BB4_1985 Depth=4
	s_or_b32 exec_lo, exec_lo, s13
	v_lshrrev_b32_e32 v14, 21, v14
	s_delay_alu instid0(VALU_DEP_2) | instskip(SKIP_2) | instid1(VALU_DEP_2)
	v_cmp_gt_i32_e32 vcc_lo, 32, v13
	v_min_i32_e32 v15, 31, v13
	v_lshrrev_b32_e32 v12, 24, v12
	v_dual_cndmask_b32 v14, 3, v14 :: v_dual_lshlrev_b32 v15, 2, v15
	s_delay_alu instid0(VALU_DEP_2) | instskip(NEXT) | instid1(VALU_DEP_2)
	v_and_b32_e32 v12, 0x80, v12
	v_or_b32_e32 v13, v13, v14
	s_delay_alu instid0(VALU_DEP_1) | instskip(SKIP_1) | instid1(VALU_DEP_1)
	v_cmp_ne_u32_e32 vcc_lo, 0, v13
	v_and_b32_e32 v134, 3, v14
	v_or3_b32 v12, v15, v12, v134
	s_delay_alu instid0(VALU_DEP_1)
	v_cndmask_b32_e32 v151, 0, v12, vcc_lo
.LBB4_2029:                             ;   in Loop: Header=BB4_1985 Depth=4
	s_or_b32 exec_lo, exec_lo, s36
.LBB4_2030:                             ;   in Loop: Header=BB4_1985 Depth=4
	s_delay_alu instid0(SALU_CYCLE_1) | instskip(SKIP_3) | instid1(VALU_DEP_1)
	s_or_b32 exec_lo, exec_lo, s35
	v_lshrrev_b32_e32 v12, 24, v8
	s_mov_b32 s13, 0
	s_mov_b32 s36, exec_lo
                                        ; implicit-def: $sgpr35
	v_cmpx_lt_i16_e32 0x7f, v12
	s_xor_b32 s36, exec_lo, s36
	s_cbranch_execnz .LBB4_2900
; %bb.2031:                             ;   in Loop: Header=BB4_1985 Depth=4
	s_or_saveexec_b32 s36, s36
	v_mov_b32_e32 v13, s35
	s_xor_b32 exec_lo, exec_lo, s36
	s_cbranch_execnz .LBB4_2903
.LBB4_2032:                             ;   in Loop: Header=BB4_1985 Depth=4
	s_or_b32 exec_lo, exec_lo, s36
	s_and_saveexec_b32 s35, s13
	s_cbranch_execz .LBB4_2034
.LBB4_2033:                             ;   in Loop: Header=BB4_1985 Depth=4
	v_bfe_u32 v13, v8, 24, 2
	s_delay_alu instid0(VALU_DEP_1) | instskip(NEXT) | instid1(VALU_DEP_1)
	v_clz_i32_u32_e32 v14, v13
	v_min_u32_e32 v14, 32, v14
	s_delay_alu instid0(VALU_DEP_1) | instskip(SKIP_1) | instid1(VALU_DEP_2)
	v_subrev_nc_u32_e32 v15, 29, v14
	v_sub_nc_u32_e32 v14, 30, v14
	v_lshlrev_b32_e32 v12, v15, v12
	v_bfe_u32 v15, v8, 26, 5
	v_and_b32_e32 v8, 0x80000000, v8
	s_delay_alu instid0(VALU_DEP_3) | instskip(NEXT) | instid1(VALU_DEP_3)
	v_and_b32_e32 v12, 3, v12
	v_cmp_eq_u32_e32 vcc_lo, 0, v15
	v_cndmask_b32_e32 v14, v15, v14, vcc_lo
	s_delay_alu instid0(VALU_DEP_3) | instskip(NEXT) | instid1(VALU_DEP_2)
	v_cndmask_b32_e32 v12, v13, v12, vcc_lo
	v_lshl_add_u32 v13, v14, 23, 0x37800000
	s_delay_alu instid0(VALU_DEP_2) | instskip(NEXT) | instid1(VALU_DEP_1)
	v_lshlrev_b32_e32 v12, 21, v12
	v_or3_b32 v13, v8, v13, v12
.LBB4_2034:                             ;   in Loop: Header=BB4_1985 Depth=4
	s_or_b32 exec_lo, exec_lo, s35
	s_delay_alu instid0(VALU_DEP_1) | instskip(SKIP_1) | instid1(VALU_DEP_1)
	v_dual_mul_f32 v8, s34, v13 :: v_dual_mov_b32 v177, 0x80
	s_mov_b32 s35, exec_lo
	v_and_b32_e32 v12, 0x7f800000, v8
	s_delay_alu instid0(VALU_DEP_1)
	v_cmpx_ne_u32_e32 0x7f800000, v12
	s_cbranch_execz .LBB4_2042
; %bb.2035:                             ;   in Loop: Header=BB4_1985 Depth=4
	v_mov_b32_e32 v177, 0
	s_mov_b32 s36, exec_lo
	v_cmpx_ne_u32_e32 0, v8
	s_cbranch_execz .LBB4_2041
; %bb.2036:                             ;   in Loop: Header=BB4_1985 Depth=4
	v_bfe_u32 v12, v8, 23, 8
	s_delay_alu instid0(VALU_DEP_1) | instskip(SKIP_1) | instid1(VALU_DEP_2)
	v_sub_nc_u32_e32 v14, 0x70, v12
	v_cmp_gt_u32_e32 vcc_lo, 0x71, v12
	v_dual_cndmask_b32 v14, 0, v14 :: v_dual_and_b32 v13, 0x7fffff, v8
	s_delay_alu instid0(VALU_DEP_1) | instskip(SKIP_2) | instid1(VALU_DEP_4)
	v_or_b32_e32 v15, 0x800000, v13
	v_cmp_eq_u32_e32 vcc_lo, 0, v12
	v_add_nc_u32_e32 v12, 0xffffff91, v12
	v_cndmask_b32_e64 v14, v14, 0x6f, vcc_lo
	s_delay_alu instid0(VALU_DEP_4) | instskip(NEXT) | instid1(VALU_DEP_3)
	v_cndmask_b32_e32 v13, v15, v13, vcc_lo
	v_cndmask_b32_e64 v12, v12, 0xffffff92, vcc_lo
	s_delay_alu instid0(VALU_DEP_3) | instskip(NEXT) | instid1(VALU_DEP_3)
	v_lshl_add_u32 v15, 0x200000, v14, -1
	v_lshrrev_b32_e32 v134, v14, v13
	v_lshlrev_b32_e64 v144, v14, 0x100000
	s_delay_alu instid0(VALU_DEP_4) | instskip(NEXT) | instid1(VALU_DEP_4)
	v_add_nc_u32_e32 v14, v14, v12
	v_and_b32_e32 v13, v15, v13
	s_delay_alu instid0(VALU_DEP_4) | instskip(NEXT) | instid1(VALU_DEP_2)
	v_bfe_u32 v135, v134, 21, 1
	v_cmp_eq_u32_e64 s13, v13, v144
	s_delay_alu instid0(VALU_DEP_2) | instskip(NEXT) | instid1(VALU_DEP_1)
	v_add_nc_u32_e32 v15, -1, v135
	v_cndmask_b32_e64 v13, 0, v15, s13
	v_lshrrev_b32_e32 v15, 23, v134
	s_mov_b32 s13, exec_lo
	s_delay_alu instid0(VALU_DEP_2) | instskip(NEXT) | instid1(VALU_DEP_2)
	v_add_nc_u32_e32 v13, v13, v134
	v_xor_b32_e32 v15, 1, v15
	s_delay_alu instid0(VALU_DEP_2) | instskip(NEXT) | instid1(VALU_DEP_1)
	v_and_b32_e32 v12, 0x1fffff, v13
	v_add_nc_u32_e32 v13, v12, v134
                                        ; implicit-def: $vgpr12
	s_delay_alu instid0(VALU_DEP_3)
	v_cmpx_ne_u32_e64 v14, v15
	s_xor_b32 s13, exec_lo, s13
; %bb.2037:                             ;   in Loop: Header=BB4_1985 Depth=4
	s_delay_alu instid0(VALU_DEP_2) | instskip(SKIP_2) | instid1(VALU_DEP_2)
	v_cmp_lt_u32_e32 vcc_lo, 0xffffff, v13
	v_sub_nc_u32_e32 v12, v14, v15
	v_cndmask_b32_e64 v14, 0, 1, vcc_lo
	v_add_co_ci_u32_e32 v12, vcc_lo, 0, v12, vcc_lo
	s_delay_alu instid0(VALU_DEP_2)
	v_lshrrev_b32_e32 v13, v14, v13
; %bb.2038:                             ;   in Loop: Header=BB4_1985 Depth=4
	s_and_not1_saveexec_b32 s13, s13
; %bb.2039:                             ;   in Loop: Header=BB4_1985 Depth=4
	s_delay_alu instid0(VALU_DEP_1)
	v_bfe_u32 v12, v13, 23, 1
; %bb.2040:                             ;   in Loop: Header=BB4_1985 Depth=4
	s_or_b32 exec_lo, exec_lo, s13
	v_lshrrev_b32_e32 v13, 21, v13
	s_delay_alu instid0(VALU_DEP_2) | instskip(SKIP_2) | instid1(VALU_DEP_2)
	v_cmp_gt_i32_e32 vcc_lo, 32, v12
	v_lshrrev_b32_e32 v8, 24, v8
	v_min_i32_e32 v14, 31, v12
	v_dual_cndmask_b32 v13, 3, v13 :: v_dual_and_b32 v8, 0x80, v8
	s_delay_alu instid0(VALU_DEP_1) | instskip(SKIP_1) | instid1(VALU_DEP_2)
	v_or_b32_e32 v12, v12, v13
	v_and_b32_e32 v15, 3, v13
	v_cmp_ne_u32_e32 vcc_lo, 0, v12
	v_lshlrev_b32_e32 v14, 2, v14
	s_delay_alu instid0(VALU_DEP_1) | instskip(NEXT) | instid1(VALU_DEP_1)
	v_or3_b32 v8, v14, v8, v15
	v_cndmask_b32_e32 v177, 0, v8, vcc_lo
.LBB4_2041:                             ;   in Loop: Header=BB4_1985 Depth=4
	s_or_b32 exec_lo, exec_lo, s36
.LBB4_2042:                             ;   in Loop: Header=BB4_1985 Depth=4
	s_delay_alu instid0(SALU_CYCLE_1) | instskip(SKIP_3) | instid1(VALU_DEP_1)
	s_or_b32 exec_lo, exec_lo, s35
	v_and_b32_e32 v12, 0xff, v9
	s_mov_b32 s13, 0
	s_mov_b32 s36, exec_lo
                                        ; implicit-def: $sgpr35
	v_cmpx_lt_i16_e32 0x7f, v12
	s_xor_b32 s36, exec_lo, s36
	s_cbranch_execnz .LBB4_2904
; %bb.2043:                             ;   in Loop: Header=BB4_1985 Depth=4
	s_or_saveexec_b32 s36, s36
	v_mov_b32_e32 v8, s35
	s_xor_b32 exec_lo, exec_lo, s36
	s_cbranch_execnz .LBB4_2907
.LBB4_2044:                             ;   in Loop: Header=BB4_1985 Depth=4
	s_or_b32 exec_lo, exec_lo, s36
	s_and_saveexec_b32 s35, s13
	s_cbranch_execz .LBB4_2046
.LBB4_2045:                             ;   in Loop: Header=BB4_1985 Depth=4
	v_and_b32_e32 v8, 3, v9
	v_bfe_u32 v14, v9, 2, 5
	v_lshlrev_b32_e32 v15, 24, v9
	s_delay_alu instid0(VALU_DEP_3) | instskip(NEXT) | instid1(VALU_DEP_3)
	v_clz_i32_u32_e32 v12, v8
	v_cmp_eq_u32_e32 vcc_lo, 0, v14
	s_delay_alu instid0(VALU_DEP_2) | instskip(NEXT) | instid1(VALU_DEP_1)
	v_min_u32_e32 v12, 32, v12
	v_subrev_nc_u32_e32 v13, 29, v12
	v_sub_nc_u32_e32 v12, 30, v12
	s_delay_alu instid0(VALU_DEP_1) | instskip(NEXT) | instid1(VALU_DEP_1)
	v_dual_cndmask_b32 v12, v14, v12 :: v_dual_lshlrev_b32 v13, v13, v9
	v_and_b32_e32 v13, 3, v13
	s_delay_alu instid0(VALU_DEP_2) | instskip(NEXT) | instid1(VALU_DEP_2)
	v_lshl_add_u32 v12, v12, 23, 0x37800000
	v_dual_cndmask_b32 v8, v8, v13 :: v_dual_and_b32 v13, 0x80000000, v15
	s_delay_alu instid0(VALU_DEP_1) | instskip(NEXT) | instid1(VALU_DEP_1)
	v_lshlrev_b32_e32 v8, 21, v8
	v_or3_b32 v8, v13, v12, v8
.LBB4_2046:                             ;   in Loop: Header=BB4_1985 Depth=4
	s_or_b32 exec_lo, exec_lo, s35
	s_delay_alu instid0(VALU_DEP_1) | instskip(SKIP_2) | instid1(VALU_DEP_2)
	v_mul_f32_e32 v8, s34, v8
	v_mov_b32_e32 v166, 0x80
	s_mov_b32 s35, exec_lo
	v_and_b32_e32 v12, 0x7f800000, v8
	s_delay_alu instid0(VALU_DEP_1)
	v_cmpx_ne_u32_e32 0x7f800000, v12
	s_cbranch_execz .LBB4_2054
; %bb.2047:                             ;   in Loop: Header=BB4_1985 Depth=4
	v_mov_b32_e32 v166, 0
	s_mov_b32 s36, exec_lo
	v_cmpx_ne_u32_e32 0, v8
	s_cbranch_execz .LBB4_2053
; %bb.2048:                             ;   in Loop: Header=BB4_1985 Depth=4
	v_bfe_u32 v12, v8, 23, 8
	s_delay_alu instid0(VALU_DEP_1) | instskip(SKIP_1) | instid1(VALU_DEP_2)
	v_sub_nc_u32_e32 v14, 0x70, v12
	v_cmp_gt_u32_e32 vcc_lo, 0x71, v12
	v_dual_cndmask_b32 v14, 0, v14 :: v_dual_and_b32 v13, 0x7fffff, v8
	s_delay_alu instid0(VALU_DEP_1) | instskip(SKIP_2) | instid1(VALU_DEP_4)
	v_or_b32_e32 v15, 0x800000, v13
	v_cmp_eq_u32_e32 vcc_lo, 0, v12
	v_add_nc_u32_e32 v12, 0xffffff91, v12
	v_cndmask_b32_e64 v14, v14, 0x6f, vcc_lo
	s_delay_alu instid0(VALU_DEP_4) | instskip(NEXT) | instid1(VALU_DEP_3)
	v_cndmask_b32_e32 v13, v15, v13, vcc_lo
	v_cndmask_b32_e64 v12, v12, 0xffffff92, vcc_lo
	s_delay_alu instid0(VALU_DEP_3) | instskip(NEXT) | instid1(VALU_DEP_3)
	v_lshl_add_u32 v15, 0x200000, v14, -1
	v_lshrrev_b32_e32 v134, v14, v13
	v_lshlrev_b32_e64 v144, v14, 0x100000
	s_delay_alu instid0(VALU_DEP_4) | instskip(NEXT) | instid1(VALU_DEP_4)
	v_add_nc_u32_e32 v14, v14, v12
	v_and_b32_e32 v13, v15, v13
	s_delay_alu instid0(VALU_DEP_4) | instskip(NEXT) | instid1(VALU_DEP_2)
	v_bfe_u32 v135, v134, 21, 1
	v_cmp_eq_u32_e64 s13, v13, v144
	s_delay_alu instid0(VALU_DEP_2) | instskip(NEXT) | instid1(VALU_DEP_1)
	v_add_nc_u32_e32 v15, -1, v135
	v_cndmask_b32_e64 v13, 0, v15, s13
	v_lshrrev_b32_e32 v15, 23, v134
	s_mov_b32 s13, exec_lo
	s_delay_alu instid0(VALU_DEP_2) | instskip(NEXT) | instid1(VALU_DEP_2)
	v_add_nc_u32_e32 v13, v13, v134
	v_xor_b32_e32 v15, 1, v15
	s_delay_alu instid0(VALU_DEP_2) | instskip(NEXT) | instid1(VALU_DEP_1)
	v_and_b32_e32 v12, 0x1fffff, v13
	v_add_nc_u32_e32 v13, v12, v134
                                        ; implicit-def: $vgpr12
	s_delay_alu instid0(VALU_DEP_3)
	v_cmpx_ne_u32_e64 v14, v15
	s_xor_b32 s13, exec_lo, s13
; %bb.2049:                             ;   in Loop: Header=BB4_1985 Depth=4
	s_delay_alu instid0(VALU_DEP_2) | instskip(SKIP_2) | instid1(VALU_DEP_2)
	v_cmp_lt_u32_e32 vcc_lo, 0xffffff, v13
	v_sub_nc_u32_e32 v12, v14, v15
	v_cndmask_b32_e64 v14, 0, 1, vcc_lo
	v_add_co_ci_u32_e32 v12, vcc_lo, 0, v12, vcc_lo
	s_delay_alu instid0(VALU_DEP_2)
	v_lshrrev_b32_e32 v13, v14, v13
; %bb.2050:                             ;   in Loop: Header=BB4_1985 Depth=4
	s_and_not1_saveexec_b32 s13, s13
; %bb.2051:                             ;   in Loop: Header=BB4_1985 Depth=4
	s_delay_alu instid0(VALU_DEP_1)
	v_bfe_u32 v12, v13, 23, 1
; %bb.2052:                             ;   in Loop: Header=BB4_1985 Depth=4
	s_or_b32 exec_lo, exec_lo, s13
	v_lshrrev_b32_e32 v13, 21, v13
	s_delay_alu instid0(VALU_DEP_2) | instskip(SKIP_2) | instid1(VALU_DEP_2)
	v_cmp_gt_i32_e32 vcc_lo, 32, v12
	v_min_i32_e32 v14, 31, v12
	v_lshrrev_b32_e32 v8, 24, v8
	v_dual_cndmask_b32 v13, 3, v13 :: v_dual_lshlrev_b32 v14, 2, v14
	s_delay_alu instid0(VALU_DEP_2) | instskip(NEXT) | instid1(VALU_DEP_2)
	v_and_b32_e32 v8, 0x80, v8
	v_or_b32_e32 v12, v12, v13
	s_delay_alu instid0(VALU_DEP_3) | instskip(NEXT) | instid1(VALU_DEP_2)
	v_and_b32_e32 v14, 0xfc, v14
	v_cmp_ne_u32_e32 vcc_lo, 0, v12
	v_and_b32_e32 v15, 3, v13
	s_delay_alu instid0(VALU_DEP_1) | instskip(NEXT) | instid1(VALU_DEP_1)
	v_or3_b32 v8, v14, v8, v15
	v_cndmask_b32_e32 v166, 0, v8, vcc_lo
.LBB4_2053:                             ;   in Loop: Header=BB4_1985 Depth=4
	s_or_b32 exec_lo, exec_lo, s36
.LBB4_2054:                             ;   in Loop: Header=BB4_1985 Depth=4
	s_delay_alu instid0(SALU_CYCLE_1) | instskip(SKIP_3) | instid1(VALU_DEP_1)
	s_or_b32 exec_lo, exec_lo, s35
	v_lshrrev_b16 v8, 8, v9
	s_mov_b32 s13, 0
	s_mov_b32 s36, exec_lo
                                        ; implicit-def: $sgpr35
	v_cmpx_lt_i16_e32 0x7f, v8
	s_xor_b32 s36, exec_lo, s36
	s_cbranch_execnz .LBB4_2908
; %bb.2055:                             ;   in Loop: Header=BB4_1985 Depth=4
	s_or_saveexec_b32 s36, s36
	v_mov_b32_e32 v12, s35
	s_xor_b32 exec_lo, exec_lo, s36
	s_cbranch_execnz .LBB4_2911
.LBB4_2056:                             ;   in Loop: Header=BB4_1985 Depth=4
	s_or_b32 exec_lo, exec_lo, s36
	s_and_saveexec_b32 s35, s13
	s_cbranch_execz .LBB4_2058
.LBB4_2057:                             ;   in Loop: Header=BB4_1985 Depth=4
	v_and_b32_e32 v12, 0xffff, v8
	v_lshlrev_b32_e32 v8, 24, v8
	s_delay_alu instid0(VALU_DEP_2) | instskip(NEXT) | instid1(VALU_DEP_2)
	v_and_b32_e32 v13, 3, v12
	v_and_b32_e32 v8, 0x80000000, v8
	s_delay_alu instid0(VALU_DEP_2) | instskip(NEXT) | instid1(VALU_DEP_1)
	v_clz_i32_u32_e32 v14, v13
	v_min_u32_e32 v14, 32, v14
	s_delay_alu instid0(VALU_DEP_1) | instskip(SKIP_1) | instid1(VALU_DEP_2)
	v_subrev_nc_u32_e32 v15, 29, v14
	v_sub_nc_u32_e32 v14, 30, v14
	v_lshlrev_b32_e32 v15, v15, v12
	v_bfe_u32 v12, v12, 2, 5
	s_delay_alu instid0(VALU_DEP_2) | instskip(NEXT) | instid1(VALU_DEP_2)
	v_and_b32_e32 v15, 3, v15
	v_cmp_eq_u32_e32 vcc_lo, 0, v12
	s_delay_alu instid0(VALU_DEP_2) | instskip(NEXT) | instid1(VALU_DEP_1)
	v_dual_cndmask_b32 v12, v12, v14 :: v_dual_cndmask_b32 v13, v13, v15
	v_lshl_add_u32 v12, v12, 23, 0x37800000
	s_delay_alu instid0(VALU_DEP_2) | instskip(NEXT) | instid1(VALU_DEP_1)
	v_lshlrev_b32_e32 v13, 21, v13
	v_or3_b32 v12, v8, v12, v13
.LBB4_2058:                             ;   in Loop: Header=BB4_1985 Depth=4
	s_or_b32 exec_lo, exec_lo, s35
	s_delay_alu instid0(VALU_DEP_1) | instskip(SKIP_2) | instid1(VALU_DEP_2)
	v_mul_f32_e32 v8, s34, v12
	v_mov_b32_e32 v44, 0x8000
	s_mov_b32 s35, exec_lo
	v_and_b32_e32 v12, 0x7f800000, v8
	s_delay_alu instid0(VALU_DEP_1)
	v_cmpx_ne_u32_e32 0x7f800000, v12
	s_cbranch_execz .LBB4_2066
; %bb.2059:                             ;   in Loop: Header=BB4_1985 Depth=4
	v_mov_b32_e32 v44, 0
	s_mov_b32 s36, exec_lo
	v_cmpx_ne_u32_e32 0, v8
	s_cbranch_execz .LBB4_2065
; %bb.2060:                             ;   in Loop: Header=BB4_1985 Depth=4
	v_bfe_u32 v12, v8, 23, 8
	s_delay_alu instid0(VALU_DEP_1) | instskip(SKIP_1) | instid1(VALU_DEP_2)
	v_sub_nc_u32_e32 v14, 0x70, v12
	v_cmp_gt_u32_e32 vcc_lo, 0x71, v12
	v_dual_cndmask_b32 v14, 0, v14 :: v_dual_and_b32 v13, 0x7fffff, v8
	s_delay_alu instid0(VALU_DEP_1) | instskip(SKIP_2) | instid1(VALU_DEP_4)
	v_or_b32_e32 v15, 0x800000, v13
	v_cmp_eq_u32_e32 vcc_lo, 0, v12
	v_add_nc_u32_e32 v12, 0xffffff91, v12
	v_cndmask_b32_e64 v14, v14, 0x6f, vcc_lo
	s_delay_alu instid0(VALU_DEP_4) | instskip(NEXT) | instid1(VALU_DEP_3)
	v_cndmask_b32_e32 v13, v15, v13, vcc_lo
	v_cndmask_b32_e64 v12, v12, 0xffffff92, vcc_lo
	s_delay_alu instid0(VALU_DEP_3) | instskip(NEXT) | instid1(VALU_DEP_3)
	v_lshl_add_u32 v15, 0x200000, v14, -1
	v_lshrrev_b32_e32 v134, v14, v13
	v_lshlrev_b32_e64 v144, v14, 0x100000
	s_delay_alu instid0(VALU_DEP_4) | instskip(NEXT) | instid1(VALU_DEP_4)
	v_add_nc_u32_e32 v14, v14, v12
	v_and_b32_e32 v13, v15, v13
	s_delay_alu instid0(VALU_DEP_4) | instskip(NEXT) | instid1(VALU_DEP_2)
	v_bfe_u32 v135, v134, 21, 1
	v_cmp_eq_u32_e64 s13, v13, v144
	s_delay_alu instid0(VALU_DEP_2) | instskip(NEXT) | instid1(VALU_DEP_1)
	v_add_nc_u32_e32 v15, -1, v135
	v_cndmask_b32_e64 v13, 0, v15, s13
	v_lshrrev_b32_e32 v15, 23, v134
	s_mov_b32 s13, exec_lo
	s_delay_alu instid0(VALU_DEP_2) | instskip(NEXT) | instid1(VALU_DEP_2)
	v_add_nc_u32_e32 v13, v13, v134
	v_xor_b32_e32 v15, 1, v15
	s_delay_alu instid0(VALU_DEP_2) | instskip(NEXT) | instid1(VALU_DEP_1)
	v_and_b32_e32 v12, 0x1fffff, v13
	v_add_nc_u32_e32 v13, v12, v134
                                        ; implicit-def: $vgpr12
	s_delay_alu instid0(VALU_DEP_3)
	v_cmpx_ne_u32_e64 v14, v15
	s_xor_b32 s13, exec_lo, s13
; %bb.2061:                             ;   in Loop: Header=BB4_1985 Depth=4
	s_delay_alu instid0(VALU_DEP_2) | instskip(SKIP_2) | instid1(VALU_DEP_2)
	v_cmp_lt_u32_e32 vcc_lo, 0xffffff, v13
	v_sub_nc_u32_e32 v12, v14, v15
	v_cndmask_b32_e64 v14, 0, 1, vcc_lo
	v_add_co_ci_u32_e32 v12, vcc_lo, 0, v12, vcc_lo
	s_delay_alu instid0(VALU_DEP_2)
	v_lshrrev_b32_e32 v13, v14, v13
; %bb.2062:                             ;   in Loop: Header=BB4_1985 Depth=4
	s_and_not1_saveexec_b32 s13, s13
; %bb.2063:                             ;   in Loop: Header=BB4_1985 Depth=4
	s_delay_alu instid0(VALU_DEP_1)
	v_bfe_u32 v12, v13, 23, 1
; %bb.2064:                             ;   in Loop: Header=BB4_1985 Depth=4
	s_or_b32 exec_lo, exec_lo, s13
	v_lshrrev_b32_e32 v13, 21, v13
	s_delay_alu instid0(VALU_DEP_2) | instskip(SKIP_2) | instid1(VALU_DEP_2)
	v_cmp_gt_i32_e32 vcc_lo, 32, v12
	v_min_i32_e32 v14, 31, v12
	v_lshrrev_b32_e32 v8, 24, v8
	v_dual_cndmask_b32 v13, 3, v13 :: v_dual_lshlrev_b32 v14, 2, v14
	s_delay_alu instid0(VALU_DEP_2) | instskip(NEXT) | instid1(VALU_DEP_2)
	v_and_b32_e32 v8, 0x80, v8
	v_or_b32_e32 v12, v12, v13
	s_delay_alu instid0(VALU_DEP_3) | instskip(NEXT) | instid1(VALU_DEP_2)
	v_and_b32_e32 v14, 0xfc, v14
	v_cmp_ne_u32_e32 vcc_lo, 0, v12
	v_and_b32_e32 v15, 3, v13
	s_delay_alu instid0(VALU_DEP_1) | instskip(NEXT) | instid1(VALU_DEP_1)
	v_or3_b32 v8, v8, v14, v15
	v_lshlrev_b32_e32 v8, 8, v8
	s_delay_alu instid0(VALU_DEP_1)
	v_cndmask_b32_e32 v44, 0, v8, vcc_lo
.LBB4_2065:                             ;   in Loop: Header=BB4_1985 Depth=4
	s_or_b32 exec_lo, exec_lo, s36
.LBB4_2066:                             ;   in Loop: Header=BB4_1985 Depth=4
	s_delay_alu instid0(SALU_CYCLE_1) | instskip(SKIP_3) | instid1(VALU_DEP_1)
	s_or_b32 exec_lo, exec_lo, s35
	v_lshrrev_b32_e32 v8, 16, v9
	s_mov_b32 s13, 0
	s_mov_b32 s36, exec_lo
                                        ; implicit-def: $sgpr35
	v_and_b32_e32 v13, 0xff, v8
	s_delay_alu instid0(VALU_DEP_1)
	v_cmpx_lt_i16_e32 0x7f, v13
	s_xor_b32 s36, exec_lo, s36
	s_cbranch_execnz .LBB4_2912
; %bb.2067:                             ;   in Loop: Header=BB4_1985 Depth=4
	s_or_saveexec_b32 s36, s36
	v_mov_b32_e32 v12, s35
	s_xor_b32 exec_lo, exec_lo, s36
	s_cbranch_execnz .LBB4_2915
.LBB4_2068:                             ;   in Loop: Header=BB4_1985 Depth=4
	s_or_b32 exec_lo, exec_lo, s36
	s_and_saveexec_b32 s35, s13
	s_cbranch_execz .LBB4_2070
.LBB4_2069:                             ;   in Loop: Header=BB4_1985 Depth=4
	v_bfe_u32 v12, v9, 16, 2
	s_delay_alu instid0(VALU_DEP_1) | instskip(NEXT) | instid1(VALU_DEP_1)
	v_clz_i32_u32_e32 v13, v12
	v_min_u32_e32 v13, 32, v13
	s_delay_alu instid0(VALU_DEP_1) | instskip(SKIP_1) | instid1(VALU_DEP_2)
	v_subrev_nc_u32_e32 v14, 29, v13
	v_sub_nc_u32_e32 v13, 30, v13
	v_lshlrev_b32_e32 v8, v14, v8
	v_bfe_u32 v14, v9, 18, 5
	s_delay_alu instid0(VALU_DEP_1) | instskip(NEXT) | instid1(VALU_DEP_3)
	v_cmp_eq_u32_e32 vcc_lo, 0, v14
	v_dual_cndmask_b32 v13, v14, v13 :: v_dual_and_b32 v8, 3, v8
	s_delay_alu instid0(VALU_DEP_1) | instskip(NEXT) | instid1(VALU_DEP_2)
	v_dual_cndmask_b32 v8, v12, v8 :: v_dual_lshlrev_b32 v15, 8, v9
	v_lshl_add_u32 v13, v13, 23, 0x37800000
	s_delay_alu instid0(VALU_DEP_2) | instskip(NEXT) | instid1(VALU_DEP_3)
	v_and_b32_e32 v12, 0x80000000, v15
	v_lshlrev_b32_e32 v8, 21, v8
	s_delay_alu instid0(VALU_DEP_1)
	v_or3_b32 v12, v12, v13, v8
.LBB4_2070:                             ;   in Loop: Header=BB4_1985 Depth=4
	s_or_b32 exec_lo, exec_lo, s35
	s_delay_alu instid0(VALU_DEP_1) | instskip(SKIP_2) | instid1(VALU_DEP_2)
	v_mul_f32_e32 v8, s34, v12
	v_mov_b32_e32 v182, 0x80
	s_mov_b32 s35, exec_lo
	v_and_b32_e32 v12, 0x7f800000, v8
	s_delay_alu instid0(VALU_DEP_1)
	v_cmpx_ne_u32_e32 0x7f800000, v12
	s_cbranch_execz .LBB4_2078
; %bb.2071:                             ;   in Loop: Header=BB4_1985 Depth=4
	v_mov_b32_e32 v182, 0
	s_mov_b32 s36, exec_lo
	v_cmpx_ne_u32_e32 0, v8
	s_cbranch_execz .LBB4_2077
; %bb.2072:                             ;   in Loop: Header=BB4_1985 Depth=4
	v_bfe_u32 v12, v8, 23, 8
	s_delay_alu instid0(VALU_DEP_1) | instskip(SKIP_1) | instid1(VALU_DEP_2)
	v_sub_nc_u32_e32 v14, 0x70, v12
	v_cmp_gt_u32_e32 vcc_lo, 0x71, v12
	v_dual_cndmask_b32 v14, 0, v14 :: v_dual_and_b32 v13, 0x7fffff, v8
	s_delay_alu instid0(VALU_DEP_1) | instskip(SKIP_2) | instid1(VALU_DEP_4)
	v_or_b32_e32 v15, 0x800000, v13
	v_cmp_eq_u32_e32 vcc_lo, 0, v12
	v_add_nc_u32_e32 v12, 0xffffff91, v12
	v_cndmask_b32_e64 v14, v14, 0x6f, vcc_lo
	s_delay_alu instid0(VALU_DEP_4) | instskip(NEXT) | instid1(VALU_DEP_3)
	v_cndmask_b32_e32 v13, v15, v13, vcc_lo
	v_cndmask_b32_e64 v12, v12, 0xffffff92, vcc_lo
	s_delay_alu instid0(VALU_DEP_3) | instskip(NEXT) | instid1(VALU_DEP_3)
	v_lshl_add_u32 v15, 0x200000, v14, -1
	v_lshrrev_b32_e32 v134, v14, v13
	v_lshlrev_b32_e64 v144, v14, 0x100000
	s_delay_alu instid0(VALU_DEP_4) | instskip(NEXT) | instid1(VALU_DEP_4)
	v_add_nc_u32_e32 v14, v14, v12
	v_and_b32_e32 v13, v15, v13
	s_delay_alu instid0(VALU_DEP_4) | instskip(NEXT) | instid1(VALU_DEP_2)
	v_bfe_u32 v135, v134, 21, 1
	v_cmp_eq_u32_e64 s13, v13, v144
	s_delay_alu instid0(VALU_DEP_2) | instskip(NEXT) | instid1(VALU_DEP_1)
	v_add_nc_u32_e32 v15, -1, v135
	v_cndmask_b32_e64 v13, 0, v15, s13
	v_lshrrev_b32_e32 v15, 23, v134
	s_mov_b32 s13, exec_lo
	s_delay_alu instid0(VALU_DEP_2) | instskip(NEXT) | instid1(VALU_DEP_2)
	v_add_nc_u32_e32 v13, v13, v134
	v_xor_b32_e32 v15, 1, v15
	s_delay_alu instid0(VALU_DEP_2) | instskip(NEXT) | instid1(VALU_DEP_1)
	v_and_b32_e32 v12, 0x1fffff, v13
	v_add_nc_u32_e32 v13, v12, v134
                                        ; implicit-def: $vgpr12
	s_delay_alu instid0(VALU_DEP_3)
	v_cmpx_ne_u32_e64 v14, v15
	s_xor_b32 s13, exec_lo, s13
; %bb.2073:                             ;   in Loop: Header=BB4_1985 Depth=4
	s_delay_alu instid0(VALU_DEP_2) | instskip(SKIP_2) | instid1(VALU_DEP_2)
	v_cmp_lt_u32_e32 vcc_lo, 0xffffff, v13
	v_sub_nc_u32_e32 v12, v14, v15
	v_cndmask_b32_e64 v14, 0, 1, vcc_lo
	v_add_co_ci_u32_e32 v12, vcc_lo, 0, v12, vcc_lo
	s_delay_alu instid0(VALU_DEP_2)
	v_lshrrev_b32_e32 v13, v14, v13
; %bb.2074:                             ;   in Loop: Header=BB4_1985 Depth=4
	s_and_not1_saveexec_b32 s13, s13
; %bb.2075:                             ;   in Loop: Header=BB4_1985 Depth=4
	s_delay_alu instid0(VALU_DEP_1)
	v_bfe_u32 v12, v13, 23, 1
; %bb.2076:                             ;   in Loop: Header=BB4_1985 Depth=4
	s_or_b32 exec_lo, exec_lo, s13
	v_lshrrev_b32_e32 v13, 21, v13
	s_delay_alu instid0(VALU_DEP_2) | instskip(SKIP_2) | instid1(VALU_DEP_2)
	v_cmp_gt_i32_e32 vcc_lo, 32, v12
	v_min_i32_e32 v14, 31, v12
	v_lshrrev_b32_e32 v8, 24, v8
	v_dual_cndmask_b32 v13, 3, v13 :: v_dual_lshlrev_b32 v14, 2, v14
	s_delay_alu instid0(VALU_DEP_2) | instskip(NEXT) | instid1(VALU_DEP_2)
	v_and_b32_e32 v8, 0x80, v8
	v_or_b32_e32 v12, v12, v13
	s_delay_alu instid0(VALU_DEP_3) | instskip(NEXT) | instid1(VALU_DEP_2)
	v_and_b32_e32 v14, 0xfc, v14
	v_cmp_ne_u32_e32 vcc_lo, 0, v12
	v_and_b32_e32 v15, 3, v13
	s_delay_alu instid0(VALU_DEP_1) | instskip(NEXT) | instid1(VALU_DEP_1)
	v_or3_b32 v8, v14, v8, v15
	v_cndmask_b32_e32 v182, 0, v8, vcc_lo
.LBB4_2077:                             ;   in Loop: Header=BB4_1985 Depth=4
	s_or_b32 exec_lo, exec_lo, s36
.LBB4_2078:                             ;   in Loop: Header=BB4_1985 Depth=4
	s_delay_alu instid0(SALU_CYCLE_1) | instskip(SKIP_3) | instid1(VALU_DEP_1)
	s_or_b32 exec_lo, exec_lo, s35
	v_lshrrev_b32_e32 v8, 24, v9
	s_mov_b32 s13, 0
	s_mov_b32 s36, exec_lo
                                        ; implicit-def: $sgpr35
	v_cmpx_lt_i16_e32 0x7f, v8
	s_xor_b32 s36, exec_lo, s36
	s_cbranch_execnz .LBB4_2916
; %bb.2079:                             ;   in Loop: Header=BB4_1985 Depth=4
	s_or_saveexec_b32 s36, s36
	v_mov_b32_e32 v12, s35
	s_xor_b32 exec_lo, exec_lo, s36
	s_cbranch_execnz .LBB4_2919
.LBB4_2080:                             ;   in Loop: Header=BB4_1985 Depth=4
	s_or_b32 exec_lo, exec_lo, s36
	s_and_saveexec_b32 s35, s13
	s_cbranch_execz .LBB4_2082
.LBB4_2081:                             ;   in Loop: Header=BB4_1985 Depth=4
	v_bfe_u32 v12, v9, 24, 2
	s_delay_alu instid0(VALU_DEP_1) | instskip(NEXT) | instid1(VALU_DEP_1)
	v_clz_i32_u32_e32 v13, v12
	v_min_u32_e32 v13, 32, v13
	s_delay_alu instid0(VALU_DEP_1) | instskip(SKIP_1) | instid1(VALU_DEP_2)
	v_subrev_nc_u32_e32 v14, 29, v13
	v_sub_nc_u32_e32 v13, 30, v13
	v_lshlrev_b32_e32 v8, v14, v8
	v_bfe_u32 v14, v9, 26, 5
	v_and_b32_e32 v9, 0x80000000, v9
	s_delay_alu instid0(VALU_DEP_2) | instskip(NEXT) | instid1(VALU_DEP_4)
	v_cmp_eq_u32_e32 vcc_lo, 0, v14
	v_dual_cndmask_b32 v13, v14, v13 :: v_dual_and_b32 v8, 3, v8
	s_delay_alu instid0(VALU_DEP_1) | instskip(NEXT) | instid1(VALU_DEP_2)
	v_cndmask_b32_e32 v8, v12, v8, vcc_lo
	v_lshl_add_u32 v12, v13, 23, 0x37800000
	s_delay_alu instid0(VALU_DEP_2) | instskip(NEXT) | instid1(VALU_DEP_1)
	v_lshlrev_b32_e32 v8, 21, v8
	v_or3_b32 v12, v9, v12, v8
.LBB4_2082:                             ;   in Loop: Header=BB4_1985 Depth=4
	s_or_b32 exec_lo, exec_lo, s35
	s_delay_alu instid0(VALU_DEP_1) | instskip(SKIP_1) | instid1(VALU_DEP_1)
	v_dual_mul_f32 v8, s34, v12 :: v_dual_mov_b32 v43, 0x8000
	s_mov_b32 s35, exec_lo
	v_and_b32_e32 v9, 0x7f800000, v8
	s_delay_alu instid0(VALU_DEP_1)
	v_cmpx_ne_u32_e32 0x7f800000, v9
	s_cbranch_execz .LBB4_2090
; %bb.2083:                             ;   in Loop: Header=BB4_1985 Depth=4
	v_mov_b32_e32 v43, 0
	s_mov_b32 s36, exec_lo
	v_cmpx_ne_u32_e32 0, v8
	s_cbranch_execz .LBB4_2089
; %bb.2084:                             ;   in Loop: Header=BB4_1985 Depth=4
	v_bfe_u32 v9, v8, 23, 8
	s_delay_alu instid0(VALU_DEP_1) | instskip(SKIP_1) | instid1(VALU_DEP_2)
	v_sub_nc_u32_e32 v13, 0x70, v9
	v_cmp_gt_u32_e32 vcc_lo, 0x71, v9
	v_dual_cndmask_b32 v13, 0, v13 :: v_dual_and_b32 v12, 0x7fffff, v8
	s_delay_alu instid0(VALU_DEP_1) | instskip(SKIP_2) | instid1(VALU_DEP_4)
	v_or_b32_e32 v14, 0x800000, v12
	v_cmp_eq_u32_e32 vcc_lo, 0, v9
	v_add_nc_u32_e32 v9, 0xffffff91, v9
	v_cndmask_b32_e64 v13, v13, 0x6f, vcc_lo
	s_delay_alu instid0(VALU_DEP_4) | instskip(NEXT) | instid1(VALU_DEP_3)
	v_cndmask_b32_e32 v12, v14, v12, vcc_lo
	v_cndmask_b32_e64 v9, v9, 0xffffff92, vcc_lo
	s_delay_alu instid0(VALU_DEP_3) | instskip(NEXT) | instid1(VALU_DEP_3)
	v_lshl_add_u32 v14, 0x200000, v13, -1
	v_lshrrev_b32_e32 v15, v13, v12
	v_lshlrev_b32_e64 v135, v13, 0x100000
	s_delay_alu instid0(VALU_DEP_4) | instskip(NEXT) | instid1(VALU_DEP_4)
	v_add_nc_u32_e32 v13, v13, v9
	v_and_b32_e32 v12, v14, v12
	s_delay_alu instid0(VALU_DEP_4) | instskip(NEXT) | instid1(VALU_DEP_2)
	v_bfe_u32 v134, v15, 21, 1
	v_cmp_eq_u32_e64 s13, v12, v135
	s_delay_alu instid0(VALU_DEP_2) | instskip(NEXT) | instid1(VALU_DEP_1)
	v_add_nc_u32_e32 v14, -1, v134
	v_cndmask_b32_e64 v12, 0, v14, s13
	v_lshrrev_b32_e32 v14, 23, v15
	s_mov_b32 s13, exec_lo
	s_delay_alu instid0(VALU_DEP_2) | instskip(NEXT) | instid1(VALU_DEP_2)
	v_add_nc_u32_e32 v12, v12, v15
	v_xor_b32_e32 v14, 1, v14
	s_delay_alu instid0(VALU_DEP_2) | instskip(NEXT) | instid1(VALU_DEP_1)
	v_and_b32_e32 v9, 0x1fffff, v12
	v_add_nc_u32_e32 v12, v9, v15
                                        ; implicit-def: $vgpr9
	s_delay_alu instid0(VALU_DEP_3)
	v_cmpx_ne_u32_e64 v13, v14
	s_xor_b32 s13, exec_lo, s13
; %bb.2085:                             ;   in Loop: Header=BB4_1985 Depth=4
	s_delay_alu instid0(VALU_DEP_2) | instskip(SKIP_2) | instid1(VALU_DEP_2)
	v_cmp_lt_u32_e32 vcc_lo, 0xffffff, v12
	v_sub_nc_u32_e32 v9, v13, v14
	v_cndmask_b32_e64 v13, 0, 1, vcc_lo
	v_add_co_ci_u32_e32 v9, vcc_lo, 0, v9, vcc_lo
	s_delay_alu instid0(VALU_DEP_2)
	v_lshrrev_b32_e32 v12, v13, v12
; %bb.2086:                             ;   in Loop: Header=BB4_1985 Depth=4
	s_and_not1_saveexec_b32 s13, s13
; %bb.2087:                             ;   in Loop: Header=BB4_1985 Depth=4
	s_delay_alu instid0(VALU_DEP_1)
	v_bfe_u32 v9, v12, 23, 1
; %bb.2088:                             ;   in Loop: Header=BB4_1985 Depth=4
	s_or_b32 exec_lo, exec_lo, s13
	v_lshrrev_b32_e32 v12, 21, v12
	s_delay_alu instid0(VALU_DEP_2) | instskip(SKIP_2) | instid1(VALU_DEP_3)
	v_min_i32_e32 v13, 31, v9
	v_cmp_gt_i32_e32 vcc_lo, 32, v9
	v_lshrrev_b32_e32 v8, 24, v8
	v_dual_cndmask_b32 v12, 3, v12 :: v_dual_lshlrev_b32 v13, 2, v13
	s_delay_alu instid0(VALU_DEP_2) | instskip(NEXT) | instid1(VALU_DEP_2)
	v_and_b32_e32 v8, 0x80, v8
	v_and_b32_e32 v13, 0xfc, v13
	s_delay_alu instid0(VALU_DEP_3) | instskip(SKIP_1) | instid1(VALU_DEP_2)
	v_and_b32_e32 v14, 3, v12
	v_or_b32_e32 v9, v9, v12
	v_or3_b32 v8, v8, v13, v14
	s_delay_alu instid0(VALU_DEP_2) | instskip(NEXT) | instid1(VALU_DEP_2)
	v_cmp_ne_u32_e32 vcc_lo, 0, v9
	v_lshlrev_b32_e32 v8, 8, v8
	s_delay_alu instid0(VALU_DEP_1)
	v_cndmask_b32_e32 v43, 0, v8, vcc_lo
.LBB4_2089:                             ;   in Loop: Header=BB4_1985 Depth=4
	s_or_b32 exec_lo, exec_lo, s36
.LBB4_2090:                             ;   in Loop: Header=BB4_1985 Depth=4
	s_delay_alu instid0(SALU_CYCLE_1) | instskip(SKIP_3) | instid1(VALU_DEP_1)
	s_or_b32 exec_lo, exec_lo, s35
	v_and_b32_e32 v9, 0xff, v10
	s_mov_b32 s13, 0
	s_mov_b32 s36, exec_lo
                                        ; implicit-def: $sgpr35
	v_cmpx_lt_i16_e32 0x7f, v9
	s_xor_b32 s36, exec_lo, s36
	s_cbranch_execnz .LBB4_2920
; %bb.2091:                             ;   in Loop: Header=BB4_1985 Depth=4
	s_or_saveexec_b32 s36, s36
	v_mov_b32_e32 v8, s35
	s_xor_b32 exec_lo, exec_lo, s36
	s_cbranch_execnz .LBB4_2923
.LBB4_2092:                             ;   in Loop: Header=BB4_1985 Depth=4
	s_or_b32 exec_lo, exec_lo, s36
	s_and_saveexec_b32 s35, s13
	s_cbranch_execz .LBB4_2094
.LBB4_2093:                             ;   in Loop: Header=BB4_1985 Depth=4
	v_bfe_u32 v13, v10, 2, 5
	v_lshlrev_b32_e32 v14, 24, v10
	s_delay_alu instid0(VALU_DEP_2) | instskip(SKIP_1) | instid1(VALU_DEP_1)
	v_cmp_eq_u32_e32 vcc_lo, 0, v13
	v_and_b32_e32 v8, 3, v10
	v_clz_i32_u32_e32 v9, v8
	s_delay_alu instid0(VALU_DEP_1) | instskip(NEXT) | instid1(VALU_DEP_1)
	v_min_u32_e32 v9, 32, v9
	v_subrev_nc_u32_e32 v12, 29, v9
	v_sub_nc_u32_e32 v9, 30, v9
	s_delay_alu instid0(VALU_DEP_1) | instskip(NEXT) | instid1(VALU_DEP_1)
	v_dual_cndmask_b32 v9, v13, v9 :: v_dual_lshlrev_b32 v12, v12, v10
	v_and_b32_e32 v12, 3, v12
	s_delay_alu instid0(VALU_DEP_2) | instskip(NEXT) | instid1(VALU_DEP_2)
	v_lshl_add_u32 v9, v9, 23, 0x37800000
	v_cndmask_b32_e32 v8, v8, v12, vcc_lo
	v_and_b32_e32 v12, 0x80000000, v14
	s_delay_alu instid0(VALU_DEP_2) | instskip(NEXT) | instid1(VALU_DEP_1)
	v_lshlrev_b32_e32 v8, 21, v8
	v_or3_b32 v8, v12, v9, v8
.LBB4_2094:                             ;   in Loop: Header=BB4_1985 Depth=4
	s_or_b32 exec_lo, exec_lo, s35
	s_delay_alu instid0(VALU_DEP_1) | instskip(SKIP_2) | instid1(VALU_DEP_2)
	v_mul_f32_e32 v8, s34, v8
	v_mov_b32_e32 v42, 0x80
	s_mov_b32 s35, exec_lo
	v_and_b32_e32 v9, 0x7f800000, v8
	s_delay_alu instid0(VALU_DEP_1)
	v_cmpx_ne_u32_e32 0x7f800000, v9
	s_cbranch_execz .LBB4_2102
; %bb.2095:                             ;   in Loop: Header=BB4_1985 Depth=4
	v_mov_b32_e32 v42, 0
	s_mov_b32 s36, exec_lo
	v_cmpx_ne_u32_e32 0, v8
	s_cbranch_execz .LBB4_2101
; %bb.2096:                             ;   in Loop: Header=BB4_1985 Depth=4
	v_bfe_u32 v9, v8, 23, 8
	s_delay_alu instid0(VALU_DEP_1) | instskip(SKIP_1) | instid1(VALU_DEP_2)
	v_sub_nc_u32_e32 v13, 0x70, v9
	v_cmp_gt_u32_e32 vcc_lo, 0x71, v9
	v_dual_cndmask_b32 v13, 0, v13 :: v_dual_and_b32 v12, 0x7fffff, v8
	s_delay_alu instid0(VALU_DEP_1) | instskip(SKIP_2) | instid1(VALU_DEP_4)
	v_or_b32_e32 v14, 0x800000, v12
	v_cmp_eq_u32_e32 vcc_lo, 0, v9
	v_add_nc_u32_e32 v9, 0xffffff91, v9
	v_cndmask_b32_e64 v13, v13, 0x6f, vcc_lo
	s_delay_alu instid0(VALU_DEP_4) | instskip(NEXT) | instid1(VALU_DEP_3)
	v_cndmask_b32_e32 v12, v14, v12, vcc_lo
	v_cndmask_b32_e64 v9, v9, 0xffffff92, vcc_lo
	s_delay_alu instid0(VALU_DEP_3) | instskip(NEXT) | instid1(VALU_DEP_3)
	v_lshl_add_u32 v14, 0x200000, v13, -1
	v_lshrrev_b32_e32 v15, v13, v12
	v_lshlrev_b32_e64 v135, v13, 0x100000
	s_delay_alu instid0(VALU_DEP_4) | instskip(NEXT) | instid1(VALU_DEP_4)
	v_add_nc_u32_e32 v13, v13, v9
	v_and_b32_e32 v12, v14, v12
	s_delay_alu instid0(VALU_DEP_4) | instskip(NEXT) | instid1(VALU_DEP_2)
	v_bfe_u32 v134, v15, 21, 1
	v_cmp_eq_u32_e64 s13, v12, v135
	s_delay_alu instid0(VALU_DEP_2) | instskip(NEXT) | instid1(VALU_DEP_1)
	v_add_nc_u32_e32 v14, -1, v134
	v_cndmask_b32_e64 v12, 0, v14, s13
	v_lshrrev_b32_e32 v14, 23, v15
	s_mov_b32 s13, exec_lo
	s_delay_alu instid0(VALU_DEP_2) | instskip(NEXT) | instid1(VALU_DEP_2)
	v_add_nc_u32_e32 v12, v12, v15
	v_xor_b32_e32 v14, 1, v14
	s_delay_alu instid0(VALU_DEP_2) | instskip(NEXT) | instid1(VALU_DEP_1)
	v_and_b32_e32 v9, 0x1fffff, v12
	v_add_nc_u32_e32 v12, v9, v15
                                        ; implicit-def: $vgpr9
	s_delay_alu instid0(VALU_DEP_3)
	v_cmpx_ne_u32_e64 v13, v14
	s_xor_b32 s13, exec_lo, s13
; %bb.2097:                             ;   in Loop: Header=BB4_1985 Depth=4
	s_delay_alu instid0(VALU_DEP_2) | instskip(SKIP_2) | instid1(VALU_DEP_2)
	v_cmp_lt_u32_e32 vcc_lo, 0xffffff, v12
	v_sub_nc_u32_e32 v9, v13, v14
	v_cndmask_b32_e64 v13, 0, 1, vcc_lo
	v_add_co_ci_u32_e32 v9, vcc_lo, 0, v9, vcc_lo
	s_delay_alu instid0(VALU_DEP_2)
	v_lshrrev_b32_e32 v12, v13, v12
; %bb.2098:                             ;   in Loop: Header=BB4_1985 Depth=4
	s_and_not1_saveexec_b32 s13, s13
; %bb.2099:                             ;   in Loop: Header=BB4_1985 Depth=4
	s_delay_alu instid0(VALU_DEP_1)
	v_bfe_u32 v9, v12, 23, 1
; %bb.2100:                             ;   in Loop: Header=BB4_1985 Depth=4
	s_or_b32 exec_lo, exec_lo, s13
	v_lshrrev_b32_e32 v12, 21, v12
	s_delay_alu instid0(VALU_DEP_2) | instskip(SKIP_2) | instid1(VALU_DEP_4)
	v_cmp_gt_i32_e32 vcc_lo, 32, v9
	v_lshrrev_b32_e32 v8, 24, v8
	v_min_i32_e32 v13, 31, v9
	v_cndmask_b32_e32 v12, 3, v12, vcc_lo
	s_delay_alu instid0(VALU_DEP_3) | instskip(NEXT) | instid1(VALU_DEP_3)
	v_and_b32_e32 v8, 0x80, v8
	v_lshlrev_b32_e32 v13, 2, v13
	s_delay_alu instid0(VALU_DEP_3) | instskip(SKIP_1) | instid1(VALU_DEP_2)
	v_and_b32_e32 v14, 3, v12
	v_or_b32_e32 v9, v9, v12
	v_or3_b32 v8, v13, v8, v14
	s_delay_alu instid0(VALU_DEP_2) | instskip(NEXT) | instid1(VALU_DEP_2)
	v_cmp_ne_u32_e32 vcc_lo, 0, v9
	v_cndmask_b32_e32 v42, 0, v8, vcc_lo
.LBB4_2101:                             ;   in Loop: Header=BB4_1985 Depth=4
	s_or_b32 exec_lo, exec_lo, s36
.LBB4_2102:                             ;   in Loop: Header=BB4_1985 Depth=4
	s_delay_alu instid0(SALU_CYCLE_1) | instskip(SKIP_3) | instid1(VALU_DEP_1)
	s_or_b32 exec_lo, exec_lo, s35
	v_lshrrev_b16 v8, 8, v10
	s_mov_b32 s13, 0
	s_mov_b32 s36, exec_lo
                                        ; implicit-def: $sgpr35
	v_cmpx_lt_i16_e32 0x7f, v8
	s_xor_b32 s36, exec_lo, s36
	s_cbranch_execnz .LBB4_2924
; %bb.2103:                             ;   in Loop: Header=BB4_1985 Depth=4
	s_or_saveexec_b32 s36, s36
	v_mov_b32_e32 v9, s35
	s_xor_b32 exec_lo, exec_lo, s36
	s_cbranch_execnz .LBB4_2927
.LBB4_2104:                             ;   in Loop: Header=BB4_1985 Depth=4
	s_or_b32 exec_lo, exec_lo, s36
	s_and_saveexec_b32 s35, s13
	s_cbranch_execz .LBB4_2106
.LBB4_2105:                             ;   in Loop: Header=BB4_1985 Depth=4
	v_and_b32_e32 v9, 0xffff, v8
	v_lshlrev_b32_e32 v8, 24, v8
	s_delay_alu instid0(VALU_DEP_2) | instskip(NEXT) | instid1(VALU_DEP_2)
	v_and_b32_e32 v12, 3, v9
	v_and_b32_e32 v8, 0x80000000, v8
	s_delay_alu instid0(VALU_DEP_2) | instskip(NEXT) | instid1(VALU_DEP_1)
	v_clz_i32_u32_e32 v13, v12
	v_min_u32_e32 v13, 32, v13
	s_delay_alu instid0(VALU_DEP_1) | instskip(SKIP_1) | instid1(VALU_DEP_2)
	v_subrev_nc_u32_e32 v14, 29, v13
	v_sub_nc_u32_e32 v13, 30, v13
	v_lshlrev_b32_e32 v14, v14, v9
	v_bfe_u32 v9, v9, 2, 5
	s_delay_alu instid0(VALU_DEP_1) | instskip(NEXT) | instid1(VALU_DEP_3)
	v_cmp_eq_u32_e32 vcc_lo, 0, v9
	v_dual_cndmask_b32 v9, v9, v13 :: v_dual_and_b32 v14, 3, v14
	s_delay_alu instid0(VALU_DEP_1) | instskip(NEXT) | instid1(VALU_DEP_2)
	v_cndmask_b32_e32 v12, v12, v14, vcc_lo
	v_lshl_add_u32 v9, v9, 23, 0x37800000
	s_delay_alu instid0(VALU_DEP_2) | instskip(NEXT) | instid1(VALU_DEP_1)
	v_lshlrev_b32_e32 v12, 21, v12
	v_or3_b32 v9, v8, v9, v12
.LBB4_2106:                             ;   in Loop: Header=BB4_1985 Depth=4
	s_or_b32 exec_lo, exec_lo, s35
	s_delay_alu instid0(VALU_DEP_1) | instskip(SKIP_2) | instid1(VALU_DEP_2)
	v_mul_f32_e32 v8, s34, v9
	v_mov_b32_e32 v40, 0x80
	s_mov_b32 s35, exec_lo
	v_and_b32_e32 v9, 0x7f800000, v8
	s_delay_alu instid0(VALU_DEP_1)
	v_cmpx_ne_u32_e32 0x7f800000, v9
	s_cbranch_execz .LBB4_2114
; %bb.2107:                             ;   in Loop: Header=BB4_1985 Depth=4
	v_mov_b32_e32 v40, 0
	s_mov_b32 s36, exec_lo
	v_cmpx_ne_u32_e32 0, v8
	s_cbranch_execz .LBB4_2113
; %bb.2108:                             ;   in Loop: Header=BB4_1985 Depth=4
	v_bfe_u32 v9, v8, 23, 8
	s_delay_alu instid0(VALU_DEP_1) | instskip(SKIP_1) | instid1(VALU_DEP_2)
	v_sub_nc_u32_e32 v13, 0x70, v9
	v_cmp_gt_u32_e32 vcc_lo, 0x71, v9
	v_dual_cndmask_b32 v13, 0, v13 :: v_dual_and_b32 v12, 0x7fffff, v8
	s_delay_alu instid0(VALU_DEP_1) | instskip(SKIP_2) | instid1(VALU_DEP_4)
	v_or_b32_e32 v14, 0x800000, v12
	v_cmp_eq_u32_e32 vcc_lo, 0, v9
	v_add_nc_u32_e32 v9, 0xffffff91, v9
	v_cndmask_b32_e64 v13, v13, 0x6f, vcc_lo
	s_delay_alu instid0(VALU_DEP_4) | instskip(NEXT) | instid1(VALU_DEP_3)
	v_cndmask_b32_e32 v12, v14, v12, vcc_lo
	v_cndmask_b32_e64 v9, v9, 0xffffff92, vcc_lo
	s_delay_alu instid0(VALU_DEP_3) | instskip(NEXT) | instid1(VALU_DEP_3)
	v_lshl_add_u32 v14, 0x200000, v13, -1
	v_lshrrev_b32_e32 v15, v13, v12
	v_lshlrev_b32_e64 v135, v13, 0x100000
	s_delay_alu instid0(VALU_DEP_4) | instskip(NEXT) | instid1(VALU_DEP_4)
	v_add_nc_u32_e32 v13, v13, v9
	v_and_b32_e32 v12, v14, v12
	s_delay_alu instid0(VALU_DEP_4) | instskip(NEXT) | instid1(VALU_DEP_2)
	v_bfe_u32 v134, v15, 21, 1
	v_cmp_eq_u32_e64 s13, v12, v135
	s_delay_alu instid0(VALU_DEP_2) | instskip(NEXT) | instid1(VALU_DEP_1)
	v_add_nc_u32_e32 v14, -1, v134
	v_cndmask_b32_e64 v12, 0, v14, s13
	v_lshrrev_b32_e32 v14, 23, v15
	s_mov_b32 s13, exec_lo
	s_delay_alu instid0(VALU_DEP_2) | instskip(NEXT) | instid1(VALU_DEP_2)
	v_add_nc_u32_e32 v12, v12, v15
	v_xor_b32_e32 v14, 1, v14
	s_delay_alu instid0(VALU_DEP_2) | instskip(NEXT) | instid1(VALU_DEP_1)
	v_and_b32_e32 v9, 0x1fffff, v12
	v_add_nc_u32_e32 v12, v9, v15
                                        ; implicit-def: $vgpr9
	s_delay_alu instid0(VALU_DEP_3)
	v_cmpx_ne_u32_e64 v13, v14
	s_xor_b32 s13, exec_lo, s13
; %bb.2109:                             ;   in Loop: Header=BB4_1985 Depth=4
	s_delay_alu instid0(VALU_DEP_2) | instskip(SKIP_2) | instid1(VALU_DEP_2)
	v_cmp_lt_u32_e32 vcc_lo, 0xffffff, v12
	v_sub_nc_u32_e32 v9, v13, v14
	v_cndmask_b32_e64 v13, 0, 1, vcc_lo
	v_add_co_ci_u32_e32 v9, vcc_lo, 0, v9, vcc_lo
	s_delay_alu instid0(VALU_DEP_2)
	v_lshrrev_b32_e32 v12, v13, v12
; %bb.2110:                             ;   in Loop: Header=BB4_1985 Depth=4
	s_and_not1_saveexec_b32 s13, s13
; %bb.2111:                             ;   in Loop: Header=BB4_1985 Depth=4
	s_delay_alu instid0(VALU_DEP_1)
	v_bfe_u32 v9, v12, 23, 1
; %bb.2112:                             ;   in Loop: Header=BB4_1985 Depth=4
	s_or_b32 exec_lo, exec_lo, s13
	v_lshrrev_b32_e32 v12, 21, v12
	s_delay_alu instid0(VALU_DEP_2) | instskip(SKIP_2) | instid1(VALU_DEP_4)
	v_cmp_gt_i32_e32 vcc_lo, 32, v9
	v_lshrrev_b32_e32 v8, 24, v8
	v_min_i32_e32 v13, 31, v9
	v_cndmask_b32_e32 v12, 3, v12, vcc_lo
	s_delay_alu instid0(VALU_DEP_3) | instskip(NEXT) | instid1(VALU_DEP_3)
	v_and_b32_e32 v8, 0x80, v8
	v_lshlrev_b32_e32 v13, 2, v13
	s_delay_alu instid0(VALU_DEP_3) | instskip(SKIP_1) | instid1(VALU_DEP_2)
	v_and_b32_e32 v14, 3, v12
	v_or_b32_e32 v9, v9, v12
	v_or3_b32 v8, v13, v8, v14
	s_delay_alu instid0(VALU_DEP_2) | instskip(NEXT) | instid1(VALU_DEP_2)
	v_cmp_ne_u32_e32 vcc_lo, 0, v9
	v_cndmask_b32_e32 v40, 0, v8, vcc_lo
.LBB4_2113:                             ;   in Loop: Header=BB4_1985 Depth=4
	s_or_b32 exec_lo, exec_lo, s36
.LBB4_2114:                             ;   in Loop: Header=BB4_1985 Depth=4
	s_delay_alu instid0(SALU_CYCLE_1) | instskip(SKIP_3) | instid1(VALU_DEP_1)
	s_or_b32 exec_lo, exec_lo, s35
	v_lshrrev_b32_e32 v8, 16, v10
	s_mov_b32 s13, 0
	s_mov_b32 s36, exec_lo
                                        ; implicit-def: $sgpr35
	v_and_b32_e32 v12, 0xff, v8
	s_delay_alu instid0(VALU_DEP_1)
	v_cmpx_lt_i16_e32 0x7f, v12
	s_xor_b32 s36, exec_lo, s36
	s_cbranch_execnz .LBB4_2928
; %bb.2115:                             ;   in Loop: Header=BB4_1985 Depth=4
	s_or_saveexec_b32 s36, s36
	v_mov_b32_e32 v9, s35
	s_xor_b32 exec_lo, exec_lo, s36
	s_cbranch_execnz .LBB4_2931
.LBB4_2116:                             ;   in Loop: Header=BB4_1985 Depth=4
	s_or_b32 exec_lo, exec_lo, s36
	s_and_saveexec_b32 s35, s13
	s_cbranch_execz .LBB4_2118
.LBB4_2117:                             ;   in Loop: Header=BB4_1985 Depth=4
	v_bfe_u32 v9, v10, 16, 2
	v_lshlrev_b32_e32 v14, 8, v10
	s_delay_alu instid0(VALU_DEP_2) | instskip(NEXT) | instid1(VALU_DEP_1)
	v_clz_i32_u32_e32 v12, v9
	v_min_u32_e32 v12, 32, v12
	s_delay_alu instid0(VALU_DEP_1) | instskip(SKIP_1) | instid1(VALU_DEP_2)
	v_subrev_nc_u32_e32 v13, 29, v12
	v_sub_nc_u32_e32 v12, 30, v12
	v_lshlrev_b32_e32 v8, v13, v8
	v_bfe_u32 v13, v10, 18, 5
	s_delay_alu instid0(VALU_DEP_2) | instskip(NEXT) | instid1(VALU_DEP_2)
	v_and_b32_e32 v8, 3, v8
	v_cmp_eq_u32_e32 vcc_lo, 0, v13
	v_cndmask_b32_e32 v12, v13, v12, vcc_lo
	s_delay_alu instid0(VALU_DEP_3) | instskip(NEXT) | instid1(VALU_DEP_2)
	v_dual_cndmask_b32 v8, v9, v8 :: v_dual_and_b32 v9, 0x80000000, v14
	v_lshl_add_u32 v12, v12, 23, 0x37800000
	s_delay_alu instid0(VALU_DEP_2) | instskip(NEXT) | instid1(VALU_DEP_1)
	v_lshlrev_b32_e32 v8, 21, v8
	v_or3_b32 v9, v9, v12, v8
.LBB4_2118:                             ;   in Loop: Header=BB4_1985 Depth=4
	s_or_b32 exec_lo, exec_lo, s35
	s_delay_alu instid0(VALU_DEP_1) | instskip(SKIP_1) | instid1(VALU_DEP_1)
	v_dual_mul_f32 v8, s34, v9 :: v_dual_mov_b32 v183, 0x80
	s_mov_b32 s35, exec_lo
	v_and_b32_e32 v9, 0x7f800000, v8
	s_delay_alu instid0(VALU_DEP_1)
	v_cmpx_ne_u32_e32 0x7f800000, v9
	s_cbranch_execz .LBB4_2126
; %bb.2119:                             ;   in Loop: Header=BB4_1985 Depth=4
	v_mov_b32_e32 v183, 0
	s_mov_b32 s36, exec_lo
	v_cmpx_ne_u32_e32 0, v8
	s_cbranch_execz .LBB4_2125
; %bb.2120:                             ;   in Loop: Header=BB4_1985 Depth=4
	v_bfe_u32 v9, v8, 23, 8
	s_delay_alu instid0(VALU_DEP_1) | instskip(SKIP_1) | instid1(VALU_DEP_2)
	v_sub_nc_u32_e32 v13, 0x70, v9
	v_cmp_gt_u32_e32 vcc_lo, 0x71, v9
	v_dual_cndmask_b32 v13, 0, v13 :: v_dual_and_b32 v12, 0x7fffff, v8
	s_delay_alu instid0(VALU_DEP_1) | instskip(SKIP_2) | instid1(VALU_DEP_4)
	v_or_b32_e32 v14, 0x800000, v12
	v_cmp_eq_u32_e32 vcc_lo, 0, v9
	v_add_nc_u32_e32 v9, 0xffffff91, v9
	v_cndmask_b32_e64 v13, v13, 0x6f, vcc_lo
	s_delay_alu instid0(VALU_DEP_4) | instskip(NEXT) | instid1(VALU_DEP_3)
	v_cndmask_b32_e32 v12, v14, v12, vcc_lo
	v_cndmask_b32_e64 v9, v9, 0xffffff92, vcc_lo
	s_delay_alu instid0(VALU_DEP_3) | instskip(NEXT) | instid1(VALU_DEP_3)
	v_lshl_add_u32 v14, 0x200000, v13, -1
	v_lshrrev_b32_e32 v15, v13, v12
	v_lshlrev_b32_e64 v135, v13, 0x100000
	s_delay_alu instid0(VALU_DEP_4) | instskip(NEXT) | instid1(VALU_DEP_4)
	v_add_nc_u32_e32 v13, v13, v9
	v_and_b32_e32 v12, v14, v12
	s_delay_alu instid0(VALU_DEP_4) | instskip(NEXT) | instid1(VALU_DEP_2)
	v_bfe_u32 v134, v15, 21, 1
	v_cmp_eq_u32_e64 s13, v12, v135
	s_delay_alu instid0(VALU_DEP_2) | instskip(NEXT) | instid1(VALU_DEP_1)
	v_add_nc_u32_e32 v14, -1, v134
	v_cndmask_b32_e64 v12, 0, v14, s13
	v_lshrrev_b32_e32 v14, 23, v15
	s_mov_b32 s13, exec_lo
	s_delay_alu instid0(VALU_DEP_2) | instskip(NEXT) | instid1(VALU_DEP_2)
	v_add_nc_u32_e32 v12, v12, v15
	v_xor_b32_e32 v14, 1, v14
	s_delay_alu instid0(VALU_DEP_2) | instskip(NEXT) | instid1(VALU_DEP_1)
	v_and_b32_e32 v9, 0x1fffff, v12
	v_add_nc_u32_e32 v12, v9, v15
                                        ; implicit-def: $vgpr9
	s_delay_alu instid0(VALU_DEP_3)
	v_cmpx_ne_u32_e64 v13, v14
	s_xor_b32 s13, exec_lo, s13
; %bb.2121:                             ;   in Loop: Header=BB4_1985 Depth=4
	s_delay_alu instid0(VALU_DEP_2) | instskip(SKIP_2) | instid1(VALU_DEP_2)
	v_cmp_lt_u32_e32 vcc_lo, 0xffffff, v12
	v_sub_nc_u32_e32 v9, v13, v14
	v_cndmask_b32_e64 v13, 0, 1, vcc_lo
	v_add_co_ci_u32_e32 v9, vcc_lo, 0, v9, vcc_lo
	s_delay_alu instid0(VALU_DEP_2)
	v_lshrrev_b32_e32 v12, v13, v12
; %bb.2122:                             ;   in Loop: Header=BB4_1985 Depth=4
	s_and_not1_saveexec_b32 s13, s13
; %bb.2123:                             ;   in Loop: Header=BB4_1985 Depth=4
	s_delay_alu instid0(VALU_DEP_1)
	v_bfe_u32 v9, v12, 23, 1
; %bb.2124:                             ;   in Loop: Header=BB4_1985 Depth=4
	s_or_b32 exec_lo, exec_lo, s13
	v_lshrrev_b32_e32 v12, 21, v12
	s_delay_alu instid0(VALU_DEP_2) | instskip(SKIP_2) | instid1(VALU_DEP_4)
	v_cmp_gt_i32_e32 vcc_lo, 32, v9
	v_lshrrev_b32_e32 v8, 24, v8
	v_min_i32_e32 v13, 31, v9
	v_cndmask_b32_e32 v12, 3, v12, vcc_lo
	s_delay_alu instid0(VALU_DEP_3) | instskip(NEXT) | instid1(VALU_DEP_3)
	v_and_b32_e32 v8, 0x80, v8
	v_lshlrev_b32_e32 v13, 2, v13
	s_delay_alu instid0(VALU_DEP_3) | instskip(SKIP_1) | instid1(VALU_DEP_2)
	v_and_b32_e32 v14, 3, v12
	v_or_b32_e32 v9, v9, v12
	v_or3_b32 v8, v13, v8, v14
	s_delay_alu instid0(VALU_DEP_2) | instskip(NEXT) | instid1(VALU_DEP_2)
	v_cmp_ne_u32_e32 vcc_lo, 0, v9
	v_cndmask_b32_e32 v183, 0, v8, vcc_lo
.LBB4_2125:                             ;   in Loop: Header=BB4_1985 Depth=4
	s_or_b32 exec_lo, exec_lo, s36
.LBB4_2126:                             ;   in Loop: Header=BB4_1985 Depth=4
	s_delay_alu instid0(SALU_CYCLE_1) | instskip(SKIP_3) | instid1(VALU_DEP_1)
	s_or_b32 exec_lo, exec_lo, s35
	v_lshrrev_b32_e32 v8, 24, v10
	s_mov_b32 s13, 0
	s_mov_b32 s36, exec_lo
                                        ; implicit-def: $sgpr35
	v_cmpx_lt_i16_e32 0x7f, v8
	s_xor_b32 s36, exec_lo, s36
	s_cbranch_execnz .LBB4_2932
; %bb.2127:                             ;   in Loop: Header=BB4_1985 Depth=4
	s_or_saveexec_b32 s36, s36
	v_mov_b32_e32 v9, s35
	s_xor_b32 exec_lo, exec_lo, s36
	s_cbranch_execnz .LBB4_2935
.LBB4_2128:                             ;   in Loop: Header=BB4_1985 Depth=4
	s_or_b32 exec_lo, exec_lo, s36
	s_and_saveexec_b32 s35, s13
	s_cbranch_execz .LBB4_2130
.LBB4_2129:                             ;   in Loop: Header=BB4_1985 Depth=4
	v_bfe_u32 v9, v10, 24, 2
	s_delay_alu instid0(VALU_DEP_1) | instskip(NEXT) | instid1(VALU_DEP_1)
	v_clz_i32_u32_e32 v12, v9
	v_min_u32_e32 v12, 32, v12
	s_delay_alu instid0(VALU_DEP_1) | instskip(SKIP_1) | instid1(VALU_DEP_2)
	v_subrev_nc_u32_e32 v13, 29, v12
	v_sub_nc_u32_e32 v12, 30, v12
	v_lshlrev_b32_e32 v8, v13, v8
	v_bfe_u32 v13, v10, 26, 5
	s_delay_alu instid0(VALU_DEP_2) | instskip(NEXT) | instid1(VALU_DEP_2)
	v_and_b32_e32 v8, 3, v8
	v_cmp_eq_u32_e32 vcc_lo, 0, v13
	v_cndmask_b32_e32 v12, v13, v12, vcc_lo
	s_delay_alu instid0(VALU_DEP_3) | instskip(NEXT) | instid1(VALU_DEP_2)
	v_dual_cndmask_b32 v8, v9, v8 :: v_dual_and_b32 v9, 0x80000000, v10
	v_lshl_add_u32 v10, v12, 23, 0x37800000
	s_delay_alu instid0(VALU_DEP_2) | instskip(NEXT) | instid1(VALU_DEP_1)
	v_lshlrev_b32_e32 v8, 21, v8
	v_or3_b32 v9, v9, v10, v8
.LBB4_2130:                             ;   in Loop: Header=BB4_1985 Depth=4
	s_or_b32 exec_lo, exec_lo, s35
	s_delay_alu instid0(VALU_DEP_1) | instskip(SKIP_2) | instid1(VALU_DEP_2)
	v_mul_f32_e32 v8, s34, v9
	v_mov_b32_e32 v180, 0x80
	s_mov_b32 s35, exec_lo
	v_and_b32_e32 v9, 0x7f800000, v8
	s_delay_alu instid0(VALU_DEP_1)
	v_cmpx_ne_u32_e32 0x7f800000, v9
	s_cbranch_execz .LBB4_2138
; %bb.2131:                             ;   in Loop: Header=BB4_1985 Depth=4
	v_mov_b32_e32 v180, 0
	s_mov_b32 s36, exec_lo
	v_cmpx_ne_u32_e32 0, v8
	s_cbranch_execz .LBB4_2137
; %bb.2132:                             ;   in Loop: Header=BB4_1985 Depth=4
	v_bfe_u32 v9, v8, 23, 8
	v_and_b32_e32 v10, 0x7fffff, v8
	s_delay_alu instid0(VALU_DEP_2) | instskip(SKIP_1) | instid1(VALU_DEP_3)
	v_sub_nc_u32_e32 v12, 0x70, v9
	v_cmp_gt_u32_e32 vcc_lo, 0x71, v9
	v_or_b32_e32 v13, 0x800000, v10
	s_delay_alu instid0(VALU_DEP_3) | instskip(SKIP_2) | instid1(VALU_DEP_3)
	v_cndmask_b32_e32 v12, 0, v12, vcc_lo
	v_cmp_eq_u32_e32 vcc_lo, 0, v9
	v_add_nc_u32_e32 v9, 0xffffff91, v9
	v_cndmask_b32_e64 v12, v12, 0x6f, vcc_lo
	v_cndmask_b32_e32 v10, v13, v10, vcc_lo
	s_delay_alu instid0(VALU_DEP_3) | instskip(NEXT) | instid1(VALU_DEP_3)
	v_cndmask_b32_e64 v9, v9, 0xffffff92, vcc_lo
	v_lshl_add_u32 v13, 0x200000, v12, -1
	s_delay_alu instid0(VALU_DEP_3) | instskip(SKIP_1) | instid1(VALU_DEP_4)
	v_lshrrev_b32_e32 v14, v12, v10
	v_lshlrev_b32_e64 v134, v12, 0x100000
	v_add_nc_u32_e32 v12, v12, v9
	s_delay_alu instid0(VALU_DEP_4) | instskip(NEXT) | instid1(VALU_DEP_4)
	v_and_b32_e32 v10, v13, v10
	v_bfe_u32 v15, v14, 21, 1
	s_delay_alu instid0(VALU_DEP_2) | instskip(NEXT) | instid1(VALU_DEP_2)
	v_cmp_eq_u32_e64 s13, v10, v134
	v_add_nc_u32_e32 v13, -1, v15
	s_delay_alu instid0(VALU_DEP_1) | instskip(SKIP_2) | instid1(VALU_DEP_2)
	v_cndmask_b32_e64 v10, 0, v13, s13
	v_lshrrev_b32_e32 v13, 23, v14
	s_mov_b32 s13, exec_lo
	v_add_nc_u32_e32 v10, v10, v14
	s_delay_alu instid0(VALU_DEP_2) | instskip(NEXT) | instid1(VALU_DEP_2)
	v_xor_b32_e32 v13, 1, v13
	v_and_b32_e32 v9, 0x1fffff, v10
	s_delay_alu instid0(VALU_DEP_1) | instskip(NEXT) | instid1(VALU_DEP_3)
	v_add_nc_u32_e32 v10, v9, v14
                                        ; implicit-def: $vgpr9
	v_cmpx_ne_u32_e64 v12, v13
	s_xor_b32 s13, exec_lo, s13
; %bb.2133:                             ;   in Loop: Header=BB4_1985 Depth=4
	s_delay_alu instid0(VALU_DEP_2) | instskip(SKIP_2) | instid1(VALU_DEP_2)
	v_cmp_lt_u32_e32 vcc_lo, 0xffffff, v10
	v_sub_nc_u32_e32 v9, v12, v13
	v_cndmask_b32_e64 v12, 0, 1, vcc_lo
	v_add_co_ci_u32_e32 v9, vcc_lo, 0, v9, vcc_lo
	s_delay_alu instid0(VALU_DEP_2)
	v_lshrrev_b32_e32 v10, v12, v10
; %bb.2134:                             ;   in Loop: Header=BB4_1985 Depth=4
	s_and_not1_saveexec_b32 s13, s13
; %bb.2135:                             ;   in Loop: Header=BB4_1985 Depth=4
	s_delay_alu instid0(VALU_DEP_1)
	v_bfe_u32 v9, v10, 23, 1
; %bb.2136:                             ;   in Loop: Header=BB4_1985 Depth=4
	s_or_b32 exec_lo, exec_lo, s13
	v_lshrrev_b32_e32 v10, 21, v10
	s_delay_alu instid0(VALU_DEP_2) | instskip(SKIP_2) | instid1(VALU_DEP_4)
	v_cmp_gt_i32_e32 vcc_lo, 32, v9
	v_lshrrev_b32_e32 v8, 24, v8
	v_min_i32_e32 v12, 31, v9
	v_cndmask_b32_e32 v10, 3, v10, vcc_lo
	s_delay_alu instid0(VALU_DEP_3) | instskip(NEXT) | instid1(VALU_DEP_3)
	v_and_b32_e32 v8, 0x80, v8
	v_lshlrev_b32_e32 v12, 2, v12
	s_delay_alu instid0(VALU_DEP_3) | instskip(NEXT) | instid1(VALU_DEP_1)
	v_or_b32_e32 v9, v9, v10
	v_cmp_ne_u32_e32 vcc_lo, 0, v9
	v_and_b32_e32 v13, 3, v10
	s_delay_alu instid0(VALU_DEP_1) | instskip(NEXT) | instid1(VALU_DEP_1)
	v_or3_b32 v8, v12, v8, v13
	v_cndmask_b32_e32 v180, 0, v8, vcc_lo
.LBB4_2137:                             ;   in Loop: Header=BB4_1985 Depth=4
	s_or_b32 exec_lo, exec_lo, s36
.LBB4_2138:                             ;   in Loop: Header=BB4_1985 Depth=4
	s_delay_alu instid0(SALU_CYCLE_1) | instskip(SKIP_3) | instid1(VALU_DEP_1)
	s_or_b32 exec_lo, exec_lo, s35
	v_and_b32_e32 v9, 0xff, v11
	s_mov_b32 s13, 0
	s_mov_b32 s36, exec_lo
                                        ; implicit-def: $sgpr35
	v_cmpx_lt_i16_e32 0x7f, v9
	s_xor_b32 s36, exec_lo, s36
	s_cbranch_execnz .LBB4_2936
; %bb.2139:                             ;   in Loop: Header=BB4_1985 Depth=4
	s_or_saveexec_b32 s36, s36
	v_mov_b32_e32 v8, s35
	s_xor_b32 exec_lo, exec_lo, s36
	s_cbranch_execnz .LBB4_2939
.LBB4_2140:                             ;   in Loop: Header=BB4_1985 Depth=4
	s_or_b32 exec_lo, exec_lo, s36
	s_and_saveexec_b32 s35, s13
	s_cbranch_execz .LBB4_2142
.LBB4_2141:                             ;   in Loop: Header=BB4_1985 Depth=4
	v_bfe_u32 v12, v11, 2, 5
	s_delay_alu instid0(VALU_DEP_1) | instskip(SKIP_1) | instid1(VALU_DEP_1)
	v_cmp_eq_u32_e32 vcc_lo, 0, v12
	v_and_b32_e32 v8, 3, v11
	v_clz_i32_u32_e32 v9, v8
	s_delay_alu instid0(VALU_DEP_1) | instskip(NEXT) | instid1(VALU_DEP_1)
	v_min_u32_e32 v9, 32, v9
	v_subrev_nc_u32_e32 v10, 29, v9
	v_sub_nc_u32_e32 v9, 30, v9
	s_delay_alu instid0(VALU_DEP_1) | instskip(NEXT) | instid1(VALU_DEP_1)
	v_dual_cndmask_b32 v9, v12, v9 :: v_dual_lshlrev_b32 v10, v10, v11
	v_and_b32_e32 v10, 3, v10
	v_lshlrev_b32_e32 v13, 24, v11
	s_delay_alu instid0(VALU_DEP_3) | instskip(NEXT) | instid1(VALU_DEP_3)
	v_lshl_add_u32 v9, v9, 23, 0x37800000
	v_cndmask_b32_e32 v8, v8, v10, vcc_lo
	s_delay_alu instid0(VALU_DEP_3) | instskip(NEXT) | instid1(VALU_DEP_2)
	v_and_b32_e32 v10, 0x80000000, v13
	v_lshlrev_b32_e32 v8, 21, v8
	s_delay_alu instid0(VALU_DEP_1)
	v_or3_b32 v8, v10, v9, v8
.LBB4_2142:                             ;   in Loop: Header=BB4_1985 Depth=4
	s_or_b32 exec_lo, exec_lo, s35
	s_delay_alu instid0(VALU_DEP_1) | instskip(SKIP_1) | instid1(VALU_DEP_1)
	v_dual_mul_f32 v8, s34, v8 :: v_dual_mov_b32 v179, 0x80
	s_mov_b32 s35, exec_lo
	v_and_b32_e32 v9, 0x7f800000, v8
	s_delay_alu instid0(VALU_DEP_1)
	v_cmpx_ne_u32_e32 0x7f800000, v9
	s_cbranch_execz .LBB4_2150
; %bb.2143:                             ;   in Loop: Header=BB4_1985 Depth=4
	v_mov_b32_e32 v179, 0
	s_mov_b32 s36, exec_lo
	v_cmpx_ne_u32_e32 0, v8
	s_cbranch_execz .LBB4_2149
; %bb.2144:                             ;   in Loop: Header=BB4_1985 Depth=4
	v_bfe_u32 v9, v8, 23, 8
	v_and_b32_e32 v10, 0x7fffff, v8
	s_delay_alu instid0(VALU_DEP_2) | instskip(SKIP_1) | instid1(VALU_DEP_3)
	v_sub_nc_u32_e32 v12, 0x70, v9
	v_cmp_gt_u32_e32 vcc_lo, 0x71, v9
	v_or_b32_e32 v13, 0x800000, v10
	s_delay_alu instid0(VALU_DEP_3) | instskip(SKIP_2) | instid1(VALU_DEP_3)
	v_cndmask_b32_e32 v12, 0, v12, vcc_lo
	v_cmp_eq_u32_e32 vcc_lo, 0, v9
	v_add_nc_u32_e32 v9, 0xffffff91, v9
	v_cndmask_b32_e64 v12, v12, 0x6f, vcc_lo
	v_cndmask_b32_e32 v10, v13, v10, vcc_lo
	s_delay_alu instid0(VALU_DEP_3) | instskip(NEXT) | instid1(VALU_DEP_3)
	v_cndmask_b32_e64 v9, v9, 0xffffff92, vcc_lo
	v_lshl_add_u32 v13, 0x200000, v12, -1
	s_delay_alu instid0(VALU_DEP_3) | instskip(SKIP_1) | instid1(VALU_DEP_4)
	v_lshrrev_b32_e32 v14, v12, v10
	v_lshlrev_b32_e64 v134, v12, 0x100000
	v_add_nc_u32_e32 v12, v12, v9
	s_delay_alu instid0(VALU_DEP_4) | instskip(NEXT) | instid1(VALU_DEP_4)
	v_and_b32_e32 v10, v13, v10
	v_bfe_u32 v15, v14, 21, 1
	s_delay_alu instid0(VALU_DEP_2) | instskip(NEXT) | instid1(VALU_DEP_2)
	v_cmp_eq_u32_e64 s13, v10, v134
	v_add_nc_u32_e32 v13, -1, v15
	s_delay_alu instid0(VALU_DEP_1) | instskip(SKIP_2) | instid1(VALU_DEP_2)
	v_cndmask_b32_e64 v10, 0, v13, s13
	v_lshrrev_b32_e32 v13, 23, v14
	s_mov_b32 s13, exec_lo
	v_add_nc_u32_e32 v10, v10, v14
	s_delay_alu instid0(VALU_DEP_2) | instskip(NEXT) | instid1(VALU_DEP_2)
	v_xor_b32_e32 v13, 1, v13
	v_and_b32_e32 v9, 0x1fffff, v10
	s_delay_alu instid0(VALU_DEP_1) | instskip(NEXT) | instid1(VALU_DEP_3)
	v_add_nc_u32_e32 v10, v9, v14
                                        ; implicit-def: $vgpr9
	v_cmpx_ne_u32_e64 v12, v13
	s_xor_b32 s13, exec_lo, s13
; %bb.2145:                             ;   in Loop: Header=BB4_1985 Depth=4
	s_delay_alu instid0(VALU_DEP_2) | instskip(SKIP_2) | instid1(VALU_DEP_2)
	v_cmp_lt_u32_e32 vcc_lo, 0xffffff, v10
	v_sub_nc_u32_e32 v9, v12, v13
	v_cndmask_b32_e64 v12, 0, 1, vcc_lo
	v_add_co_ci_u32_e32 v9, vcc_lo, 0, v9, vcc_lo
	s_delay_alu instid0(VALU_DEP_2)
	v_lshrrev_b32_e32 v10, v12, v10
; %bb.2146:                             ;   in Loop: Header=BB4_1985 Depth=4
	s_and_not1_saveexec_b32 s13, s13
; %bb.2147:                             ;   in Loop: Header=BB4_1985 Depth=4
	s_delay_alu instid0(VALU_DEP_1)
	v_bfe_u32 v9, v10, 23, 1
; %bb.2148:                             ;   in Loop: Header=BB4_1985 Depth=4
	s_or_b32 exec_lo, exec_lo, s13
	v_lshrrev_b32_e32 v10, 21, v10
	s_delay_alu instid0(VALU_DEP_2) | instskip(SKIP_2) | instid1(VALU_DEP_3)
	v_min_i32_e32 v12, 31, v9
	v_cmp_gt_i32_e32 vcc_lo, 32, v9
	v_lshrrev_b32_e32 v8, 24, v8
	v_lshlrev_b32_e32 v12, 2, v12
	v_cndmask_b32_e32 v10, 3, v10, vcc_lo
	s_delay_alu instid0(VALU_DEP_3) | instskip(NEXT) | instid1(VALU_DEP_3)
	v_and_b32_e32 v8, 0x80, v8
	v_and_b32_e32 v12, 0xfc, v12
	s_delay_alu instid0(VALU_DEP_3) | instskip(SKIP_1) | instid1(VALU_DEP_2)
	v_and_b32_e32 v13, 3, v10
	v_or_b32_e32 v9, v9, v10
	v_or3_b32 v8, v12, v8, v13
	s_delay_alu instid0(VALU_DEP_2) | instskip(NEXT) | instid1(VALU_DEP_2)
	v_cmp_ne_u32_e32 vcc_lo, 0, v9
	v_cndmask_b32_e32 v179, 0, v8, vcc_lo
.LBB4_2149:                             ;   in Loop: Header=BB4_1985 Depth=4
	s_or_b32 exec_lo, exec_lo, s36
.LBB4_2150:                             ;   in Loop: Header=BB4_1985 Depth=4
	s_delay_alu instid0(SALU_CYCLE_1) | instskip(SKIP_3) | instid1(VALU_DEP_1)
	s_or_b32 exec_lo, exec_lo, s35
	v_lshrrev_b16 v8, 8, v11
	s_mov_b32 s13, 0
	s_mov_b32 s36, exec_lo
                                        ; implicit-def: $sgpr35
	v_cmpx_lt_i16_e32 0x7f, v8
	s_xor_b32 s36, exec_lo, s36
	s_cbranch_execnz .LBB4_2940
; %bb.2151:                             ;   in Loop: Header=BB4_1985 Depth=4
	s_or_saveexec_b32 s36, s36
	v_mov_b32_e32 v9, s35
	s_xor_b32 exec_lo, exec_lo, s36
	s_cbranch_execnz .LBB4_2943
.LBB4_2152:                             ;   in Loop: Header=BB4_1985 Depth=4
	s_or_b32 exec_lo, exec_lo, s36
	s_and_saveexec_b32 s35, s13
	s_cbranch_execz .LBB4_2154
.LBB4_2153:                             ;   in Loop: Header=BB4_1985 Depth=4
	v_and_b32_e32 v9, 0xffff, v8
	v_lshlrev_b32_e32 v8, 24, v8
	s_delay_alu instid0(VALU_DEP_2) | instskip(NEXT) | instid1(VALU_DEP_2)
	v_and_b32_e32 v10, 3, v9
	v_and_b32_e32 v8, 0x80000000, v8
	s_delay_alu instid0(VALU_DEP_2) | instskip(NEXT) | instid1(VALU_DEP_1)
	v_clz_i32_u32_e32 v12, v10
	v_min_u32_e32 v12, 32, v12
	s_delay_alu instid0(VALU_DEP_1) | instskip(SKIP_1) | instid1(VALU_DEP_2)
	v_subrev_nc_u32_e32 v13, 29, v12
	v_sub_nc_u32_e32 v12, 30, v12
	v_lshlrev_b32_e32 v13, v13, v9
	v_bfe_u32 v9, v9, 2, 5
	s_delay_alu instid0(VALU_DEP_2) | instskip(NEXT) | instid1(VALU_DEP_2)
	v_and_b32_e32 v13, 3, v13
	v_cmp_eq_u32_e32 vcc_lo, 0, v9
	s_delay_alu instid0(VALU_DEP_2) | instskip(NEXT) | instid1(VALU_DEP_1)
	v_dual_cndmask_b32 v9, v9, v12 :: v_dual_cndmask_b32 v10, v10, v13
	v_lshl_add_u32 v9, v9, 23, 0x37800000
	s_delay_alu instid0(VALU_DEP_2) | instskip(NEXT) | instid1(VALU_DEP_1)
	v_lshlrev_b32_e32 v10, 21, v10
	v_or3_b32 v9, v8, v9, v10
.LBB4_2154:                             ;   in Loop: Header=BB4_1985 Depth=4
	s_or_b32 exec_lo, exec_lo, s35
	s_delay_alu instid0(VALU_DEP_1) | instskip(SKIP_1) | instid1(VALU_DEP_1)
	v_dual_mul_f32 v8, s34, v9 :: v_dual_mov_b32 v41, 0x8000
	s_mov_b32 s35, exec_lo
	v_and_b32_e32 v9, 0x7f800000, v8
	s_delay_alu instid0(VALU_DEP_1)
	v_cmpx_ne_u32_e32 0x7f800000, v9
	s_cbranch_execz .LBB4_2162
; %bb.2155:                             ;   in Loop: Header=BB4_1985 Depth=4
	v_mov_b32_e32 v41, 0
	s_mov_b32 s36, exec_lo
	v_cmpx_ne_u32_e32 0, v8
	s_cbranch_execz .LBB4_2161
; %bb.2156:                             ;   in Loop: Header=BB4_1985 Depth=4
	v_bfe_u32 v9, v8, 23, 8
	v_and_b32_e32 v10, 0x7fffff, v8
	s_delay_alu instid0(VALU_DEP_2) | instskip(SKIP_1) | instid1(VALU_DEP_3)
	v_sub_nc_u32_e32 v12, 0x70, v9
	v_cmp_gt_u32_e32 vcc_lo, 0x71, v9
	v_or_b32_e32 v13, 0x800000, v10
	s_delay_alu instid0(VALU_DEP_3) | instskip(SKIP_2) | instid1(VALU_DEP_3)
	v_cndmask_b32_e32 v12, 0, v12, vcc_lo
	v_cmp_eq_u32_e32 vcc_lo, 0, v9
	v_add_nc_u32_e32 v9, 0xffffff91, v9
	v_cndmask_b32_e64 v12, v12, 0x6f, vcc_lo
	v_cndmask_b32_e32 v10, v13, v10, vcc_lo
	s_delay_alu instid0(VALU_DEP_3) | instskip(NEXT) | instid1(VALU_DEP_3)
	v_cndmask_b32_e64 v9, v9, 0xffffff92, vcc_lo
	v_lshl_add_u32 v13, 0x200000, v12, -1
	s_delay_alu instid0(VALU_DEP_3) | instskip(SKIP_1) | instid1(VALU_DEP_4)
	v_lshrrev_b32_e32 v14, v12, v10
	v_lshlrev_b32_e64 v134, v12, 0x100000
	v_add_nc_u32_e32 v12, v12, v9
	s_delay_alu instid0(VALU_DEP_4) | instskip(NEXT) | instid1(VALU_DEP_4)
	v_and_b32_e32 v10, v13, v10
	v_bfe_u32 v15, v14, 21, 1
	s_delay_alu instid0(VALU_DEP_2) | instskip(NEXT) | instid1(VALU_DEP_2)
	v_cmp_eq_u32_e64 s13, v10, v134
	v_add_nc_u32_e32 v13, -1, v15
	s_delay_alu instid0(VALU_DEP_1) | instskip(SKIP_2) | instid1(VALU_DEP_2)
	v_cndmask_b32_e64 v10, 0, v13, s13
	v_lshrrev_b32_e32 v13, 23, v14
	s_mov_b32 s13, exec_lo
	v_add_nc_u32_e32 v10, v10, v14
	s_delay_alu instid0(VALU_DEP_2) | instskip(NEXT) | instid1(VALU_DEP_2)
	v_xor_b32_e32 v13, 1, v13
	v_and_b32_e32 v9, 0x1fffff, v10
	s_delay_alu instid0(VALU_DEP_1) | instskip(NEXT) | instid1(VALU_DEP_3)
	v_add_nc_u32_e32 v10, v9, v14
                                        ; implicit-def: $vgpr9
	v_cmpx_ne_u32_e64 v12, v13
	s_xor_b32 s13, exec_lo, s13
; %bb.2157:                             ;   in Loop: Header=BB4_1985 Depth=4
	s_delay_alu instid0(VALU_DEP_2) | instskip(SKIP_2) | instid1(VALU_DEP_2)
	v_cmp_lt_u32_e32 vcc_lo, 0xffffff, v10
	v_sub_nc_u32_e32 v9, v12, v13
	v_cndmask_b32_e64 v12, 0, 1, vcc_lo
	v_add_co_ci_u32_e32 v9, vcc_lo, 0, v9, vcc_lo
	s_delay_alu instid0(VALU_DEP_2)
	v_lshrrev_b32_e32 v10, v12, v10
; %bb.2158:                             ;   in Loop: Header=BB4_1985 Depth=4
	s_and_not1_saveexec_b32 s13, s13
; %bb.2159:                             ;   in Loop: Header=BB4_1985 Depth=4
	s_delay_alu instid0(VALU_DEP_1)
	v_bfe_u32 v9, v10, 23, 1
; %bb.2160:                             ;   in Loop: Header=BB4_1985 Depth=4
	s_or_b32 exec_lo, exec_lo, s13
	v_lshrrev_b32_e32 v10, 21, v10
	s_delay_alu instid0(VALU_DEP_2) | instskip(SKIP_2) | instid1(VALU_DEP_3)
	v_min_i32_e32 v12, 31, v9
	v_cmp_gt_i32_e32 vcc_lo, 32, v9
	v_lshrrev_b32_e32 v8, 24, v8
	v_lshlrev_b32_e32 v12, 2, v12
	v_cndmask_b32_e32 v10, 3, v10, vcc_lo
	s_delay_alu instid0(VALU_DEP_3) | instskip(NEXT) | instid1(VALU_DEP_3)
	v_and_b32_e32 v8, 0x80, v8
	v_and_b32_e32 v12, 0xfc, v12
	s_delay_alu instid0(VALU_DEP_3) | instskip(SKIP_1) | instid1(VALU_DEP_2)
	v_and_b32_e32 v13, 3, v10
	v_or_b32_e32 v9, v9, v10
	v_or3_b32 v8, v8, v12, v13
	s_delay_alu instid0(VALU_DEP_2) | instskip(NEXT) | instid1(VALU_DEP_2)
	v_cmp_ne_u32_e32 vcc_lo, 0, v9
	v_lshlrev_b32_e32 v8, 8, v8
	s_delay_alu instid0(VALU_DEP_1)
	v_cndmask_b32_e32 v41, 0, v8, vcc_lo
.LBB4_2161:                             ;   in Loop: Header=BB4_1985 Depth=4
	s_or_b32 exec_lo, exec_lo, s36
.LBB4_2162:                             ;   in Loop: Header=BB4_1985 Depth=4
	s_delay_alu instid0(SALU_CYCLE_1) | instskip(SKIP_3) | instid1(VALU_DEP_1)
	s_or_b32 exec_lo, exec_lo, s35
	v_lshrrev_b32_e32 v8, 16, v11
	s_mov_b32 s13, 0
	s_mov_b32 s36, exec_lo
                                        ; implicit-def: $sgpr35
	v_and_b32_e32 v10, 0xff, v8
	s_delay_alu instid0(VALU_DEP_1)
	v_cmpx_lt_i16_e32 0x7f, v10
	s_xor_b32 s36, exec_lo, s36
	s_cbranch_execnz .LBB4_2944
; %bb.2163:                             ;   in Loop: Header=BB4_1985 Depth=4
	s_or_saveexec_b32 s36, s36
	v_mov_b32_e32 v9, s35
	s_xor_b32 exec_lo, exec_lo, s36
	s_cbranch_execnz .LBB4_2947
.LBB4_2164:                             ;   in Loop: Header=BB4_1985 Depth=4
	s_or_b32 exec_lo, exec_lo, s36
	s_and_saveexec_b32 s35, s13
	s_cbranch_execz .LBB4_2166
.LBB4_2165:                             ;   in Loop: Header=BB4_1985 Depth=4
	v_bfe_u32 v9, v11, 16, 2
	s_delay_alu instid0(VALU_DEP_1) | instskip(NEXT) | instid1(VALU_DEP_1)
	v_clz_i32_u32_e32 v10, v9
	v_min_u32_e32 v10, 32, v10
	s_delay_alu instid0(VALU_DEP_1) | instskip(SKIP_1) | instid1(VALU_DEP_2)
	v_subrev_nc_u32_e32 v12, 29, v10
	v_sub_nc_u32_e32 v10, 30, v10
	v_lshlrev_b32_e32 v8, v12, v8
	v_bfe_u32 v12, v11, 18, 5
	s_delay_alu instid0(VALU_DEP_2) | instskip(NEXT) | instid1(VALU_DEP_2)
	v_and_b32_e32 v8, 3, v8
	v_cmp_eq_u32_e32 vcc_lo, 0, v12
	v_dual_cndmask_b32 v10, v12, v10 :: v_dual_lshlrev_b32 v13, 8, v11
	s_delay_alu instid0(VALU_DEP_1) | instskip(NEXT) | instid1(VALU_DEP_2)
	v_dual_cndmask_b32 v8, v9, v8 :: v_dual_and_b32 v9, 0x80000000, v13
	v_lshl_add_u32 v10, v10, 23, 0x37800000
	s_delay_alu instid0(VALU_DEP_2) | instskip(NEXT) | instid1(VALU_DEP_1)
	v_lshlrev_b32_e32 v8, 21, v8
	v_or3_b32 v9, v9, v10, v8
.LBB4_2166:                             ;   in Loop: Header=BB4_1985 Depth=4
	s_or_b32 exec_lo, exec_lo, s35
	s_delay_alu instid0(VALU_DEP_1) | instskip(SKIP_2) | instid1(VALU_DEP_2)
	v_mul_f32_e32 v8, s34, v9
	v_mov_b32_e32 v178, 0x80
	s_mov_b32 s35, exec_lo
	v_and_b32_e32 v9, 0x7f800000, v8
	s_delay_alu instid0(VALU_DEP_1)
	v_cmpx_ne_u32_e32 0x7f800000, v9
	s_cbranch_execz .LBB4_2174
; %bb.2167:                             ;   in Loop: Header=BB4_1985 Depth=4
	v_mov_b32_e32 v178, 0
	s_mov_b32 s36, exec_lo
	v_cmpx_ne_u32_e32 0, v8
	s_cbranch_execz .LBB4_2173
; %bb.2168:                             ;   in Loop: Header=BB4_1985 Depth=4
	v_bfe_u32 v9, v8, 23, 8
	v_and_b32_e32 v10, 0x7fffff, v8
	s_delay_alu instid0(VALU_DEP_2) | instskip(SKIP_1) | instid1(VALU_DEP_3)
	v_sub_nc_u32_e32 v12, 0x70, v9
	v_cmp_gt_u32_e32 vcc_lo, 0x71, v9
	v_or_b32_e32 v13, 0x800000, v10
	s_delay_alu instid0(VALU_DEP_3) | instskip(SKIP_2) | instid1(VALU_DEP_3)
	v_cndmask_b32_e32 v12, 0, v12, vcc_lo
	v_cmp_eq_u32_e32 vcc_lo, 0, v9
	v_add_nc_u32_e32 v9, 0xffffff91, v9
	v_cndmask_b32_e64 v12, v12, 0x6f, vcc_lo
	v_cndmask_b32_e32 v10, v13, v10, vcc_lo
	s_delay_alu instid0(VALU_DEP_3) | instskip(NEXT) | instid1(VALU_DEP_3)
	v_cndmask_b32_e64 v9, v9, 0xffffff92, vcc_lo
	v_lshl_add_u32 v13, 0x200000, v12, -1
	s_delay_alu instid0(VALU_DEP_3) | instskip(SKIP_1) | instid1(VALU_DEP_4)
	v_lshrrev_b32_e32 v14, v12, v10
	v_lshlrev_b32_e64 v134, v12, 0x100000
	v_add_nc_u32_e32 v12, v12, v9
	s_delay_alu instid0(VALU_DEP_4) | instskip(NEXT) | instid1(VALU_DEP_4)
	v_and_b32_e32 v10, v13, v10
	v_bfe_u32 v15, v14, 21, 1
	s_delay_alu instid0(VALU_DEP_2) | instskip(NEXT) | instid1(VALU_DEP_2)
	v_cmp_eq_u32_e64 s13, v10, v134
	v_add_nc_u32_e32 v13, -1, v15
	s_delay_alu instid0(VALU_DEP_1) | instskip(SKIP_2) | instid1(VALU_DEP_2)
	v_cndmask_b32_e64 v10, 0, v13, s13
	v_lshrrev_b32_e32 v13, 23, v14
	s_mov_b32 s13, exec_lo
	v_add_nc_u32_e32 v10, v10, v14
	s_delay_alu instid0(VALU_DEP_2) | instskip(NEXT) | instid1(VALU_DEP_2)
	v_xor_b32_e32 v13, 1, v13
	v_and_b32_e32 v9, 0x1fffff, v10
	s_delay_alu instid0(VALU_DEP_1) | instskip(NEXT) | instid1(VALU_DEP_3)
	v_add_nc_u32_e32 v10, v9, v14
                                        ; implicit-def: $vgpr9
	v_cmpx_ne_u32_e64 v12, v13
	s_xor_b32 s13, exec_lo, s13
; %bb.2169:                             ;   in Loop: Header=BB4_1985 Depth=4
	s_delay_alu instid0(VALU_DEP_2) | instskip(SKIP_2) | instid1(VALU_DEP_2)
	v_cmp_lt_u32_e32 vcc_lo, 0xffffff, v10
	v_sub_nc_u32_e32 v9, v12, v13
	v_cndmask_b32_e64 v12, 0, 1, vcc_lo
	v_add_co_ci_u32_e32 v9, vcc_lo, 0, v9, vcc_lo
	s_delay_alu instid0(VALU_DEP_2)
	v_lshrrev_b32_e32 v10, v12, v10
; %bb.2170:                             ;   in Loop: Header=BB4_1985 Depth=4
	s_and_not1_saveexec_b32 s13, s13
; %bb.2171:                             ;   in Loop: Header=BB4_1985 Depth=4
	s_delay_alu instid0(VALU_DEP_1)
	v_bfe_u32 v9, v10, 23, 1
; %bb.2172:                             ;   in Loop: Header=BB4_1985 Depth=4
	s_or_b32 exec_lo, exec_lo, s13
	v_lshrrev_b32_e32 v10, 21, v10
	s_delay_alu instid0(VALU_DEP_2) | instskip(SKIP_2) | instid1(VALU_DEP_4)
	v_cmp_gt_i32_e32 vcc_lo, 32, v9
	v_min_i32_e32 v12, 31, v9
	v_lshrrev_b32_e32 v8, 24, v8
	v_cndmask_b32_e32 v10, 3, v10, vcc_lo
	s_delay_alu instid0(VALU_DEP_3) | instskip(NEXT) | instid1(VALU_DEP_3)
	v_lshlrev_b32_e32 v12, 2, v12
	v_and_b32_e32 v8, 0x80, v8
	s_delay_alu instid0(VALU_DEP_3) | instskip(NEXT) | instid1(VALU_DEP_3)
	v_or_b32_e32 v9, v9, v10
	v_and_b32_e32 v12, 0xfc, v12
	s_delay_alu instid0(VALU_DEP_2) | instskip(SKIP_1) | instid1(VALU_DEP_1)
	v_cmp_ne_u32_e32 vcc_lo, 0, v9
	v_and_b32_e32 v13, 3, v10
	v_or3_b32 v8, v12, v8, v13
	s_delay_alu instid0(VALU_DEP_1)
	v_cndmask_b32_e32 v178, 0, v8, vcc_lo
.LBB4_2173:                             ;   in Loop: Header=BB4_1985 Depth=4
	s_or_b32 exec_lo, exec_lo, s36
.LBB4_2174:                             ;   in Loop: Header=BB4_1985 Depth=4
	s_delay_alu instid0(SALU_CYCLE_1) | instskip(SKIP_3) | instid1(VALU_DEP_1)
	s_or_b32 exec_lo, exec_lo, s35
	v_lshrrev_b32_e32 v8, 24, v11
	s_mov_b32 s13, 0
	s_mov_b32 s36, exec_lo
                                        ; implicit-def: $sgpr35
	v_cmpx_lt_i16_e32 0x7f, v8
	s_xor_b32 s36, exec_lo, s36
	s_cbranch_execnz .LBB4_2948
; %bb.2175:                             ;   in Loop: Header=BB4_1985 Depth=4
	s_or_saveexec_b32 s36, s36
	v_mov_b32_e32 v9, s35
	s_xor_b32 exec_lo, exec_lo, s36
	s_cbranch_execnz .LBB4_2951
.LBB4_2176:                             ;   in Loop: Header=BB4_1985 Depth=4
	s_or_b32 exec_lo, exec_lo, s36
	s_and_saveexec_b32 s35, s13
	s_cbranch_execz .LBB4_2178
.LBB4_2177:                             ;   in Loop: Header=BB4_1985 Depth=4
	v_bfe_u32 v9, v11, 24, 2
	s_delay_alu instid0(VALU_DEP_1) | instskip(NEXT) | instid1(VALU_DEP_1)
	v_clz_i32_u32_e32 v10, v9
	v_min_u32_e32 v10, 32, v10
	s_delay_alu instid0(VALU_DEP_1) | instskip(SKIP_1) | instid1(VALU_DEP_2)
	v_subrev_nc_u32_e32 v12, 29, v10
	v_sub_nc_u32_e32 v10, 30, v10
	v_lshlrev_b32_e32 v8, v12, v8
	v_bfe_u32 v12, v11, 26, 5
	s_delay_alu instid0(VALU_DEP_2) | instskip(NEXT) | instid1(VALU_DEP_2)
	v_and_b32_e32 v8, 3, v8
	v_cmp_eq_u32_e32 vcc_lo, 0, v12
	v_cndmask_b32_e32 v10, v12, v10, vcc_lo
	s_delay_alu instid0(VALU_DEP_3) | instskip(NEXT) | instid1(VALU_DEP_2)
	v_dual_cndmask_b32 v8, v9, v8 :: v_dual_and_b32 v9, 0x80000000, v11
	v_lshl_add_u32 v10, v10, 23, 0x37800000
	s_delay_alu instid0(VALU_DEP_2) | instskip(NEXT) | instid1(VALU_DEP_1)
	v_lshlrev_b32_e32 v8, 21, v8
	v_or3_b32 v9, v9, v10, v8
.LBB4_2178:                             ;   in Loop: Header=BB4_1985 Depth=4
	s_or_b32 exec_lo, exec_lo, s35
	s_delay_alu instid0(VALU_DEP_1) | instskip(SKIP_1) | instid1(VALU_DEP_1)
	v_dual_mul_f32 v8, s34, v9 :: v_dual_mov_b32 v181, 0x8000
	s_mov_b32 s35, exec_lo
	v_and_b32_e32 v9, 0x7f800000, v8
	s_delay_alu instid0(VALU_DEP_1)
	v_cmpx_ne_u32_e32 0x7f800000, v9
	s_cbranch_execz .LBB4_2186
; %bb.2179:                             ;   in Loop: Header=BB4_1985 Depth=4
	v_mov_b32_e32 v181, 0
	s_mov_b32 s36, exec_lo
	v_cmpx_ne_u32_e32 0, v8
	s_cbranch_execz .LBB4_2185
; %bb.2180:                             ;   in Loop: Header=BB4_1985 Depth=4
	v_bfe_u32 v9, v8, 23, 8
	s_delay_alu instid0(VALU_DEP_1) | instskip(SKIP_1) | instid1(VALU_DEP_2)
	v_sub_nc_u32_e32 v11, 0x70, v9
	v_cmp_gt_u32_e32 vcc_lo, 0x71, v9
	v_dual_cndmask_b32 v11, 0, v11 :: v_dual_and_b32 v10, 0x7fffff, v8
	s_delay_alu instid0(VALU_DEP_1) | instskip(SKIP_2) | instid1(VALU_DEP_4)
	v_or_b32_e32 v12, 0x800000, v10
	v_cmp_eq_u32_e32 vcc_lo, 0, v9
	v_add_nc_u32_e32 v9, 0xffffff91, v9
	v_cndmask_b32_e64 v11, v11, 0x6f, vcc_lo
	s_delay_alu instid0(VALU_DEP_4) | instskip(NEXT) | instid1(VALU_DEP_3)
	v_cndmask_b32_e32 v10, v12, v10, vcc_lo
	v_cndmask_b32_e64 v9, v9, 0xffffff92, vcc_lo
	s_delay_alu instid0(VALU_DEP_3) | instskip(NEXT) | instid1(VALU_DEP_3)
	v_lshl_add_u32 v12, 0x200000, v11, -1
	v_lshrrev_b32_e32 v13, v11, v10
	v_lshlrev_b32_e64 v15, v11, 0x100000
	s_delay_alu instid0(VALU_DEP_4) | instskip(NEXT) | instid1(VALU_DEP_4)
	v_add_nc_u32_e32 v11, v11, v9
	v_and_b32_e32 v10, v12, v10
	s_delay_alu instid0(VALU_DEP_4) | instskip(NEXT) | instid1(VALU_DEP_2)
	v_bfe_u32 v14, v13, 21, 1
	v_cmp_eq_u32_e64 s13, v10, v15
	s_delay_alu instid0(VALU_DEP_2) | instskip(NEXT) | instid1(VALU_DEP_1)
	v_add_nc_u32_e32 v12, -1, v14
	v_cndmask_b32_e64 v10, 0, v12, s13
	v_lshrrev_b32_e32 v12, 23, v13
	s_mov_b32 s13, exec_lo
	s_delay_alu instid0(VALU_DEP_2) | instskip(NEXT) | instid1(VALU_DEP_2)
	v_add_nc_u32_e32 v10, v10, v13
	v_xor_b32_e32 v12, 1, v12
	s_delay_alu instid0(VALU_DEP_2) | instskip(NEXT) | instid1(VALU_DEP_1)
	v_and_b32_e32 v9, 0x1fffff, v10
	v_add_nc_u32_e32 v10, v9, v13
                                        ; implicit-def: $vgpr9
	s_delay_alu instid0(VALU_DEP_3)
	v_cmpx_ne_u32_e64 v11, v12
	s_xor_b32 s13, exec_lo, s13
; %bb.2181:                             ;   in Loop: Header=BB4_1985 Depth=4
	s_delay_alu instid0(VALU_DEP_2) | instskip(SKIP_2) | instid1(VALU_DEP_2)
	v_cmp_lt_u32_e32 vcc_lo, 0xffffff, v10
	v_sub_nc_u32_e32 v9, v11, v12
	v_cndmask_b32_e64 v11, 0, 1, vcc_lo
	v_add_co_ci_u32_e32 v9, vcc_lo, 0, v9, vcc_lo
	s_delay_alu instid0(VALU_DEP_2)
	v_lshrrev_b32_e32 v10, v11, v10
; %bb.2182:                             ;   in Loop: Header=BB4_1985 Depth=4
	s_and_not1_saveexec_b32 s13, s13
; %bb.2183:                             ;   in Loop: Header=BB4_1985 Depth=4
	s_delay_alu instid0(VALU_DEP_1)
	v_bfe_u32 v9, v10, 23, 1
; %bb.2184:                             ;   in Loop: Header=BB4_1985 Depth=4
	s_or_b32 exec_lo, exec_lo, s13
	v_lshrrev_b32_e32 v10, 21, v10
	s_delay_alu instid0(VALU_DEP_2) | instskip(SKIP_2) | instid1(VALU_DEP_2)
	v_cmp_gt_i32_e32 vcc_lo, 32, v9
	v_min_i32_e32 v11, 31, v9
	v_lshrrev_b32_e32 v8, 24, v8
	v_dual_cndmask_b32 v10, 3, v10 :: v_dual_lshlrev_b32 v11, 2, v11
	s_delay_alu instid0(VALU_DEP_2) | instskip(NEXT) | instid1(VALU_DEP_2)
	v_and_b32_e32 v8, 0x80, v8
	v_or_b32_e32 v9, v9, v10
	s_delay_alu instid0(VALU_DEP_3) | instskip(NEXT) | instid1(VALU_DEP_2)
	v_and_b32_e32 v11, 0xfc, v11
	v_cmp_ne_u32_e32 vcc_lo, 0, v9
	v_and_b32_e32 v12, 3, v10
	s_delay_alu instid0(VALU_DEP_1) | instskip(NEXT) | instid1(VALU_DEP_1)
	v_or3_b32 v8, v8, v11, v12
	v_lshlrev_b32_e32 v8, 8, v8
	s_delay_alu instid0(VALU_DEP_1)
	v_cndmask_b32_e32 v181, 0, v8, vcc_lo
.LBB4_2185:                             ;   in Loop: Header=BB4_1985 Depth=4
	s_or_b32 exec_lo, exec_lo, s36
.LBB4_2186:                             ;   in Loop: Header=BB4_1985 Depth=4
	s_delay_alu instid0(SALU_CYCLE_1)
	s_or_b32 exec_lo, exec_lo, s35
	global_load_b128 v[8:11], v[64:65], off offset:512 slc dlc
	s_mov_b32 s13, 0
	s_mov_b32 s36, exec_lo
                                        ; implicit-def: $sgpr35
	s_waitcnt vmcnt(0)
	v_and_b32_e32 v13, 0xff, v8
	s_delay_alu instid0(VALU_DEP_1)
	v_cmpx_lt_i16_e32 0x7f, v13
	s_xor_b32 s36, exec_lo, s36
	s_cbranch_execnz .LBB4_2952
; %bb.2187:                             ;   in Loop: Header=BB4_1985 Depth=4
	s_or_saveexec_b32 s36, s36
	v_mov_b32_e32 v12, s35
	s_xor_b32 exec_lo, exec_lo, s36
	s_cbranch_execnz .LBB4_2955
.LBB4_2188:                             ;   in Loop: Header=BB4_1985 Depth=4
	s_or_b32 exec_lo, exec_lo, s36
	s_and_saveexec_b32 s35, s13
	s_cbranch_execz .LBB4_2190
.LBB4_2189:                             ;   in Loop: Header=BB4_1985 Depth=4
	v_bfe_u32 v15, v8, 2, 5
	v_lshlrev_b32_e32 v134, 24, v8
	s_delay_alu instid0(VALU_DEP_2) | instskip(SKIP_1) | instid1(VALU_DEP_1)
	v_cmp_eq_u32_e32 vcc_lo, 0, v15
	v_and_b32_e32 v12, 3, v8
	v_clz_i32_u32_e32 v13, v12
	s_delay_alu instid0(VALU_DEP_1) | instskip(NEXT) | instid1(VALU_DEP_1)
	v_min_u32_e32 v13, 32, v13
	v_subrev_nc_u32_e32 v14, 29, v13
	v_sub_nc_u32_e32 v13, 30, v13
	s_delay_alu instid0(VALU_DEP_1) | instskip(NEXT) | instid1(VALU_DEP_1)
	v_dual_cndmask_b32 v13, v15, v13 :: v_dual_lshlrev_b32 v14, v14, v8
	v_and_b32_e32 v14, 3, v14
	s_delay_alu instid0(VALU_DEP_2) | instskip(NEXT) | instid1(VALU_DEP_2)
	v_lshl_add_u32 v13, v13, 23, 0x37800000
	v_cndmask_b32_e32 v12, v12, v14, vcc_lo
	v_and_b32_e32 v14, 0x80000000, v134
	s_delay_alu instid0(VALU_DEP_2) | instskip(NEXT) | instid1(VALU_DEP_1)
	v_lshlrev_b32_e32 v12, 21, v12
	v_or3_b32 v12, v14, v13, v12
.LBB4_2190:                             ;   in Loop: Header=BB4_1985 Depth=4
	s_or_b32 exec_lo, exec_lo, s35
	s_delay_alu instid0(VALU_DEP_1) | instskip(SKIP_2) | instid1(VALU_DEP_2)
	v_mul_f32_e32 v12, s34, v12
	v_mov_b32_e32 v176, 0x80
	s_mov_b32 s35, exec_lo
	v_and_b32_e32 v13, 0x7f800000, v12
	s_delay_alu instid0(VALU_DEP_1)
	v_cmpx_ne_u32_e32 0x7f800000, v13
	s_cbranch_execz .LBB4_2198
; %bb.2191:                             ;   in Loop: Header=BB4_1985 Depth=4
	v_mov_b32_e32 v176, 0
	s_mov_b32 s36, exec_lo
	v_cmpx_ne_u32_e32 0, v12
	s_cbranch_execz .LBB4_2197
; %bb.2192:                             ;   in Loop: Header=BB4_1985 Depth=4
	v_bfe_u32 v13, v12, 23, 8
	s_delay_alu instid0(VALU_DEP_1) | instskip(SKIP_1) | instid1(VALU_DEP_2)
	v_sub_nc_u32_e32 v15, 0x70, v13
	v_cmp_gt_u32_e32 vcc_lo, 0x71, v13
	v_dual_cndmask_b32 v15, 0, v15 :: v_dual_and_b32 v14, 0x7fffff, v12
	s_delay_alu instid0(VALU_DEP_1) | instskip(SKIP_2) | instid1(VALU_DEP_4)
	v_or_b32_e32 v134, 0x800000, v14
	v_cmp_eq_u32_e32 vcc_lo, 0, v13
	v_add_nc_u32_e32 v13, 0xffffff91, v13
	v_cndmask_b32_e64 v15, v15, 0x6f, vcc_lo
	s_delay_alu instid0(VALU_DEP_4) | instskip(NEXT) | instid1(VALU_DEP_3)
	v_cndmask_b32_e32 v14, v134, v14, vcc_lo
	v_cndmask_b32_e64 v13, v13, 0xffffff92, vcc_lo
	s_delay_alu instid0(VALU_DEP_3) | instskip(NEXT) | instid1(VALU_DEP_3)
	v_lshl_add_u32 v134, 0x200000, v15, -1
	v_lshrrev_b32_e32 v135, v15, v14
	v_lshlrev_b32_e64 v146, v15, 0x100000
	s_delay_alu instid0(VALU_DEP_4) | instskip(NEXT) | instid1(VALU_DEP_4)
	v_add_nc_u32_e32 v15, v15, v13
	v_and_b32_e32 v14, v134, v14
	s_delay_alu instid0(VALU_DEP_4) | instskip(NEXT) | instid1(VALU_DEP_2)
	v_bfe_u32 v144, v135, 21, 1
	v_cmp_eq_u32_e64 s13, v14, v146
	s_delay_alu instid0(VALU_DEP_2) | instskip(NEXT) | instid1(VALU_DEP_1)
	v_add_nc_u32_e32 v134, -1, v144
	v_cndmask_b32_e64 v14, 0, v134, s13
	v_lshrrev_b32_e32 v134, 23, v135
	s_mov_b32 s13, exec_lo
	s_delay_alu instid0(VALU_DEP_2) | instskip(NEXT) | instid1(VALU_DEP_2)
	v_add_nc_u32_e32 v14, v14, v135
	v_xor_b32_e32 v134, 1, v134
	s_delay_alu instid0(VALU_DEP_2) | instskip(NEXT) | instid1(VALU_DEP_1)
	v_and_b32_e32 v13, 0x1fffff, v14
	v_add_nc_u32_e32 v14, v13, v135
                                        ; implicit-def: $vgpr13
	s_delay_alu instid0(VALU_DEP_3)
	v_cmpx_ne_u32_e64 v15, v134
	s_xor_b32 s13, exec_lo, s13
; %bb.2193:                             ;   in Loop: Header=BB4_1985 Depth=4
	s_delay_alu instid0(VALU_DEP_2) | instskip(SKIP_2) | instid1(VALU_DEP_2)
	v_cmp_lt_u32_e32 vcc_lo, 0xffffff, v14
	v_sub_nc_u32_e32 v13, v15, v134
	v_cndmask_b32_e64 v15, 0, 1, vcc_lo
	v_add_co_ci_u32_e32 v13, vcc_lo, 0, v13, vcc_lo
	s_delay_alu instid0(VALU_DEP_2)
	v_lshrrev_b32_e32 v14, v15, v14
; %bb.2194:                             ;   in Loop: Header=BB4_1985 Depth=4
	s_and_not1_saveexec_b32 s13, s13
; %bb.2195:                             ;   in Loop: Header=BB4_1985 Depth=4
	s_delay_alu instid0(VALU_DEP_1)
	v_bfe_u32 v13, v14, 23, 1
; %bb.2196:                             ;   in Loop: Header=BB4_1985 Depth=4
	s_or_b32 exec_lo, exec_lo, s13
	v_lshrrev_b32_e32 v14, 21, v14
	s_delay_alu instid0(VALU_DEP_2) | instskip(SKIP_2) | instid1(VALU_DEP_4)
	v_cmp_gt_i32_e32 vcc_lo, 32, v13
	v_lshrrev_b32_e32 v12, 24, v12
	v_min_i32_e32 v15, 31, v13
	v_cndmask_b32_e32 v14, 3, v14, vcc_lo
	s_delay_alu instid0(VALU_DEP_3) | instskip(NEXT) | instid1(VALU_DEP_3)
	v_and_b32_e32 v12, 0x80, v12
	v_lshlrev_b32_e32 v15, 2, v15
	s_delay_alu instid0(VALU_DEP_3) | instskip(SKIP_1) | instid1(VALU_DEP_2)
	v_and_b32_e32 v134, 3, v14
	v_or_b32_e32 v13, v13, v14
	v_or3_b32 v12, v15, v12, v134
	s_delay_alu instid0(VALU_DEP_2) | instskip(NEXT) | instid1(VALU_DEP_2)
	v_cmp_ne_u32_e32 vcc_lo, 0, v13
	v_cndmask_b32_e32 v176, 0, v12, vcc_lo
.LBB4_2197:                             ;   in Loop: Header=BB4_1985 Depth=4
	s_or_b32 exec_lo, exec_lo, s36
.LBB4_2198:                             ;   in Loop: Header=BB4_1985 Depth=4
	s_delay_alu instid0(SALU_CYCLE_1) | instskip(SKIP_3) | instid1(VALU_DEP_1)
	s_or_b32 exec_lo, exec_lo, s35
	v_lshrrev_b16 v12, 8, v8
	s_mov_b32 s13, 0
	s_mov_b32 s36, exec_lo
                                        ; implicit-def: $sgpr35
	v_cmpx_lt_i16_e32 0x7f, v12
	s_xor_b32 s36, exec_lo, s36
	s_cbranch_execnz .LBB4_2956
; %bb.2199:                             ;   in Loop: Header=BB4_1985 Depth=4
	s_or_saveexec_b32 s36, s36
	v_mov_b32_e32 v13, s35
	s_xor_b32 exec_lo, exec_lo, s36
	s_cbranch_execnz .LBB4_2959
.LBB4_2200:                             ;   in Loop: Header=BB4_1985 Depth=4
	s_or_b32 exec_lo, exec_lo, s36
	s_and_saveexec_b32 s35, s13
	s_cbranch_execz .LBB4_2202
.LBB4_2201:                             ;   in Loop: Header=BB4_1985 Depth=4
	v_and_b32_e32 v13, 0xffff, v12
	v_lshlrev_b32_e32 v12, 24, v12
	s_delay_alu instid0(VALU_DEP_2) | instskip(NEXT) | instid1(VALU_DEP_2)
	v_and_b32_e32 v14, 3, v13
	v_and_b32_e32 v12, 0x80000000, v12
	s_delay_alu instid0(VALU_DEP_2) | instskip(NEXT) | instid1(VALU_DEP_1)
	v_clz_i32_u32_e32 v15, v14
	v_min_u32_e32 v15, 32, v15
	s_delay_alu instid0(VALU_DEP_1) | instskip(SKIP_1) | instid1(VALU_DEP_2)
	v_subrev_nc_u32_e32 v134, 29, v15
	v_sub_nc_u32_e32 v15, 30, v15
	v_lshlrev_b32_e32 v134, v134, v13
	v_bfe_u32 v13, v13, 2, 5
	s_delay_alu instid0(VALU_DEP_2) | instskip(NEXT) | instid1(VALU_DEP_2)
	v_and_b32_e32 v134, 3, v134
	v_cmp_eq_u32_e32 vcc_lo, 0, v13
	s_delay_alu instid0(VALU_DEP_2) | instskip(NEXT) | instid1(VALU_DEP_1)
	v_dual_cndmask_b32 v13, v13, v15 :: v_dual_cndmask_b32 v14, v14, v134
	v_lshl_add_u32 v13, v13, 23, 0x37800000
	s_delay_alu instid0(VALU_DEP_2) | instskip(NEXT) | instid1(VALU_DEP_1)
	v_lshlrev_b32_e32 v14, 21, v14
	v_or3_b32 v13, v12, v13, v14
.LBB4_2202:                             ;   in Loop: Header=BB4_1985 Depth=4
	s_or_b32 exec_lo, exec_lo, s35
	s_delay_alu instid0(VALU_DEP_1) | instskip(SKIP_1) | instid1(VALU_DEP_1)
	v_dual_mul_f32 v12, s34, v13 :: v_dual_mov_b32 v165, 0x80
	s_mov_b32 s35, exec_lo
	v_and_b32_e32 v13, 0x7f800000, v12
	s_delay_alu instid0(VALU_DEP_1)
	v_cmpx_ne_u32_e32 0x7f800000, v13
	s_cbranch_execz .LBB4_2210
; %bb.2203:                             ;   in Loop: Header=BB4_1985 Depth=4
	v_mov_b32_e32 v165, 0
	s_mov_b32 s36, exec_lo
	v_cmpx_ne_u32_e32 0, v12
	s_cbranch_execz .LBB4_2209
; %bb.2204:                             ;   in Loop: Header=BB4_1985 Depth=4
	v_bfe_u32 v13, v12, 23, 8
	s_delay_alu instid0(VALU_DEP_1) | instskip(SKIP_1) | instid1(VALU_DEP_2)
	v_sub_nc_u32_e32 v15, 0x70, v13
	v_cmp_gt_u32_e32 vcc_lo, 0x71, v13
	v_dual_cndmask_b32 v15, 0, v15 :: v_dual_and_b32 v14, 0x7fffff, v12
	s_delay_alu instid0(VALU_DEP_1) | instskip(SKIP_2) | instid1(VALU_DEP_4)
	v_or_b32_e32 v134, 0x800000, v14
	v_cmp_eq_u32_e32 vcc_lo, 0, v13
	v_add_nc_u32_e32 v13, 0xffffff91, v13
	v_cndmask_b32_e64 v15, v15, 0x6f, vcc_lo
	s_delay_alu instid0(VALU_DEP_4) | instskip(NEXT) | instid1(VALU_DEP_3)
	v_cndmask_b32_e32 v14, v134, v14, vcc_lo
	v_cndmask_b32_e64 v13, v13, 0xffffff92, vcc_lo
	s_delay_alu instid0(VALU_DEP_3) | instskip(NEXT) | instid1(VALU_DEP_3)
	v_lshl_add_u32 v134, 0x200000, v15, -1
	v_lshrrev_b32_e32 v135, v15, v14
	v_lshlrev_b32_e64 v146, v15, 0x100000
	s_delay_alu instid0(VALU_DEP_4) | instskip(NEXT) | instid1(VALU_DEP_4)
	v_add_nc_u32_e32 v15, v15, v13
	v_and_b32_e32 v14, v134, v14
	s_delay_alu instid0(VALU_DEP_4) | instskip(NEXT) | instid1(VALU_DEP_2)
	v_bfe_u32 v144, v135, 21, 1
	v_cmp_eq_u32_e64 s13, v14, v146
	s_delay_alu instid0(VALU_DEP_2) | instskip(NEXT) | instid1(VALU_DEP_1)
	v_add_nc_u32_e32 v134, -1, v144
	v_cndmask_b32_e64 v14, 0, v134, s13
	v_lshrrev_b32_e32 v134, 23, v135
	s_mov_b32 s13, exec_lo
	s_delay_alu instid0(VALU_DEP_2) | instskip(NEXT) | instid1(VALU_DEP_2)
	v_add_nc_u32_e32 v14, v14, v135
	v_xor_b32_e32 v134, 1, v134
	s_delay_alu instid0(VALU_DEP_2) | instskip(NEXT) | instid1(VALU_DEP_1)
	v_and_b32_e32 v13, 0x1fffff, v14
	v_add_nc_u32_e32 v14, v13, v135
                                        ; implicit-def: $vgpr13
	s_delay_alu instid0(VALU_DEP_3)
	v_cmpx_ne_u32_e64 v15, v134
	s_xor_b32 s13, exec_lo, s13
; %bb.2205:                             ;   in Loop: Header=BB4_1985 Depth=4
	s_delay_alu instid0(VALU_DEP_2) | instskip(SKIP_2) | instid1(VALU_DEP_2)
	v_cmp_lt_u32_e32 vcc_lo, 0xffffff, v14
	v_sub_nc_u32_e32 v13, v15, v134
	v_cndmask_b32_e64 v15, 0, 1, vcc_lo
	v_add_co_ci_u32_e32 v13, vcc_lo, 0, v13, vcc_lo
	s_delay_alu instid0(VALU_DEP_2)
	v_lshrrev_b32_e32 v14, v15, v14
; %bb.2206:                             ;   in Loop: Header=BB4_1985 Depth=4
	s_and_not1_saveexec_b32 s13, s13
; %bb.2207:                             ;   in Loop: Header=BB4_1985 Depth=4
	s_delay_alu instid0(VALU_DEP_1)
	v_bfe_u32 v13, v14, 23, 1
; %bb.2208:                             ;   in Loop: Header=BB4_1985 Depth=4
	s_or_b32 exec_lo, exec_lo, s13
	v_lshrrev_b32_e32 v14, 21, v14
	s_delay_alu instid0(VALU_DEP_2) | instskip(SKIP_2) | instid1(VALU_DEP_2)
	v_cmp_gt_i32_e32 vcc_lo, 32, v13
	v_min_i32_e32 v15, 31, v13
	v_lshrrev_b32_e32 v12, 24, v12
	v_dual_cndmask_b32 v14, 3, v14 :: v_dual_lshlrev_b32 v15, 2, v15
	s_delay_alu instid0(VALU_DEP_2) | instskip(NEXT) | instid1(VALU_DEP_2)
	v_and_b32_e32 v12, 0x80, v12
	v_or_b32_e32 v13, v13, v14
	s_delay_alu instid0(VALU_DEP_1) | instskip(SKIP_1) | instid1(VALU_DEP_1)
	v_cmp_ne_u32_e32 vcc_lo, 0, v13
	v_and_b32_e32 v134, 3, v14
	v_or3_b32 v12, v15, v12, v134
	s_delay_alu instid0(VALU_DEP_1)
	v_cndmask_b32_e32 v165, 0, v12, vcc_lo
.LBB4_2209:                             ;   in Loop: Header=BB4_1985 Depth=4
	s_or_b32 exec_lo, exec_lo, s36
.LBB4_2210:                             ;   in Loop: Header=BB4_1985 Depth=4
	s_delay_alu instid0(SALU_CYCLE_1) | instskip(SKIP_3) | instid1(VALU_DEP_1)
	s_or_b32 exec_lo, exec_lo, s35
	v_lshrrev_b32_e32 v12, 16, v8
	s_mov_b32 s13, 0
	s_mov_b32 s36, exec_lo
                                        ; implicit-def: $sgpr35
	v_and_b32_e32 v14, 0xff, v12
	s_delay_alu instid0(VALU_DEP_1)
	v_cmpx_lt_i16_e32 0x7f, v14
	s_xor_b32 s36, exec_lo, s36
	s_cbranch_execnz .LBB4_2960
; %bb.2211:                             ;   in Loop: Header=BB4_1985 Depth=4
	s_or_saveexec_b32 s36, s36
	v_mov_b32_e32 v13, s35
	s_xor_b32 exec_lo, exec_lo, s36
	s_cbranch_execnz .LBB4_2963
.LBB4_2212:                             ;   in Loop: Header=BB4_1985 Depth=4
	s_or_b32 exec_lo, exec_lo, s36
	s_and_saveexec_b32 s35, s13
	s_cbranch_execz .LBB4_2214
.LBB4_2213:                             ;   in Loop: Header=BB4_1985 Depth=4
	v_bfe_u32 v13, v8, 16, 2
	v_lshlrev_b32_e32 v134, 8, v8
	s_delay_alu instid0(VALU_DEP_2) | instskip(NEXT) | instid1(VALU_DEP_1)
	v_clz_i32_u32_e32 v14, v13
	v_min_u32_e32 v14, 32, v14
	s_delay_alu instid0(VALU_DEP_1) | instskip(SKIP_1) | instid1(VALU_DEP_2)
	v_subrev_nc_u32_e32 v15, 29, v14
	v_sub_nc_u32_e32 v14, 30, v14
	v_lshlrev_b32_e32 v12, v15, v12
	v_bfe_u32 v15, v8, 18, 5
	s_delay_alu instid0(VALU_DEP_2) | instskip(NEXT) | instid1(VALU_DEP_2)
	v_and_b32_e32 v12, 3, v12
	v_cmp_eq_u32_e32 vcc_lo, 0, v15
	v_cndmask_b32_e32 v14, v15, v14, vcc_lo
	s_delay_alu instid0(VALU_DEP_3) | instskip(NEXT) | instid1(VALU_DEP_2)
	v_dual_cndmask_b32 v12, v13, v12 :: v_dual_and_b32 v13, 0x80000000, v134
	v_lshl_add_u32 v14, v14, 23, 0x37800000
	s_delay_alu instid0(VALU_DEP_2) | instskip(NEXT) | instid1(VALU_DEP_1)
	v_lshlrev_b32_e32 v12, 21, v12
	v_or3_b32 v13, v13, v14, v12
.LBB4_2214:                             ;   in Loop: Header=BB4_1985 Depth=4
	s_or_b32 exec_lo, exec_lo, s35
	s_delay_alu instid0(VALU_DEP_1) | instskip(SKIP_2) | instid1(VALU_DEP_2)
	v_mul_f32_e32 v12, s34, v13
	v_mov_b32_e32 v164, 0x80
	s_mov_b32 s35, exec_lo
	v_and_b32_e32 v13, 0x7f800000, v12
	s_delay_alu instid0(VALU_DEP_1)
	v_cmpx_ne_u32_e32 0x7f800000, v13
	s_cbranch_execz .LBB4_2222
; %bb.2215:                             ;   in Loop: Header=BB4_1985 Depth=4
	v_mov_b32_e32 v164, 0
	s_mov_b32 s36, exec_lo
	v_cmpx_ne_u32_e32 0, v12
	s_cbranch_execz .LBB4_2221
; %bb.2216:                             ;   in Loop: Header=BB4_1985 Depth=4
	v_bfe_u32 v13, v12, 23, 8
	s_delay_alu instid0(VALU_DEP_1) | instskip(SKIP_1) | instid1(VALU_DEP_2)
	v_sub_nc_u32_e32 v15, 0x70, v13
	v_cmp_gt_u32_e32 vcc_lo, 0x71, v13
	v_dual_cndmask_b32 v15, 0, v15 :: v_dual_and_b32 v14, 0x7fffff, v12
	s_delay_alu instid0(VALU_DEP_1) | instskip(SKIP_2) | instid1(VALU_DEP_4)
	v_or_b32_e32 v134, 0x800000, v14
	v_cmp_eq_u32_e32 vcc_lo, 0, v13
	v_add_nc_u32_e32 v13, 0xffffff91, v13
	v_cndmask_b32_e64 v15, v15, 0x6f, vcc_lo
	s_delay_alu instid0(VALU_DEP_4) | instskip(NEXT) | instid1(VALU_DEP_3)
	v_cndmask_b32_e32 v14, v134, v14, vcc_lo
	v_cndmask_b32_e64 v13, v13, 0xffffff92, vcc_lo
	s_delay_alu instid0(VALU_DEP_3) | instskip(NEXT) | instid1(VALU_DEP_3)
	v_lshl_add_u32 v134, 0x200000, v15, -1
	v_lshrrev_b32_e32 v135, v15, v14
	v_lshlrev_b32_e64 v146, v15, 0x100000
	s_delay_alu instid0(VALU_DEP_4) | instskip(NEXT) | instid1(VALU_DEP_4)
	v_add_nc_u32_e32 v15, v15, v13
	v_and_b32_e32 v14, v134, v14
	s_delay_alu instid0(VALU_DEP_4) | instskip(NEXT) | instid1(VALU_DEP_2)
	v_bfe_u32 v144, v135, 21, 1
	v_cmp_eq_u32_e64 s13, v14, v146
	s_delay_alu instid0(VALU_DEP_2) | instskip(NEXT) | instid1(VALU_DEP_1)
	v_add_nc_u32_e32 v134, -1, v144
	v_cndmask_b32_e64 v14, 0, v134, s13
	v_lshrrev_b32_e32 v134, 23, v135
	s_mov_b32 s13, exec_lo
	s_delay_alu instid0(VALU_DEP_2) | instskip(NEXT) | instid1(VALU_DEP_2)
	v_add_nc_u32_e32 v14, v14, v135
	v_xor_b32_e32 v134, 1, v134
	s_delay_alu instid0(VALU_DEP_2) | instskip(NEXT) | instid1(VALU_DEP_1)
	v_and_b32_e32 v13, 0x1fffff, v14
	v_add_nc_u32_e32 v14, v13, v135
                                        ; implicit-def: $vgpr13
	s_delay_alu instid0(VALU_DEP_3)
	v_cmpx_ne_u32_e64 v15, v134
	s_xor_b32 s13, exec_lo, s13
; %bb.2217:                             ;   in Loop: Header=BB4_1985 Depth=4
	s_delay_alu instid0(VALU_DEP_2) | instskip(SKIP_2) | instid1(VALU_DEP_2)
	v_cmp_lt_u32_e32 vcc_lo, 0xffffff, v14
	v_sub_nc_u32_e32 v13, v15, v134
	v_cndmask_b32_e64 v15, 0, 1, vcc_lo
	v_add_co_ci_u32_e32 v13, vcc_lo, 0, v13, vcc_lo
	s_delay_alu instid0(VALU_DEP_2)
	v_lshrrev_b32_e32 v14, v15, v14
; %bb.2218:                             ;   in Loop: Header=BB4_1985 Depth=4
	s_and_not1_saveexec_b32 s13, s13
; %bb.2219:                             ;   in Loop: Header=BB4_1985 Depth=4
	s_delay_alu instid0(VALU_DEP_1)
	v_bfe_u32 v13, v14, 23, 1
; %bb.2220:                             ;   in Loop: Header=BB4_1985 Depth=4
	s_or_b32 exec_lo, exec_lo, s13
	v_lshrrev_b32_e32 v14, 21, v14
	s_delay_alu instid0(VALU_DEP_2) | instskip(SKIP_2) | instid1(VALU_DEP_4)
	v_cmp_gt_i32_e32 vcc_lo, 32, v13
	v_lshrrev_b32_e32 v12, 24, v12
	v_min_i32_e32 v15, 31, v13
	v_cndmask_b32_e32 v14, 3, v14, vcc_lo
	s_delay_alu instid0(VALU_DEP_3) | instskip(NEXT) | instid1(VALU_DEP_3)
	v_and_b32_e32 v12, 0x80, v12
	v_lshlrev_b32_e32 v15, 2, v15
	s_delay_alu instid0(VALU_DEP_3) | instskip(SKIP_1) | instid1(VALU_DEP_2)
	v_and_b32_e32 v134, 3, v14
	v_or_b32_e32 v13, v13, v14
	v_or3_b32 v12, v15, v12, v134
	s_delay_alu instid0(VALU_DEP_2) | instskip(NEXT) | instid1(VALU_DEP_2)
	v_cmp_ne_u32_e32 vcc_lo, 0, v13
	v_cndmask_b32_e32 v164, 0, v12, vcc_lo
.LBB4_2221:                             ;   in Loop: Header=BB4_1985 Depth=4
	s_or_b32 exec_lo, exec_lo, s36
.LBB4_2222:                             ;   in Loop: Header=BB4_1985 Depth=4
	s_delay_alu instid0(SALU_CYCLE_1) | instskip(SKIP_3) | instid1(VALU_DEP_1)
	s_or_b32 exec_lo, exec_lo, s35
	v_lshrrev_b32_e32 v12, 24, v8
	s_mov_b32 s13, 0
	s_mov_b32 s36, exec_lo
                                        ; implicit-def: $sgpr35
	v_cmpx_lt_i16_e32 0x7f, v12
	s_xor_b32 s36, exec_lo, s36
	s_cbranch_execnz .LBB4_2964
; %bb.2223:                             ;   in Loop: Header=BB4_1985 Depth=4
	s_or_saveexec_b32 s36, s36
	v_mov_b32_e32 v13, s35
	s_xor_b32 exec_lo, exec_lo, s36
	s_cbranch_execnz .LBB4_2967
.LBB4_2224:                             ;   in Loop: Header=BB4_1985 Depth=4
	s_or_b32 exec_lo, exec_lo, s36
	s_and_saveexec_b32 s35, s13
	s_cbranch_execz .LBB4_2226
.LBB4_2225:                             ;   in Loop: Header=BB4_1985 Depth=4
	v_bfe_u32 v13, v8, 24, 2
	s_delay_alu instid0(VALU_DEP_1) | instskip(NEXT) | instid1(VALU_DEP_1)
	v_clz_i32_u32_e32 v14, v13
	v_min_u32_e32 v14, 32, v14
	s_delay_alu instid0(VALU_DEP_1) | instskip(SKIP_1) | instid1(VALU_DEP_2)
	v_subrev_nc_u32_e32 v15, 29, v14
	v_sub_nc_u32_e32 v14, 30, v14
	v_lshlrev_b32_e32 v12, v15, v12
	v_bfe_u32 v15, v8, 26, 5
	v_and_b32_e32 v8, 0x80000000, v8
	s_delay_alu instid0(VALU_DEP_3) | instskip(NEXT) | instid1(VALU_DEP_3)
	v_and_b32_e32 v12, 3, v12
	v_cmp_eq_u32_e32 vcc_lo, 0, v15
	v_cndmask_b32_e32 v14, v15, v14, vcc_lo
	s_delay_alu instid0(VALU_DEP_3) | instskip(NEXT) | instid1(VALU_DEP_2)
	v_cndmask_b32_e32 v12, v13, v12, vcc_lo
	v_lshl_add_u32 v13, v14, 23, 0x37800000
	s_delay_alu instid0(VALU_DEP_2) | instskip(NEXT) | instid1(VALU_DEP_1)
	v_lshlrev_b32_e32 v12, 21, v12
	v_or3_b32 v13, v8, v13, v12
.LBB4_2226:                             ;   in Loop: Header=BB4_1985 Depth=4
	s_or_b32 exec_lo, exec_lo, s35
	s_delay_alu instid0(VALU_DEP_1) | instskip(SKIP_2) | instid1(VALU_DEP_2)
	v_mul_f32_e32 v8, s34, v13
	v_mov_b32_e32 v162, 0x80
	s_mov_b32 s35, exec_lo
	v_and_b32_e32 v12, 0x7f800000, v8
	s_delay_alu instid0(VALU_DEP_1)
	v_cmpx_ne_u32_e32 0x7f800000, v12
	s_cbranch_execz .LBB4_2234
; %bb.2227:                             ;   in Loop: Header=BB4_1985 Depth=4
	v_mov_b32_e32 v162, 0
	s_mov_b32 s36, exec_lo
	v_cmpx_ne_u32_e32 0, v8
	s_cbranch_execz .LBB4_2233
; %bb.2228:                             ;   in Loop: Header=BB4_1985 Depth=4
	v_bfe_u32 v12, v8, 23, 8
	s_delay_alu instid0(VALU_DEP_1) | instskip(SKIP_1) | instid1(VALU_DEP_2)
	v_sub_nc_u32_e32 v14, 0x70, v12
	v_cmp_gt_u32_e32 vcc_lo, 0x71, v12
	v_dual_cndmask_b32 v14, 0, v14 :: v_dual_and_b32 v13, 0x7fffff, v8
	s_delay_alu instid0(VALU_DEP_1) | instskip(SKIP_2) | instid1(VALU_DEP_4)
	v_or_b32_e32 v15, 0x800000, v13
	v_cmp_eq_u32_e32 vcc_lo, 0, v12
	v_add_nc_u32_e32 v12, 0xffffff91, v12
	v_cndmask_b32_e64 v14, v14, 0x6f, vcc_lo
	s_delay_alu instid0(VALU_DEP_4) | instskip(NEXT) | instid1(VALU_DEP_3)
	v_cndmask_b32_e32 v13, v15, v13, vcc_lo
	v_cndmask_b32_e64 v12, v12, 0xffffff92, vcc_lo
	s_delay_alu instid0(VALU_DEP_3) | instskip(NEXT) | instid1(VALU_DEP_3)
	v_lshl_add_u32 v15, 0x200000, v14, -1
	v_lshrrev_b32_e32 v134, v14, v13
	v_lshlrev_b32_e64 v144, v14, 0x100000
	s_delay_alu instid0(VALU_DEP_4) | instskip(NEXT) | instid1(VALU_DEP_4)
	v_add_nc_u32_e32 v14, v14, v12
	v_and_b32_e32 v13, v15, v13
	s_delay_alu instid0(VALU_DEP_4) | instskip(NEXT) | instid1(VALU_DEP_2)
	v_bfe_u32 v135, v134, 21, 1
	v_cmp_eq_u32_e64 s13, v13, v144
	s_delay_alu instid0(VALU_DEP_2) | instskip(NEXT) | instid1(VALU_DEP_1)
	v_add_nc_u32_e32 v15, -1, v135
	v_cndmask_b32_e64 v13, 0, v15, s13
	v_lshrrev_b32_e32 v15, 23, v134
	s_mov_b32 s13, exec_lo
	s_delay_alu instid0(VALU_DEP_2) | instskip(NEXT) | instid1(VALU_DEP_2)
	v_add_nc_u32_e32 v13, v13, v134
	v_xor_b32_e32 v15, 1, v15
	s_delay_alu instid0(VALU_DEP_2) | instskip(NEXT) | instid1(VALU_DEP_1)
	v_and_b32_e32 v12, 0x1fffff, v13
	v_add_nc_u32_e32 v13, v12, v134
                                        ; implicit-def: $vgpr12
	s_delay_alu instid0(VALU_DEP_3)
	v_cmpx_ne_u32_e64 v14, v15
	s_xor_b32 s13, exec_lo, s13
; %bb.2229:                             ;   in Loop: Header=BB4_1985 Depth=4
	s_delay_alu instid0(VALU_DEP_2) | instskip(SKIP_2) | instid1(VALU_DEP_2)
	v_cmp_lt_u32_e32 vcc_lo, 0xffffff, v13
	v_sub_nc_u32_e32 v12, v14, v15
	v_cndmask_b32_e64 v14, 0, 1, vcc_lo
	v_add_co_ci_u32_e32 v12, vcc_lo, 0, v12, vcc_lo
	s_delay_alu instid0(VALU_DEP_2)
	v_lshrrev_b32_e32 v13, v14, v13
; %bb.2230:                             ;   in Loop: Header=BB4_1985 Depth=4
	s_and_not1_saveexec_b32 s13, s13
; %bb.2231:                             ;   in Loop: Header=BB4_1985 Depth=4
	s_delay_alu instid0(VALU_DEP_1)
	v_bfe_u32 v12, v13, 23, 1
; %bb.2232:                             ;   in Loop: Header=BB4_1985 Depth=4
	s_or_b32 exec_lo, exec_lo, s13
	v_lshrrev_b32_e32 v13, 21, v13
	s_delay_alu instid0(VALU_DEP_2) | instskip(SKIP_2) | instid1(VALU_DEP_2)
	v_cmp_gt_i32_e32 vcc_lo, 32, v12
	v_lshrrev_b32_e32 v8, 24, v8
	v_min_i32_e32 v14, 31, v12
	v_dual_cndmask_b32 v13, 3, v13 :: v_dual_and_b32 v8, 0x80, v8
	s_delay_alu instid0(VALU_DEP_2) | instskip(NEXT) | instid1(VALU_DEP_2)
	v_lshlrev_b32_e32 v14, 2, v14
	v_or_b32_e32 v12, v12, v13
	s_delay_alu instid0(VALU_DEP_1) | instskip(SKIP_1) | instid1(VALU_DEP_1)
	v_cmp_ne_u32_e32 vcc_lo, 0, v12
	v_and_b32_e32 v15, 3, v13
	v_or3_b32 v8, v14, v8, v15
	s_delay_alu instid0(VALU_DEP_1)
	v_cndmask_b32_e32 v162, 0, v8, vcc_lo
.LBB4_2233:                             ;   in Loop: Header=BB4_1985 Depth=4
	s_or_b32 exec_lo, exec_lo, s36
.LBB4_2234:                             ;   in Loop: Header=BB4_1985 Depth=4
	s_delay_alu instid0(SALU_CYCLE_1) | instskip(SKIP_3) | instid1(VALU_DEP_1)
	s_or_b32 exec_lo, exec_lo, s35
	v_and_b32_e32 v12, 0xff, v9
	s_mov_b32 s13, 0
	s_mov_b32 s36, exec_lo
                                        ; implicit-def: $sgpr35
	v_cmpx_lt_i16_e32 0x7f, v12
	s_xor_b32 s36, exec_lo, s36
	s_cbranch_execnz .LBB4_2968
; %bb.2235:                             ;   in Loop: Header=BB4_1985 Depth=4
	s_or_saveexec_b32 s36, s36
	v_mov_b32_e32 v8, s35
	s_xor_b32 exec_lo, exec_lo, s36
	s_cbranch_execnz .LBB4_2971
.LBB4_2236:                             ;   in Loop: Header=BB4_1985 Depth=4
	s_or_b32 exec_lo, exec_lo, s36
	s_and_saveexec_b32 s35, s13
	s_cbranch_execz .LBB4_2238
.LBB4_2237:                             ;   in Loop: Header=BB4_1985 Depth=4
	v_and_b32_e32 v8, 3, v9
	v_bfe_u32 v14, v9, 2, 5
	v_lshlrev_b32_e32 v15, 24, v9
	s_delay_alu instid0(VALU_DEP_3) | instskip(NEXT) | instid1(VALU_DEP_3)
	v_clz_i32_u32_e32 v12, v8
	v_cmp_eq_u32_e32 vcc_lo, 0, v14
	s_delay_alu instid0(VALU_DEP_2) | instskip(NEXT) | instid1(VALU_DEP_1)
	v_min_u32_e32 v12, 32, v12
	v_subrev_nc_u32_e32 v13, 29, v12
	v_sub_nc_u32_e32 v12, 30, v12
	s_delay_alu instid0(VALU_DEP_1) | instskip(NEXT) | instid1(VALU_DEP_1)
	v_dual_cndmask_b32 v12, v14, v12 :: v_dual_lshlrev_b32 v13, v13, v9
	v_and_b32_e32 v13, 3, v13
	s_delay_alu instid0(VALU_DEP_2) | instskip(NEXT) | instid1(VALU_DEP_2)
	v_lshl_add_u32 v12, v12, 23, 0x37800000
	v_dual_cndmask_b32 v8, v8, v13 :: v_dual_and_b32 v13, 0x80000000, v15
	s_delay_alu instid0(VALU_DEP_1) | instskip(NEXT) | instid1(VALU_DEP_1)
	v_lshlrev_b32_e32 v8, 21, v8
	v_or3_b32 v8, v13, v12, v8
.LBB4_2238:                             ;   in Loop: Header=BB4_1985 Depth=4
	s_or_b32 exec_lo, exec_lo, s35
	s_delay_alu instid0(VALU_DEP_1) | instskip(SKIP_1) | instid1(VALU_DEP_1)
	v_dual_mul_f32 v8, s34, v8 :: v_dual_mov_b32 v161, 0x80
	s_mov_b32 s35, exec_lo
	v_and_b32_e32 v12, 0x7f800000, v8
	s_delay_alu instid0(VALU_DEP_1)
	v_cmpx_ne_u32_e32 0x7f800000, v12
	s_cbranch_execz .LBB4_2246
; %bb.2239:                             ;   in Loop: Header=BB4_1985 Depth=4
	v_mov_b32_e32 v161, 0
	s_mov_b32 s36, exec_lo
	v_cmpx_ne_u32_e32 0, v8
	s_cbranch_execz .LBB4_2245
; %bb.2240:                             ;   in Loop: Header=BB4_1985 Depth=4
	v_bfe_u32 v12, v8, 23, 8
	s_delay_alu instid0(VALU_DEP_1) | instskip(SKIP_1) | instid1(VALU_DEP_2)
	v_sub_nc_u32_e32 v14, 0x70, v12
	v_cmp_gt_u32_e32 vcc_lo, 0x71, v12
	v_dual_cndmask_b32 v14, 0, v14 :: v_dual_and_b32 v13, 0x7fffff, v8
	s_delay_alu instid0(VALU_DEP_1) | instskip(SKIP_2) | instid1(VALU_DEP_4)
	v_or_b32_e32 v15, 0x800000, v13
	v_cmp_eq_u32_e32 vcc_lo, 0, v12
	v_add_nc_u32_e32 v12, 0xffffff91, v12
	v_cndmask_b32_e64 v14, v14, 0x6f, vcc_lo
	s_delay_alu instid0(VALU_DEP_4) | instskip(NEXT) | instid1(VALU_DEP_3)
	v_cndmask_b32_e32 v13, v15, v13, vcc_lo
	v_cndmask_b32_e64 v12, v12, 0xffffff92, vcc_lo
	s_delay_alu instid0(VALU_DEP_3) | instskip(NEXT) | instid1(VALU_DEP_3)
	v_lshl_add_u32 v15, 0x200000, v14, -1
	v_lshrrev_b32_e32 v134, v14, v13
	v_lshlrev_b32_e64 v144, v14, 0x100000
	s_delay_alu instid0(VALU_DEP_4) | instskip(NEXT) | instid1(VALU_DEP_4)
	v_add_nc_u32_e32 v14, v14, v12
	v_and_b32_e32 v13, v15, v13
	s_delay_alu instid0(VALU_DEP_4) | instskip(NEXT) | instid1(VALU_DEP_2)
	v_bfe_u32 v135, v134, 21, 1
	v_cmp_eq_u32_e64 s13, v13, v144
	s_delay_alu instid0(VALU_DEP_2) | instskip(NEXT) | instid1(VALU_DEP_1)
	v_add_nc_u32_e32 v15, -1, v135
	v_cndmask_b32_e64 v13, 0, v15, s13
	v_lshrrev_b32_e32 v15, 23, v134
	s_mov_b32 s13, exec_lo
	s_delay_alu instid0(VALU_DEP_2) | instskip(NEXT) | instid1(VALU_DEP_2)
	v_add_nc_u32_e32 v13, v13, v134
	v_xor_b32_e32 v15, 1, v15
	s_delay_alu instid0(VALU_DEP_2) | instskip(NEXT) | instid1(VALU_DEP_1)
	v_and_b32_e32 v12, 0x1fffff, v13
	v_add_nc_u32_e32 v13, v12, v134
                                        ; implicit-def: $vgpr12
	s_delay_alu instid0(VALU_DEP_3)
	v_cmpx_ne_u32_e64 v14, v15
	s_xor_b32 s13, exec_lo, s13
; %bb.2241:                             ;   in Loop: Header=BB4_1985 Depth=4
	s_delay_alu instid0(VALU_DEP_2) | instskip(SKIP_2) | instid1(VALU_DEP_2)
	v_cmp_lt_u32_e32 vcc_lo, 0xffffff, v13
	v_sub_nc_u32_e32 v12, v14, v15
	v_cndmask_b32_e64 v14, 0, 1, vcc_lo
	v_add_co_ci_u32_e32 v12, vcc_lo, 0, v12, vcc_lo
	s_delay_alu instid0(VALU_DEP_2)
	v_lshrrev_b32_e32 v13, v14, v13
; %bb.2242:                             ;   in Loop: Header=BB4_1985 Depth=4
	s_and_not1_saveexec_b32 s13, s13
; %bb.2243:                             ;   in Loop: Header=BB4_1985 Depth=4
	s_delay_alu instid0(VALU_DEP_1)
	v_bfe_u32 v12, v13, 23, 1
; %bb.2244:                             ;   in Loop: Header=BB4_1985 Depth=4
	s_or_b32 exec_lo, exec_lo, s13
	v_lshrrev_b32_e32 v13, 21, v13
	s_delay_alu instid0(VALU_DEP_2) | instskip(SKIP_2) | instid1(VALU_DEP_2)
	v_cmp_gt_i32_e32 vcc_lo, 32, v12
	v_min_i32_e32 v14, 31, v12
	v_lshrrev_b32_e32 v8, 24, v8
	v_dual_cndmask_b32 v13, 3, v13 :: v_dual_lshlrev_b32 v14, 2, v14
	s_delay_alu instid0(VALU_DEP_2) | instskip(NEXT) | instid1(VALU_DEP_2)
	v_and_b32_e32 v8, 0x80, v8
	v_or_b32_e32 v12, v12, v13
	v_and_b32_e32 v15, 3, v13
	s_delay_alu instid0(VALU_DEP_2) | instskip(SKIP_1) | instid1(VALU_DEP_1)
	v_cmp_ne_u32_e32 vcc_lo, 0, v12
	v_and_b32_e32 v14, 0xfc, v14
	v_or3_b32 v8, v14, v8, v15
	s_delay_alu instid0(VALU_DEP_1)
	v_cndmask_b32_e32 v161, 0, v8, vcc_lo
.LBB4_2245:                             ;   in Loop: Header=BB4_1985 Depth=4
	s_or_b32 exec_lo, exec_lo, s36
.LBB4_2246:                             ;   in Loop: Header=BB4_1985 Depth=4
	s_delay_alu instid0(SALU_CYCLE_1) | instskip(SKIP_3) | instid1(VALU_DEP_1)
	s_or_b32 exec_lo, exec_lo, s35
	v_lshrrev_b16 v8, 8, v9
	s_mov_b32 s13, 0
	s_mov_b32 s36, exec_lo
                                        ; implicit-def: $sgpr35
	v_cmpx_lt_i16_e32 0x7f, v8
	s_xor_b32 s36, exec_lo, s36
	s_cbranch_execnz .LBB4_2972
; %bb.2247:                             ;   in Loop: Header=BB4_1985 Depth=4
	s_or_saveexec_b32 s36, s36
	v_mov_b32_e32 v12, s35
	s_xor_b32 exec_lo, exec_lo, s36
	s_cbranch_execnz .LBB4_2975
.LBB4_2248:                             ;   in Loop: Header=BB4_1985 Depth=4
	s_or_b32 exec_lo, exec_lo, s36
	s_and_saveexec_b32 s35, s13
	s_cbranch_execz .LBB4_2250
.LBB4_2249:                             ;   in Loop: Header=BB4_1985 Depth=4
	v_and_b32_e32 v12, 0xffff, v8
	v_lshlrev_b32_e32 v8, 24, v8
	s_delay_alu instid0(VALU_DEP_2) | instskip(NEXT) | instid1(VALU_DEP_2)
	v_and_b32_e32 v13, 3, v12
	v_and_b32_e32 v8, 0x80000000, v8
	s_delay_alu instid0(VALU_DEP_2) | instskip(NEXT) | instid1(VALU_DEP_1)
	v_clz_i32_u32_e32 v14, v13
	v_min_u32_e32 v14, 32, v14
	s_delay_alu instid0(VALU_DEP_1) | instskip(SKIP_1) | instid1(VALU_DEP_2)
	v_subrev_nc_u32_e32 v15, 29, v14
	v_sub_nc_u32_e32 v14, 30, v14
	v_lshlrev_b32_e32 v15, v15, v12
	v_bfe_u32 v12, v12, 2, 5
	s_delay_alu instid0(VALU_DEP_2) | instskip(NEXT) | instid1(VALU_DEP_2)
	v_and_b32_e32 v15, 3, v15
	v_cmp_eq_u32_e32 vcc_lo, 0, v12
	s_delay_alu instid0(VALU_DEP_2) | instskip(NEXT) | instid1(VALU_DEP_1)
	v_dual_cndmask_b32 v12, v12, v14 :: v_dual_cndmask_b32 v13, v13, v15
	v_lshl_add_u32 v12, v12, 23, 0x37800000
	s_delay_alu instid0(VALU_DEP_2) | instskip(NEXT) | instid1(VALU_DEP_1)
	v_lshlrev_b32_e32 v13, 21, v13
	v_or3_b32 v12, v8, v12, v13
.LBB4_2250:                             ;   in Loop: Header=BB4_1985 Depth=4
	s_or_b32 exec_lo, exec_lo, s35
	s_delay_alu instid0(VALU_DEP_1) | instskip(SKIP_1) | instid1(VALU_DEP_1)
	v_dual_mul_f32 v8, s34, v12 :: v_dual_mov_b32 v167, 0x8000
	s_mov_b32 s35, exec_lo
	v_and_b32_e32 v12, 0x7f800000, v8
	s_delay_alu instid0(VALU_DEP_1)
	v_cmpx_ne_u32_e32 0x7f800000, v12
	s_cbranch_execz .LBB4_2258
; %bb.2251:                             ;   in Loop: Header=BB4_1985 Depth=4
	v_mov_b32_e32 v167, 0
	s_mov_b32 s36, exec_lo
	v_cmpx_ne_u32_e32 0, v8
	s_cbranch_execz .LBB4_2257
; %bb.2252:                             ;   in Loop: Header=BB4_1985 Depth=4
	v_bfe_u32 v12, v8, 23, 8
	s_delay_alu instid0(VALU_DEP_1) | instskip(SKIP_1) | instid1(VALU_DEP_2)
	v_sub_nc_u32_e32 v14, 0x70, v12
	v_cmp_gt_u32_e32 vcc_lo, 0x71, v12
	v_dual_cndmask_b32 v14, 0, v14 :: v_dual_and_b32 v13, 0x7fffff, v8
	s_delay_alu instid0(VALU_DEP_1) | instskip(SKIP_2) | instid1(VALU_DEP_4)
	v_or_b32_e32 v15, 0x800000, v13
	v_cmp_eq_u32_e32 vcc_lo, 0, v12
	v_add_nc_u32_e32 v12, 0xffffff91, v12
	v_cndmask_b32_e64 v14, v14, 0x6f, vcc_lo
	s_delay_alu instid0(VALU_DEP_4) | instskip(NEXT) | instid1(VALU_DEP_3)
	v_cndmask_b32_e32 v13, v15, v13, vcc_lo
	v_cndmask_b32_e64 v12, v12, 0xffffff92, vcc_lo
	s_delay_alu instid0(VALU_DEP_3) | instskip(NEXT) | instid1(VALU_DEP_3)
	v_lshl_add_u32 v15, 0x200000, v14, -1
	v_lshrrev_b32_e32 v134, v14, v13
	v_lshlrev_b32_e64 v144, v14, 0x100000
	s_delay_alu instid0(VALU_DEP_4) | instskip(NEXT) | instid1(VALU_DEP_4)
	v_add_nc_u32_e32 v14, v14, v12
	v_and_b32_e32 v13, v15, v13
	s_delay_alu instid0(VALU_DEP_4) | instskip(NEXT) | instid1(VALU_DEP_2)
	v_bfe_u32 v135, v134, 21, 1
	v_cmp_eq_u32_e64 s13, v13, v144
	s_delay_alu instid0(VALU_DEP_2) | instskip(NEXT) | instid1(VALU_DEP_1)
	v_add_nc_u32_e32 v15, -1, v135
	v_cndmask_b32_e64 v13, 0, v15, s13
	v_lshrrev_b32_e32 v15, 23, v134
	s_mov_b32 s13, exec_lo
	s_delay_alu instid0(VALU_DEP_2) | instskip(NEXT) | instid1(VALU_DEP_2)
	v_add_nc_u32_e32 v13, v13, v134
	v_xor_b32_e32 v15, 1, v15
	s_delay_alu instid0(VALU_DEP_2) | instskip(NEXT) | instid1(VALU_DEP_1)
	v_and_b32_e32 v12, 0x1fffff, v13
	v_add_nc_u32_e32 v13, v12, v134
                                        ; implicit-def: $vgpr12
	s_delay_alu instid0(VALU_DEP_3)
	v_cmpx_ne_u32_e64 v14, v15
	s_xor_b32 s13, exec_lo, s13
; %bb.2253:                             ;   in Loop: Header=BB4_1985 Depth=4
	s_delay_alu instid0(VALU_DEP_2) | instskip(SKIP_2) | instid1(VALU_DEP_2)
	v_cmp_lt_u32_e32 vcc_lo, 0xffffff, v13
	v_sub_nc_u32_e32 v12, v14, v15
	v_cndmask_b32_e64 v14, 0, 1, vcc_lo
	v_add_co_ci_u32_e32 v12, vcc_lo, 0, v12, vcc_lo
	s_delay_alu instid0(VALU_DEP_2)
	v_lshrrev_b32_e32 v13, v14, v13
; %bb.2254:                             ;   in Loop: Header=BB4_1985 Depth=4
	s_and_not1_saveexec_b32 s13, s13
; %bb.2255:                             ;   in Loop: Header=BB4_1985 Depth=4
	s_delay_alu instid0(VALU_DEP_1)
	v_bfe_u32 v12, v13, 23, 1
; %bb.2256:                             ;   in Loop: Header=BB4_1985 Depth=4
	s_or_b32 exec_lo, exec_lo, s13
	v_lshrrev_b32_e32 v13, 21, v13
	s_delay_alu instid0(VALU_DEP_2) | instskip(SKIP_2) | instid1(VALU_DEP_2)
	v_cmp_gt_i32_e32 vcc_lo, 32, v12
	v_min_i32_e32 v14, 31, v12
	v_lshrrev_b32_e32 v8, 24, v8
	v_dual_cndmask_b32 v13, 3, v13 :: v_dual_lshlrev_b32 v14, 2, v14
	s_delay_alu instid0(VALU_DEP_2) | instskip(NEXT) | instid1(VALU_DEP_2)
	v_and_b32_e32 v8, 0x80, v8
	v_or_b32_e32 v12, v12, v13
	v_and_b32_e32 v15, 3, v13
	s_delay_alu instid0(VALU_DEP_2) | instskip(SKIP_1) | instid1(VALU_DEP_1)
	v_cmp_ne_u32_e32 vcc_lo, 0, v12
	v_and_b32_e32 v14, 0xfc, v14
	v_or3_b32 v8, v8, v14, v15
	s_delay_alu instid0(VALU_DEP_1) | instskip(NEXT) | instid1(VALU_DEP_1)
	v_lshlrev_b32_e32 v8, 8, v8
	v_cndmask_b32_e32 v167, 0, v8, vcc_lo
.LBB4_2257:                             ;   in Loop: Header=BB4_1985 Depth=4
	s_or_b32 exec_lo, exec_lo, s36
.LBB4_2258:                             ;   in Loop: Header=BB4_1985 Depth=4
	s_delay_alu instid0(SALU_CYCLE_1) | instskip(SKIP_3) | instid1(VALU_DEP_1)
	s_or_b32 exec_lo, exec_lo, s35
	v_lshrrev_b32_e32 v8, 16, v9
	s_mov_b32 s13, 0
	s_mov_b32 s36, exec_lo
                                        ; implicit-def: $sgpr35
	v_and_b32_e32 v13, 0xff, v8
	s_delay_alu instid0(VALU_DEP_1)
	v_cmpx_lt_i16_e32 0x7f, v13
	s_xor_b32 s36, exec_lo, s36
	s_cbranch_execnz .LBB4_2976
; %bb.2259:                             ;   in Loop: Header=BB4_1985 Depth=4
	s_or_saveexec_b32 s36, s36
	v_mov_b32_e32 v12, s35
	s_xor_b32 exec_lo, exec_lo, s36
	s_cbranch_execnz .LBB4_2979
.LBB4_2260:                             ;   in Loop: Header=BB4_1985 Depth=4
	s_or_b32 exec_lo, exec_lo, s36
	s_and_saveexec_b32 s35, s13
	s_cbranch_execz .LBB4_2262
.LBB4_2261:                             ;   in Loop: Header=BB4_1985 Depth=4
	v_bfe_u32 v12, v9, 16, 2
	s_delay_alu instid0(VALU_DEP_1) | instskip(NEXT) | instid1(VALU_DEP_1)
	v_clz_i32_u32_e32 v13, v12
	v_min_u32_e32 v13, 32, v13
	s_delay_alu instid0(VALU_DEP_1) | instskip(SKIP_1) | instid1(VALU_DEP_2)
	v_subrev_nc_u32_e32 v14, 29, v13
	v_sub_nc_u32_e32 v13, 30, v13
	v_lshlrev_b32_e32 v8, v14, v8
	v_bfe_u32 v14, v9, 18, 5
	s_delay_alu instid0(VALU_DEP_1) | instskip(NEXT) | instid1(VALU_DEP_3)
	v_cmp_eq_u32_e32 vcc_lo, 0, v14
	v_dual_cndmask_b32 v13, v14, v13 :: v_dual_and_b32 v8, 3, v8
	s_delay_alu instid0(VALU_DEP_1) | instskip(NEXT) | instid1(VALU_DEP_2)
	v_dual_cndmask_b32 v8, v12, v8 :: v_dual_lshlrev_b32 v15, 8, v9
	v_lshl_add_u32 v13, v13, 23, 0x37800000
	s_delay_alu instid0(VALU_DEP_2) | instskip(NEXT) | instid1(VALU_DEP_3)
	v_and_b32_e32 v12, 0x80000000, v15
	v_lshlrev_b32_e32 v8, 21, v8
	s_delay_alu instid0(VALU_DEP_1)
	v_or3_b32 v12, v12, v13, v8
.LBB4_2262:                             ;   in Loop: Header=BB4_1985 Depth=4
	s_or_b32 exec_lo, exec_lo, s35
	s_delay_alu instid0(VALU_DEP_1) | instskip(SKIP_2) | instid1(VALU_DEP_2)
	v_mul_f32_e32 v8, s34, v12
	v_mov_b32_e32 v160, 0x80
	s_mov_b32 s35, exec_lo
	v_and_b32_e32 v12, 0x7f800000, v8
	s_delay_alu instid0(VALU_DEP_1)
	v_cmpx_ne_u32_e32 0x7f800000, v12
	s_cbranch_execz .LBB4_2270
; %bb.2263:                             ;   in Loop: Header=BB4_1985 Depth=4
	v_mov_b32_e32 v160, 0
	s_mov_b32 s36, exec_lo
	v_cmpx_ne_u32_e32 0, v8
	s_cbranch_execz .LBB4_2269
; %bb.2264:                             ;   in Loop: Header=BB4_1985 Depth=4
	v_bfe_u32 v12, v8, 23, 8
	s_delay_alu instid0(VALU_DEP_1) | instskip(SKIP_1) | instid1(VALU_DEP_2)
	v_sub_nc_u32_e32 v14, 0x70, v12
	v_cmp_gt_u32_e32 vcc_lo, 0x71, v12
	v_dual_cndmask_b32 v14, 0, v14 :: v_dual_and_b32 v13, 0x7fffff, v8
	s_delay_alu instid0(VALU_DEP_1) | instskip(SKIP_2) | instid1(VALU_DEP_4)
	v_or_b32_e32 v15, 0x800000, v13
	v_cmp_eq_u32_e32 vcc_lo, 0, v12
	v_add_nc_u32_e32 v12, 0xffffff91, v12
	v_cndmask_b32_e64 v14, v14, 0x6f, vcc_lo
	s_delay_alu instid0(VALU_DEP_4) | instskip(NEXT) | instid1(VALU_DEP_3)
	v_cndmask_b32_e32 v13, v15, v13, vcc_lo
	v_cndmask_b32_e64 v12, v12, 0xffffff92, vcc_lo
	s_delay_alu instid0(VALU_DEP_3) | instskip(NEXT) | instid1(VALU_DEP_3)
	v_lshl_add_u32 v15, 0x200000, v14, -1
	v_lshrrev_b32_e32 v134, v14, v13
	v_lshlrev_b32_e64 v144, v14, 0x100000
	s_delay_alu instid0(VALU_DEP_4) | instskip(NEXT) | instid1(VALU_DEP_4)
	v_add_nc_u32_e32 v14, v14, v12
	v_and_b32_e32 v13, v15, v13
	s_delay_alu instid0(VALU_DEP_4) | instskip(NEXT) | instid1(VALU_DEP_2)
	v_bfe_u32 v135, v134, 21, 1
	v_cmp_eq_u32_e64 s13, v13, v144
	s_delay_alu instid0(VALU_DEP_2) | instskip(NEXT) | instid1(VALU_DEP_1)
	v_add_nc_u32_e32 v15, -1, v135
	v_cndmask_b32_e64 v13, 0, v15, s13
	v_lshrrev_b32_e32 v15, 23, v134
	s_mov_b32 s13, exec_lo
	s_delay_alu instid0(VALU_DEP_2) | instskip(NEXT) | instid1(VALU_DEP_2)
	v_add_nc_u32_e32 v13, v13, v134
	v_xor_b32_e32 v15, 1, v15
	s_delay_alu instid0(VALU_DEP_2) | instskip(NEXT) | instid1(VALU_DEP_1)
	v_and_b32_e32 v12, 0x1fffff, v13
	v_add_nc_u32_e32 v13, v12, v134
                                        ; implicit-def: $vgpr12
	s_delay_alu instid0(VALU_DEP_3)
	v_cmpx_ne_u32_e64 v14, v15
	s_xor_b32 s13, exec_lo, s13
; %bb.2265:                             ;   in Loop: Header=BB4_1985 Depth=4
	s_delay_alu instid0(VALU_DEP_2) | instskip(SKIP_2) | instid1(VALU_DEP_2)
	v_cmp_lt_u32_e32 vcc_lo, 0xffffff, v13
	v_sub_nc_u32_e32 v12, v14, v15
	v_cndmask_b32_e64 v14, 0, 1, vcc_lo
	v_add_co_ci_u32_e32 v12, vcc_lo, 0, v12, vcc_lo
	s_delay_alu instid0(VALU_DEP_2)
	v_lshrrev_b32_e32 v13, v14, v13
; %bb.2266:                             ;   in Loop: Header=BB4_1985 Depth=4
	s_and_not1_saveexec_b32 s13, s13
; %bb.2267:                             ;   in Loop: Header=BB4_1985 Depth=4
	s_delay_alu instid0(VALU_DEP_1)
	v_bfe_u32 v12, v13, 23, 1
; %bb.2268:                             ;   in Loop: Header=BB4_1985 Depth=4
	s_or_b32 exec_lo, exec_lo, s13
	v_lshrrev_b32_e32 v13, 21, v13
	s_delay_alu instid0(VALU_DEP_2) | instskip(SKIP_2) | instid1(VALU_DEP_2)
	v_cmp_gt_i32_e32 vcc_lo, 32, v12
	v_min_i32_e32 v14, 31, v12
	v_lshrrev_b32_e32 v8, 24, v8
	v_dual_cndmask_b32 v13, 3, v13 :: v_dual_lshlrev_b32 v14, 2, v14
	s_delay_alu instid0(VALU_DEP_2) | instskip(NEXT) | instid1(VALU_DEP_2)
	v_and_b32_e32 v8, 0x80, v8
	v_or_b32_e32 v12, v12, v13
	s_delay_alu instid0(VALU_DEP_3) | instskip(NEXT) | instid1(VALU_DEP_2)
	v_and_b32_e32 v14, 0xfc, v14
	v_cmp_ne_u32_e32 vcc_lo, 0, v12
	v_and_b32_e32 v15, 3, v13
	s_delay_alu instid0(VALU_DEP_1) | instskip(NEXT) | instid1(VALU_DEP_1)
	v_or3_b32 v8, v14, v8, v15
	v_cndmask_b32_e32 v160, 0, v8, vcc_lo
.LBB4_2269:                             ;   in Loop: Header=BB4_1985 Depth=4
	s_or_b32 exec_lo, exec_lo, s36
.LBB4_2270:                             ;   in Loop: Header=BB4_1985 Depth=4
	s_delay_alu instid0(SALU_CYCLE_1) | instskip(SKIP_3) | instid1(VALU_DEP_1)
	s_or_b32 exec_lo, exec_lo, s35
	v_lshrrev_b32_e32 v8, 24, v9
	s_mov_b32 s13, 0
	s_mov_b32 s36, exec_lo
                                        ; implicit-def: $sgpr35
	v_cmpx_lt_i16_e32 0x7f, v8
	s_xor_b32 s36, exec_lo, s36
	s_cbranch_execnz .LBB4_2980
; %bb.2271:                             ;   in Loop: Header=BB4_1985 Depth=4
	s_or_saveexec_b32 s36, s36
	v_mov_b32_e32 v12, s35
	s_xor_b32 exec_lo, exec_lo, s36
	s_cbranch_execnz .LBB4_2983
.LBB4_2272:                             ;   in Loop: Header=BB4_1985 Depth=4
	s_or_b32 exec_lo, exec_lo, s36
	s_and_saveexec_b32 s35, s13
	s_cbranch_execz .LBB4_2274
.LBB4_2273:                             ;   in Loop: Header=BB4_1985 Depth=4
	v_bfe_u32 v12, v9, 24, 2
	s_delay_alu instid0(VALU_DEP_1) | instskip(NEXT) | instid1(VALU_DEP_1)
	v_clz_i32_u32_e32 v13, v12
	v_min_u32_e32 v13, 32, v13
	s_delay_alu instid0(VALU_DEP_1) | instskip(SKIP_1) | instid1(VALU_DEP_2)
	v_subrev_nc_u32_e32 v14, 29, v13
	v_sub_nc_u32_e32 v13, 30, v13
	v_lshlrev_b32_e32 v8, v14, v8
	v_bfe_u32 v14, v9, 26, 5
	v_and_b32_e32 v9, 0x80000000, v9
	s_delay_alu instid0(VALU_DEP_2) | instskip(NEXT) | instid1(VALU_DEP_4)
	v_cmp_eq_u32_e32 vcc_lo, 0, v14
	v_dual_cndmask_b32 v13, v14, v13 :: v_dual_and_b32 v8, 3, v8
	s_delay_alu instid0(VALU_DEP_1) | instskip(NEXT) | instid1(VALU_DEP_2)
	v_cndmask_b32_e32 v8, v12, v8, vcc_lo
	v_lshl_add_u32 v12, v13, 23, 0x37800000
	s_delay_alu instid0(VALU_DEP_2) | instskip(NEXT) | instid1(VALU_DEP_1)
	v_lshlrev_b32_e32 v8, 21, v8
	v_or3_b32 v12, v9, v12, v8
.LBB4_2274:                             ;   in Loop: Header=BB4_1985 Depth=4
	s_or_b32 exec_lo, exec_lo, s35
	s_delay_alu instid0(VALU_DEP_1) | instskip(SKIP_1) | instid1(VALU_DEP_1)
	v_dual_mul_f32 v8, s34, v12 :: v_dual_mov_b32 v163, 0x8000
	s_mov_b32 s35, exec_lo
	v_and_b32_e32 v9, 0x7f800000, v8
	s_delay_alu instid0(VALU_DEP_1)
	v_cmpx_ne_u32_e32 0x7f800000, v9
	s_cbranch_execz .LBB4_2282
; %bb.2275:                             ;   in Loop: Header=BB4_1985 Depth=4
	v_mov_b32_e32 v163, 0
	s_mov_b32 s36, exec_lo
	v_cmpx_ne_u32_e32 0, v8
	s_cbranch_execz .LBB4_2281
; %bb.2276:                             ;   in Loop: Header=BB4_1985 Depth=4
	v_bfe_u32 v9, v8, 23, 8
	s_delay_alu instid0(VALU_DEP_1) | instskip(SKIP_1) | instid1(VALU_DEP_2)
	v_sub_nc_u32_e32 v13, 0x70, v9
	v_cmp_gt_u32_e32 vcc_lo, 0x71, v9
	v_dual_cndmask_b32 v13, 0, v13 :: v_dual_and_b32 v12, 0x7fffff, v8
	s_delay_alu instid0(VALU_DEP_1) | instskip(SKIP_2) | instid1(VALU_DEP_4)
	v_or_b32_e32 v14, 0x800000, v12
	v_cmp_eq_u32_e32 vcc_lo, 0, v9
	v_add_nc_u32_e32 v9, 0xffffff91, v9
	v_cndmask_b32_e64 v13, v13, 0x6f, vcc_lo
	s_delay_alu instid0(VALU_DEP_4) | instskip(NEXT) | instid1(VALU_DEP_3)
	v_cndmask_b32_e32 v12, v14, v12, vcc_lo
	v_cndmask_b32_e64 v9, v9, 0xffffff92, vcc_lo
	s_delay_alu instid0(VALU_DEP_3) | instskip(NEXT) | instid1(VALU_DEP_3)
	v_lshl_add_u32 v14, 0x200000, v13, -1
	v_lshrrev_b32_e32 v15, v13, v12
	v_lshlrev_b32_e64 v135, v13, 0x100000
	s_delay_alu instid0(VALU_DEP_4) | instskip(NEXT) | instid1(VALU_DEP_4)
	v_add_nc_u32_e32 v13, v13, v9
	v_and_b32_e32 v12, v14, v12
	s_delay_alu instid0(VALU_DEP_4) | instskip(NEXT) | instid1(VALU_DEP_2)
	v_bfe_u32 v134, v15, 21, 1
	v_cmp_eq_u32_e64 s13, v12, v135
	s_delay_alu instid0(VALU_DEP_2) | instskip(NEXT) | instid1(VALU_DEP_1)
	v_add_nc_u32_e32 v14, -1, v134
	v_cndmask_b32_e64 v12, 0, v14, s13
	v_lshrrev_b32_e32 v14, 23, v15
	s_mov_b32 s13, exec_lo
	s_delay_alu instid0(VALU_DEP_2) | instskip(NEXT) | instid1(VALU_DEP_2)
	v_add_nc_u32_e32 v12, v12, v15
	v_xor_b32_e32 v14, 1, v14
	s_delay_alu instid0(VALU_DEP_2) | instskip(NEXT) | instid1(VALU_DEP_1)
	v_and_b32_e32 v9, 0x1fffff, v12
	v_add_nc_u32_e32 v12, v9, v15
                                        ; implicit-def: $vgpr9
	s_delay_alu instid0(VALU_DEP_3)
	v_cmpx_ne_u32_e64 v13, v14
	s_xor_b32 s13, exec_lo, s13
; %bb.2277:                             ;   in Loop: Header=BB4_1985 Depth=4
	s_delay_alu instid0(VALU_DEP_2) | instskip(SKIP_2) | instid1(VALU_DEP_2)
	v_cmp_lt_u32_e32 vcc_lo, 0xffffff, v12
	v_sub_nc_u32_e32 v9, v13, v14
	v_cndmask_b32_e64 v13, 0, 1, vcc_lo
	v_add_co_ci_u32_e32 v9, vcc_lo, 0, v9, vcc_lo
	s_delay_alu instid0(VALU_DEP_2)
	v_lshrrev_b32_e32 v12, v13, v12
; %bb.2278:                             ;   in Loop: Header=BB4_1985 Depth=4
	s_and_not1_saveexec_b32 s13, s13
; %bb.2279:                             ;   in Loop: Header=BB4_1985 Depth=4
	s_delay_alu instid0(VALU_DEP_1)
	v_bfe_u32 v9, v12, 23, 1
; %bb.2280:                             ;   in Loop: Header=BB4_1985 Depth=4
	s_or_b32 exec_lo, exec_lo, s13
	v_lshrrev_b32_e32 v12, 21, v12
	s_delay_alu instid0(VALU_DEP_2) | instskip(SKIP_2) | instid1(VALU_DEP_3)
	v_min_i32_e32 v13, 31, v9
	v_cmp_gt_i32_e32 vcc_lo, 32, v9
	v_lshrrev_b32_e32 v8, 24, v8
	v_dual_cndmask_b32 v12, 3, v12 :: v_dual_lshlrev_b32 v13, 2, v13
	s_delay_alu instid0(VALU_DEP_2) | instskip(NEXT) | instid1(VALU_DEP_2)
	v_and_b32_e32 v8, 0x80, v8
	v_and_b32_e32 v13, 0xfc, v13
	s_delay_alu instid0(VALU_DEP_3) | instskip(SKIP_1) | instid1(VALU_DEP_2)
	v_and_b32_e32 v14, 3, v12
	v_or_b32_e32 v9, v9, v12
	v_or3_b32 v8, v8, v13, v14
	s_delay_alu instid0(VALU_DEP_2) | instskip(NEXT) | instid1(VALU_DEP_2)
	v_cmp_ne_u32_e32 vcc_lo, 0, v9
	v_lshlrev_b32_e32 v8, 8, v8
	s_delay_alu instid0(VALU_DEP_1)
	v_cndmask_b32_e32 v163, 0, v8, vcc_lo
.LBB4_2281:                             ;   in Loop: Header=BB4_1985 Depth=4
	s_or_b32 exec_lo, exec_lo, s36
.LBB4_2282:                             ;   in Loop: Header=BB4_1985 Depth=4
	s_delay_alu instid0(SALU_CYCLE_1) | instskip(SKIP_3) | instid1(VALU_DEP_1)
	s_or_b32 exec_lo, exec_lo, s35
	v_and_b32_e32 v9, 0xff, v10
	s_mov_b32 s13, 0
	s_mov_b32 s36, exec_lo
                                        ; implicit-def: $sgpr35
	v_cmpx_lt_i16_e32 0x7f, v9
	s_xor_b32 s36, exec_lo, s36
	s_cbranch_execnz .LBB4_2984
; %bb.2283:                             ;   in Loop: Header=BB4_1985 Depth=4
	s_or_saveexec_b32 s36, s36
	v_mov_b32_e32 v8, s35
	s_xor_b32 exec_lo, exec_lo, s36
	s_cbranch_execnz .LBB4_2987
.LBB4_2284:                             ;   in Loop: Header=BB4_1985 Depth=4
	s_or_b32 exec_lo, exec_lo, s36
	s_and_saveexec_b32 s35, s13
	s_cbranch_execz .LBB4_2286
.LBB4_2285:                             ;   in Loop: Header=BB4_1985 Depth=4
	v_bfe_u32 v13, v10, 2, 5
	v_lshlrev_b32_e32 v14, 24, v10
	s_delay_alu instid0(VALU_DEP_2) | instskip(SKIP_1) | instid1(VALU_DEP_1)
	v_cmp_eq_u32_e32 vcc_lo, 0, v13
	v_and_b32_e32 v8, 3, v10
	v_clz_i32_u32_e32 v9, v8
	s_delay_alu instid0(VALU_DEP_1) | instskip(NEXT) | instid1(VALU_DEP_1)
	v_min_u32_e32 v9, 32, v9
	v_subrev_nc_u32_e32 v12, 29, v9
	v_sub_nc_u32_e32 v9, 30, v9
	s_delay_alu instid0(VALU_DEP_1) | instskip(NEXT) | instid1(VALU_DEP_1)
	v_dual_cndmask_b32 v9, v13, v9 :: v_dual_lshlrev_b32 v12, v12, v10
	v_and_b32_e32 v12, 3, v12
	s_delay_alu instid0(VALU_DEP_2) | instskip(NEXT) | instid1(VALU_DEP_2)
	v_lshl_add_u32 v9, v9, 23, 0x37800000
	v_cndmask_b32_e32 v8, v8, v12, vcc_lo
	v_and_b32_e32 v12, 0x80000000, v14
	s_delay_alu instid0(VALU_DEP_2) | instskip(NEXT) | instid1(VALU_DEP_1)
	v_lshlrev_b32_e32 v8, 21, v8
	v_or3_b32 v8, v12, v9, v8
.LBB4_2286:                             ;   in Loop: Header=BB4_1985 Depth=4
	s_or_b32 exec_lo, exec_lo, s35
	s_delay_alu instid0(VALU_DEP_1) | instskip(SKIP_2) | instid1(VALU_DEP_2)
	v_mul_f32_e32 v8, s34, v8
	v_mov_b32_e32 v150, 0x80
	s_mov_b32 s35, exec_lo
	v_and_b32_e32 v9, 0x7f800000, v8
	s_delay_alu instid0(VALU_DEP_1)
	v_cmpx_ne_u32_e32 0x7f800000, v9
	s_cbranch_execz .LBB4_2294
; %bb.2287:                             ;   in Loop: Header=BB4_1985 Depth=4
	v_mov_b32_e32 v150, 0
	s_mov_b32 s36, exec_lo
	v_cmpx_ne_u32_e32 0, v8
	s_cbranch_execz .LBB4_2293
; %bb.2288:                             ;   in Loop: Header=BB4_1985 Depth=4
	v_bfe_u32 v9, v8, 23, 8
	s_delay_alu instid0(VALU_DEP_1) | instskip(SKIP_1) | instid1(VALU_DEP_2)
	v_sub_nc_u32_e32 v13, 0x70, v9
	v_cmp_gt_u32_e32 vcc_lo, 0x71, v9
	v_dual_cndmask_b32 v13, 0, v13 :: v_dual_and_b32 v12, 0x7fffff, v8
	s_delay_alu instid0(VALU_DEP_1) | instskip(SKIP_2) | instid1(VALU_DEP_4)
	v_or_b32_e32 v14, 0x800000, v12
	v_cmp_eq_u32_e32 vcc_lo, 0, v9
	v_add_nc_u32_e32 v9, 0xffffff91, v9
	v_cndmask_b32_e64 v13, v13, 0x6f, vcc_lo
	s_delay_alu instid0(VALU_DEP_4) | instskip(NEXT) | instid1(VALU_DEP_3)
	v_cndmask_b32_e32 v12, v14, v12, vcc_lo
	v_cndmask_b32_e64 v9, v9, 0xffffff92, vcc_lo
	s_delay_alu instid0(VALU_DEP_3) | instskip(NEXT) | instid1(VALU_DEP_3)
	v_lshl_add_u32 v14, 0x200000, v13, -1
	v_lshrrev_b32_e32 v15, v13, v12
	v_lshlrev_b32_e64 v135, v13, 0x100000
	s_delay_alu instid0(VALU_DEP_4) | instskip(NEXT) | instid1(VALU_DEP_4)
	v_add_nc_u32_e32 v13, v13, v9
	v_and_b32_e32 v12, v14, v12
	s_delay_alu instid0(VALU_DEP_4) | instskip(NEXT) | instid1(VALU_DEP_2)
	v_bfe_u32 v134, v15, 21, 1
	v_cmp_eq_u32_e64 s13, v12, v135
	s_delay_alu instid0(VALU_DEP_2) | instskip(NEXT) | instid1(VALU_DEP_1)
	v_add_nc_u32_e32 v14, -1, v134
	v_cndmask_b32_e64 v12, 0, v14, s13
	v_lshrrev_b32_e32 v14, 23, v15
	s_mov_b32 s13, exec_lo
	s_delay_alu instid0(VALU_DEP_2) | instskip(NEXT) | instid1(VALU_DEP_2)
	v_add_nc_u32_e32 v12, v12, v15
	v_xor_b32_e32 v14, 1, v14
	s_delay_alu instid0(VALU_DEP_2) | instskip(NEXT) | instid1(VALU_DEP_1)
	v_and_b32_e32 v9, 0x1fffff, v12
	v_add_nc_u32_e32 v12, v9, v15
                                        ; implicit-def: $vgpr9
	s_delay_alu instid0(VALU_DEP_3)
	v_cmpx_ne_u32_e64 v13, v14
	s_xor_b32 s13, exec_lo, s13
; %bb.2289:                             ;   in Loop: Header=BB4_1985 Depth=4
	s_delay_alu instid0(VALU_DEP_2) | instskip(SKIP_2) | instid1(VALU_DEP_2)
	v_cmp_lt_u32_e32 vcc_lo, 0xffffff, v12
	v_sub_nc_u32_e32 v9, v13, v14
	v_cndmask_b32_e64 v13, 0, 1, vcc_lo
	v_add_co_ci_u32_e32 v9, vcc_lo, 0, v9, vcc_lo
	s_delay_alu instid0(VALU_DEP_2)
	v_lshrrev_b32_e32 v12, v13, v12
; %bb.2290:                             ;   in Loop: Header=BB4_1985 Depth=4
	s_and_not1_saveexec_b32 s13, s13
; %bb.2291:                             ;   in Loop: Header=BB4_1985 Depth=4
	s_delay_alu instid0(VALU_DEP_1)
	v_bfe_u32 v9, v12, 23, 1
; %bb.2292:                             ;   in Loop: Header=BB4_1985 Depth=4
	s_or_b32 exec_lo, exec_lo, s13
	v_lshrrev_b32_e32 v12, 21, v12
	s_delay_alu instid0(VALU_DEP_2) | instskip(SKIP_2) | instid1(VALU_DEP_4)
	v_cmp_gt_i32_e32 vcc_lo, 32, v9
	v_lshrrev_b32_e32 v8, 24, v8
	v_min_i32_e32 v13, 31, v9
	v_cndmask_b32_e32 v12, 3, v12, vcc_lo
	s_delay_alu instid0(VALU_DEP_3) | instskip(NEXT) | instid1(VALU_DEP_3)
	v_and_b32_e32 v8, 0x80, v8
	v_lshlrev_b32_e32 v13, 2, v13
	s_delay_alu instid0(VALU_DEP_3) | instskip(SKIP_1) | instid1(VALU_DEP_2)
	v_and_b32_e32 v14, 3, v12
	v_or_b32_e32 v9, v9, v12
	v_or3_b32 v8, v13, v8, v14
	s_delay_alu instid0(VALU_DEP_2) | instskip(NEXT) | instid1(VALU_DEP_2)
	v_cmp_ne_u32_e32 vcc_lo, 0, v9
	v_cndmask_b32_e32 v150, 0, v8, vcc_lo
.LBB4_2293:                             ;   in Loop: Header=BB4_1985 Depth=4
	s_or_b32 exec_lo, exec_lo, s36
.LBB4_2294:                             ;   in Loop: Header=BB4_1985 Depth=4
	s_delay_alu instid0(SALU_CYCLE_1) | instskip(SKIP_3) | instid1(VALU_DEP_1)
	s_or_b32 exec_lo, exec_lo, s35
	v_lshrrev_b16 v8, 8, v10
	s_mov_b32 s13, 0
	s_mov_b32 s36, exec_lo
                                        ; implicit-def: $sgpr35
	v_cmpx_lt_i16_e32 0x7f, v8
	s_xor_b32 s36, exec_lo, s36
	s_cbranch_execnz .LBB4_2988
; %bb.2295:                             ;   in Loop: Header=BB4_1985 Depth=4
	s_or_saveexec_b32 s36, s36
	v_mov_b32_e32 v9, s35
	s_xor_b32 exec_lo, exec_lo, s36
	s_cbranch_execnz .LBB4_2991
.LBB4_2296:                             ;   in Loop: Header=BB4_1985 Depth=4
	s_or_b32 exec_lo, exec_lo, s36
	s_and_saveexec_b32 s35, s13
	s_cbranch_execz .LBB4_2298
.LBB4_2297:                             ;   in Loop: Header=BB4_1985 Depth=4
	v_and_b32_e32 v9, 0xffff, v8
	v_lshlrev_b32_e32 v8, 24, v8
	s_delay_alu instid0(VALU_DEP_2) | instskip(NEXT) | instid1(VALU_DEP_2)
	v_and_b32_e32 v12, 3, v9
	v_and_b32_e32 v8, 0x80000000, v8
	s_delay_alu instid0(VALU_DEP_2) | instskip(NEXT) | instid1(VALU_DEP_1)
	v_clz_i32_u32_e32 v13, v12
	v_min_u32_e32 v13, 32, v13
	s_delay_alu instid0(VALU_DEP_1) | instskip(SKIP_1) | instid1(VALU_DEP_2)
	v_subrev_nc_u32_e32 v14, 29, v13
	v_sub_nc_u32_e32 v13, 30, v13
	v_lshlrev_b32_e32 v14, v14, v9
	v_bfe_u32 v9, v9, 2, 5
	s_delay_alu instid0(VALU_DEP_1) | instskip(NEXT) | instid1(VALU_DEP_3)
	v_cmp_eq_u32_e32 vcc_lo, 0, v9
	v_dual_cndmask_b32 v9, v9, v13 :: v_dual_and_b32 v14, 3, v14
	s_delay_alu instid0(VALU_DEP_1) | instskip(NEXT) | instid1(VALU_DEP_2)
	v_cndmask_b32_e32 v12, v12, v14, vcc_lo
	v_lshl_add_u32 v9, v9, 23, 0x37800000
	s_delay_alu instid0(VALU_DEP_2) | instskip(NEXT) | instid1(VALU_DEP_1)
	v_lshlrev_b32_e32 v12, 21, v12
	v_or3_b32 v9, v8, v9, v12
.LBB4_2298:                             ;   in Loop: Header=BB4_1985 Depth=4
	s_or_b32 exec_lo, exec_lo, s35
	s_delay_alu instid0(VALU_DEP_1) | instskip(SKIP_2) | instid1(VALU_DEP_2)
	v_mul_f32_e32 v8, s34, v9
	v_mov_b32_e32 v148, 0x80
	s_mov_b32 s35, exec_lo
	v_and_b32_e32 v9, 0x7f800000, v8
	s_delay_alu instid0(VALU_DEP_1)
	v_cmpx_ne_u32_e32 0x7f800000, v9
	s_cbranch_execz .LBB4_2306
; %bb.2299:                             ;   in Loop: Header=BB4_1985 Depth=4
	v_mov_b32_e32 v148, 0
	s_mov_b32 s36, exec_lo
	v_cmpx_ne_u32_e32 0, v8
	s_cbranch_execz .LBB4_2305
; %bb.2300:                             ;   in Loop: Header=BB4_1985 Depth=4
	v_bfe_u32 v9, v8, 23, 8
	s_delay_alu instid0(VALU_DEP_1) | instskip(SKIP_1) | instid1(VALU_DEP_2)
	v_sub_nc_u32_e32 v13, 0x70, v9
	v_cmp_gt_u32_e32 vcc_lo, 0x71, v9
	v_dual_cndmask_b32 v13, 0, v13 :: v_dual_and_b32 v12, 0x7fffff, v8
	s_delay_alu instid0(VALU_DEP_1) | instskip(SKIP_2) | instid1(VALU_DEP_4)
	v_or_b32_e32 v14, 0x800000, v12
	v_cmp_eq_u32_e32 vcc_lo, 0, v9
	v_add_nc_u32_e32 v9, 0xffffff91, v9
	v_cndmask_b32_e64 v13, v13, 0x6f, vcc_lo
	s_delay_alu instid0(VALU_DEP_4) | instskip(NEXT) | instid1(VALU_DEP_3)
	v_cndmask_b32_e32 v12, v14, v12, vcc_lo
	v_cndmask_b32_e64 v9, v9, 0xffffff92, vcc_lo
	s_delay_alu instid0(VALU_DEP_3) | instskip(NEXT) | instid1(VALU_DEP_3)
	v_lshl_add_u32 v14, 0x200000, v13, -1
	v_lshrrev_b32_e32 v15, v13, v12
	v_lshlrev_b32_e64 v135, v13, 0x100000
	s_delay_alu instid0(VALU_DEP_4) | instskip(NEXT) | instid1(VALU_DEP_4)
	v_add_nc_u32_e32 v13, v13, v9
	v_and_b32_e32 v12, v14, v12
	s_delay_alu instid0(VALU_DEP_4) | instskip(NEXT) | instid1(VALU_DEP_2)
	v_bfe_u32 v134, v15, 21, 1
	v_cmp_eq_u32_e64 s13, v12, v135
	s_delay_alu instid0(VALU_DEP_2) | instskip(NEXT) | instid1(VALU_DEP_1)
	v_add_nc_u32_e32 v14, -1, v134
	v_cndmask_b32_e64 v12, 0, v14, s13
	v_lshrrev_b32_e32 v14, 23, v15
	s_mov_b32 s13, exec_lo
	s_delay_alu instid0(VALU_DEP_2) | instskip(NEXT) | instid1(VALU_DEP_2)
	v_add_nc_u32_e32 v12, v12, v15
	v_xor_b32_e32 v14, 1, v14
	s_delay_alu instid0(VALU_DEP_2) | instskip(NEXT) | instid1(VALU_DEP_1)
	v_and_b32_e32 v9, 0x1fffff, v12
	v_add_nc_u32_e32 v12, v9, v15
                                        ; implicit-def: $vgpr9
	s_delay_alu instid0(VALU_DEP_3)
	v_cmpx_ne_u32_e64 v13, v14
	s_xor_b32 s13, exec_lo, s13
; %bb.2301:                             ;   in Loop: Header=BB4_1985 Depth=4
	s_delay_alu instid0(VALU_DEP_2) | instskip(SKIP_2) | instid1(VALU_DEP_2)
	v_cmp_lt_u32_e32 vcc_lo, 0xffffff, v12
	v_sub_nc_u32_e32 v9, v13, v14
	v_cndmask_b32_e64 v13, 0, 1, vcc_lo
	v_add_co_ci_u32_e32 v9, vcc_lo, 0, v9, vcc_lo
	s_delay_alu instid0(VALU_DEP_2)
	v_lshrrev_b32_e32 v12, v13, v12
; %bb.2302:                             ;   in Loop: Header=BB4_1985 Depth=4
	s_and_not1_saveexec_b32 s13, s13
; %bb.2303:                             ;   in Loop: Header=BB4_1985 Depth=4
	s_delay_alu instid0(VALU_DEP_1)
	v_bfe_u32 v9, v12, 23, 1
; %bb.2304:                             ;   in Loop: Header=BB4_1985 Depth=4
	s_or_b32 exec_lo, exec_lo, s13
	v_lshrrev_b32_e32 v12, 21, v12
	s_delay_alu instid0(VALU_DEP_2) | instskip(SKIP_2) | instid1(VALU_DEP_4)
	v_cmp_gt_i32_e32 vcc_lo, 32, v9
	v_lshrrev_b32_e32 v8, 24, v8
	v_min_i32_e32 v13, 31, v9
	v_cndmask_b32_e32 v12, 3, v12, vcc_lo
	s_delay_alu instid0(VALU_DEP_3) | instskip(NEXT) | instid1(VALU_DEP_3)
	v_and_b32_e32 v8, 0x80, v8
	v_lshlrev_b32_e32 v13, 2, v13
	s_delay_alu instid0(VALU_DEP_3) | instskip(SKIP_1) | instid1(VALU_DEP_2)
	v_and_b32_e32 v14, 3, v12
	v_or_b32_e32 v9, v9, v12
	v_or3_b32 v8, v13, v8, v14
	s_delay_alu instid0(VALU_DEP_2) | instskip(NEXT) | instid1(VALU_DEP_2)
	v_cmp_ne_u32_e32 vcc_lo, 0, v9
	v_cndmask_b32_e32 v148, 0, v8, vcc_lo
.LBB4_2305:                             ;   in Loop: Header=BB4_1985 Depth=4
	s_or_b32 exec_lo, exec_lo, s36
.LBB4_2306:                             ;   in Loop: Header=BB4_1985 Depth=4
	s_delay_alu instid0(SALU_CYCLE_1) | instskip(SKIP_3) | instid1(VALU_DEP_1)
	s_or_b32 exec_lo, exec_lo, s35
	v_lshrrev_b32_e32 v8, 16, v10
	s_mov_b32 s13, 0
	s_mov_b32 s36, exec_lo
                                        ; implicit-def: $sgpr35
	v_and_b32_e32 v12, 0xff, v8
	s_delay_alu instid0(VALU_DEP_1)
	v_cmpx_lt_i16_e32 0x7f, v12
	s_xor_b32 s36, exec_lo, s36
	s_cbranch_execnz .LBB4_2992
; %bb.2307:                             ;   in Loop: Header=BB4_1985 Depth=4
	s_or_saveexec_b32 s36, s36
	v_mov_b32_e32 v9, s35
	s_xor_b32 exec_lo, exec_lo, s36
	s_cbranch_execnz .LBB4_2995
.LBB4_2308:                             ;   in Loop: Header=BB4_1985 Depth=4
	s_or_b32 exec_lo, exec_lo, s36
	s_and_saveexec_b32 s35, s13
	s_cbranch_execz .LBB4_2310
.LBB4_2309:                             ;   in Loop: Header=BB4_1985 Depth=4
	v_bfe_u32 v9, v10, 16, 2
	v_lshlrev_b32_e32 v14, 8, v10
	s_delay_alu instid0(VALU_DEP_2) | instskip(NEXT) | instid1(VALU_DEP_1)
	v_clz_i32_u32_e32 v12, v9
	v_min_u32_e32 v12, 32, v12
	s_delay_alu instid0(VALU_DEP_1) | instskip(SKIP_1) | instid1(VALU_DEP_2)
	v_subrev_nc_u32_e32 v13, 29, v12
	v_sub_nc_u32_e32 v12, 30, v12
	v_lshlrev_b32_e32 v8, v13, v8
	v_bfe_u32 v13, v10, 18, 5
	s_delay_alu instid0(VALU_DEP_2) | instskip(NEXT) | instid1(VALU_DEP_2)
	v_and_b32_e32 v8, 3, v8
	v_cmp_eq_u32_e32 vcc_lo, 0, v13
	v_cndmask_b32_e32 v12, v13, v12, vcc_lo
	s_delay_alu instid0(VALU_DEP_3) | instskip(NEXT) | instid1(VALU_DEP_2)
	v_dual_cndmask_b32 v8, v9, v8 :: v_dual_and_b32 v9, 0x80000000, v14
	v_lshl_add_u32 v12, v12, 23, 0x37800000
	s_delay_alu instid0(VALU_DEP_2) | instskip(NEXT) | instid1(VALU_DEP_1)
	v_lshlrev_b32_e32 v8, 21, v8
	v_or3_b32 v9, v9, v12, v8
.LBB4_2310:                             ;   in Loop: Header=BB4_1985 Depth=4
	s_or_b32 exec_lo, exec_lo, s35
	s_delay_alu instid0(VALU_DEP_1) | instskip(SKIP_1) | instid1(VALU_DEP_1)
	v_dual_mul_f32 v8, s34, v9 :: v_dual_mov_b32 v147, 0x80
	s_mov_b32 s35, exec_lo
	v_and_b32_e32 v9, 0x7f800000, v8
	s_delay_alu instid0(VALU_DEP_1)
	v_cmpx_ne_u32_e32 0x7f800000, v9
	s_cbranch_execz .LBB4_2318
; %bb.2311:                             ;   in Loop: Header=BB4_1985 Depth=4
	v_mov_b32_e32 v147, 0
	s_mov_b32 s36, exec_lo
	v_cmpx_ne_u32_e32 0, v8
	s_cbranch_execz .LBB4_2317
; %bb.2312:                             ;   in Loop: Header=BB4_1985 Depth=4
	v_bfe_u32 v9, v8, 23, 8
	s_delay_alu instid0(VALU_DEP_1) | instskip(SKIP_1) | instid1(VALU_DEP_2)
	v_sub_nc_u32_e32 v13, 0x70, v9
	v_cmp_gt_u32_e32 vcc_lo, 0x71, v9
	v_dual_cndmask_b32 v13, 0, v13 :: v_dual_and_b32 v12, 0x7fffff, v8
	s_delay_alu instid0(VALU_DEP_1) | instskip(SKIP_2) | instid1(VALU_DEP_4)
	v_or_b32_e32 v14, 0x800000, v12
	v_cmp_eq_u32_e32 vcc_lo, 0, v9
	v_add_nc_u32_e32 v9, 0xffffff91, v9
	v_cndmask_b32_e64 v13, v13, 0x6f, vcc_lo
	s_delay_alu instid0(VALU_DEP_4) | instskip(NEXT) | instid1(VALU_DEP_3)
	v_cndmask_b32_e32 v12, v14, v12, vcc_lo
	v_cndmask_b32_e64 v9, v9, 0xffffff92, vcc_lo
	s_delay_alu instid0(VALU_DEP_3) | instskip(NEXT) | instid1(VALU_DEP_3)
	v_lshl_add_u32 v14, 0x200000, v13, -1
	v_lshrrev_b32_e32 v15, v13, v12
	v_lshlrev_b32_e64 v135, v13, 0x100000
	s_delay_alu instid0(VALU_DEP_4) | instskip(NEXT) | instid1(VALU_DEP_4)
	v_add_nc_u32_e32 v13, v13, v9
	v_and_b32_e32 v12, v14, v12
	s_delay_alu instid0(VALU_DEP_4) | instskip(NEXT) | instid1(VALU_DEP_2)
	v_bfe_u32 v134, v15, 21, 1
	v_cmp_eq_u32_e64 s13, v12, v135
	s_delay_alu instid0(VALU_DEP_2) | instskip(NEXT) | instid1(VALU_DEP_1)
	v_add_nc_u32_e32 v14, -1, v134
	v_cndmask_b32_e64 v12, 0, v14, s13
	v_lshrrev_b32_e32 v14, 23, v15
	s_mov_b32 s13, exec_lo
	s_delay_alu instid0(VALU_DEP_2) | instskip(NEXT) | instid1(VALU_DEP_2)
	v_add_nc_u32_e32 v12, v12, v15
	v_xor_b32_e32 v14, 1, v14
	s_delay_alu instid0(VALU_DEP_2) | instskip(NEXT) | instid1(VALU_DEP_1)
	v_and_b32_e32 v9, 0x1fffff, v12
	v_add_nc_u32_e32 v12, v9, v15
                                        ; implicit-def: $vgpr9
	s_delay_alu instid0(VALU_DEP_3)
	v_cmpx_ne_u32_e64 v13, v14
	s_xor_b32 s13, exec_lo, s13
; %bb.2313:                             ;   in Loop: Header=BB4_1985 Depth=4
	s_delay_alu instid0(VALU_DEP_2) | instskip(SKIP_2) | instid1(VALU_DEP_2)
	v_cmp_lt_u32_e32 vcc_lo, 0xffffff, v12
	v_sub_nc_u32_e32 v9, v13, v14
	v_cndmask_b32_e64 v13, 0, 1, vcc_lo
	v_add_co_ci_u32_e32 v9, vcc_lo, 0, v9, vcc_lo
	s_delay_alu instid0(VALU_DEP_2)
	v_lshrrev_b32_e32 v12, v13, v12
; %bb.2314:                             ;   in Loop: Header=BB4_1985 Depth=4
	s_and_not1_saveexec_b32 s13, s13
; %bb.2315:                             ;   in Loop: Header=BB4_1985 Depth=4
	s_delay_alu instid0(VALU_DEP_1)
	v_bfe_u32 v9, v12, 23, 1
; %bb.2316:                             ;   in Loop: Header=BB4_1985 Depth=4
	s_or_b32 exec_lo, exec_lo, s13
	v_lshrrev_b32_e32 v12, 21, v12
	s_delay_alu instid0(VALU_DEP_2) | instskip(SKIP_2) | instid1(VALU_DEP_4)
	v_cmp_gt_i32_e32 vcc_lo, 32, v9
	v_lshrrev_b32_e32 v8, 24, v8
	v_min_i32_e32 v13, 31, v9
	v_cndmask_b32_e32 v12, 3, v12, vcc_lo
	s_delay_alu instid0(VALU_DEP_3) | instskip(NEXT) | instid1(VALU_DEP_3)
	v_and_b32_e32 v8, 0x80, v8
	v_lshlrev_b32_e32 v13, 2, v13
	s_delay_alu instid0(VALU_DEP_3) | instskip(SKIP_1) | instid1(VALU_DEP_2)
	v_and_b32_e32 v14, 3, v12
	v_or_b32_e32 v9, v9, v12
	v_or3_b32 v8, v13, v8, v14
	s_delay_alu instid0(VALU_DEP_2) | instskip(NEXT) | instid1(VALU_DEP_2)
	v_cmp_ne_u32_e32 vcc_lo, 0, v9
	v_cndmask_b32_e32 v147, 0, v8, vcc_lo
.LBB4_2317:                             ;   in Loop: Header=BB4_1985 Depth=4
	s_or_b32 exec_lo, exec_lo, s36
.LBB4_2318:                             ;   in Loop: Header=BB4_1985 Depth=4
	s_delay_alu instid0(SALU_CYCLE_1) | instskip(SKIP_3) | instid1(VALU_DEP_1)
	s_or_b32 exec_lo, exec_lo, s35
	v_lshrrev_b32_e32 v8, 24, v10
	s_mov_b32 s13, 0
	s_mov_b32 s36, exec_lo
                                        ; implicit-def: $sgpr35
	v_cmpx_lt_i16_e32 0x7f, v8
	s_xor_b32 s36, exec_lo, s36
	s_cbranch_execnz .LBB4_2996
; %bb.2319:                             ;   in Loop: Header=BB4_1985 Depth=4
	s_or_saveexec_b32 s36, s36
	v_mov_b32_e32 v9, s35
	s_xor_b32 exec_lo, exec_lo, s36
	s_cbranch_execnz .LBB4_2999
.LBB4_2320:                             ;   in Loop: Header=BB4_1985 Depth=4
	s_or_b32 exec_lo, exec_lo, s36
	s_and_saveexec_b32 s35, s13
	s_cbranch_execz .LBB4_2322
.LBB4_2321:                             ;   in Loop: Header=BB4_1985 Depth=4
	v_bfe_u32 v9, v10, 24, 2
	s_delay_alu instid0(VALU_DEP_1) | instskip(NEXT) | instid1(VALU_DEP_1)
	v_clz_i32_u32_e32 v12, v9
	v_min_u32_e32 v12, 32, v12
	s_delay_alu instid0(VALU_DEP_1) | instskip(SKIP_1) | instid1(VALU_DEP_2)
	v_subrev_nc_u32_e32 v13, 29, v12
	v_sub_nc_u32_e32 v12, 30, v12
	v_lshlrev_b32_e32 v8, v13, v8
	v_bfe_u32 v13, v10, 26, 5
	s_delay_alu instid0(VALU_DEP_2) | instskip(NEXT) | instid1(VALU_DEP_2)
	v_and_b32_e32 v8, 3, v8
	v_cmp_eq_u32_e32 vcc_lo, 0, v13
	v_cndmask_b32_e32 v12, v13, v12, vcc_lo
	s_delay_alu instid0(VALU_DEP_3) | instskip(NEXT) | instid1(VALU_DEP_2)
	v_dual_cndmask_b32 v8, v9, v8 :: v_dual_and_b32 v9, 0x80000000, v10
	v_lshl_add_u32 v10, v12, 23, 0x37800000
	s_delay_alu instid0(VALU_DEP_2) | instskip(NEXT) | instid1(VALU_DEP_1)
	v_lshlrev_b32_e32 v8, 21, v8
	v_or3_b32 v9, v9, v10, v8
.LBB4_2322:                             ;   in Loop: Header=BB4_1985 Depth=4
	s_or_b32 exec_lo, exec_lo, s35
	s_delay_alu instid0(VALU_DEP_1) | instskip(SKIP_2) | instid1(VALU_DEP_2)
	v_mul_f32_e32 v8, s34, v9
	v_mov_b32_e32 v144, 0x80
	s_mov_b32 s35, exec_lo
	v_and_b32_e32 v9, 0x7f800000, v8
	s_delay_alu instid0(VALU_DEP_1)
	v_cmpx_ne_u32_e32 0x7f800000, v9
	s_cbranch_execz .LBB4_2330
; %bb.2323:                             ;   in Loop: Header=BB4_1985 Depth=4
	v_mov_b32_e32 v144, 0
	s_mov_b32 s36, exec_lo
	v_cmpx_ne_u32_e32 0, v8
	s_cbranch_execz .LBB4_2329
; %bb.2324:                             ;   in Loop: Header=BB4_1985 Depth=4
	v_bfe_u32 v9, v8, 23, 8
	v_and_b32_e32 v10, 0x7fffff, v8
	s_delay_alu instid0(VALU_DEP_2) | instskip(SKIP_1) | instid1(VALU_DEP_3)
	v_sub_nc_u32_e32 v12, 0x70, v9
	v_cmp_gt_u32_e32 vcc_lo, 0x71, v9
	v_or_b32_e32 v13, 0x800000, v10
	s_delay_alu instid0(VALU_DEP_3) | instskip(SKIP_2) | instid1(VALU_DEP_3)
	v_cndmask_b32_e32 v12, 0, v12, vcc_lo
	v_cmp_eq_u32_e32 vcc_lo, 0, v9
	v_add_nc_u32_e32 v9, 0xffffff91, v9
	v_cndmask_b32_e64 v12, v12, 0x6f, vcc_lo
	v_cndmask_b32_e32 v10, v13, v10, vcc_lo
	s_delay_alu instid0(VALU_DEP_3) | instskip(NEXT) | instid1(VALU_DEP_3)
	v_cndmask_b32_e64 v9, v9, 0xffffff92, vcc_lo
	v_lshl_add_u32 v13, 0x200000, v12, -1
	s_delay_alu instid0(VALU_DEP_3) | instskip(SKIP_1) | instid1(VALU_DEP_4)
	v_lshrrev_b32_e32 v14, v12, v10
	v_lshlrev_b32_e64 v134, v12, 0x100000
	v_add_nc_u32_e32 v12, v12, v9
	s_delay_alu instid0(VALU_DEP_4) | instskip(NEXT) | instid1(VALU_DEP_4)
	v_and_b32_e32 v10, v13, v10
	v_bfe_u32 v15, v14, 21, 1
	s_delay_alu instid0(VALU_DEP_2) | instskip(NEXT) | instid1(VALU_DEP_2)
	v_cmp_eq_u32_e64 s13, v10, v134
	v_add_nc_u32_e32 v13, -1, v15
	s_delay_alu instid0(VALU_DEP_1) | instskip(SKIP_2) | instid1(VALU_DEP_2)
	v_cndmask_b32_e64 v10, 0, v13, s13
	v_lshrrev_b32_e32 v13, 23, v14
	s_mov_b32 s13, exec_lo
	v_add_nc_u32_e32 v10, v10, v14
	s_delay_alu instid0(VALU_DEP_2) | instskip(NEXT) | instid1(VALU_DEP_2)
	v_xor_b32_e32 v13, 1, v13
	v_and_b32_e32 v9, 0x1fffff, v10
	s_delay_alu instid0(VALU_DEP_1) | instskip(NEXT) | instid1(VALU_DEP_3)
	v_add_nc_u32_e32 v10, v9, v14
                                        ; implicit-def: $vgpr9
	v_cmpx_ne_u32_e64 v12, v13
	s_xor_b32 s13, exec_lo, s13
; %bb.2325:                             ;   in Loop: Header=BB4_1985 Depth=4
	s_delay_alu instid0(VALU_DEP_2) | instskip(SKIP_2) | instid1(VALU_DEP_2)
	v_cmp_lt_u32_e32 vcc_lo, 0xffffff, v10
	v_sub_nc_u32_e32 v9, v12, v13
	v_cndmask_b32_e64 v12, 0, 1, vcc_lo
	v_add_co_ci_u32_e32 v9, vcc_lo, 0, v9, vcc_lo
	s_delay_alu instid0(VALU_DEP_2)
	v_lshrrev_b32_e32 v10, v12, v10
; %bb.2326:                             ;   in Loop: Header=BB4_1985 Depth=4
	s_and_not1_saveexec_b32 s13, s13
; %bb.2327:                             ;   in Loop: Header=BB4_1985 Depth=4
	s_delay_alu instid0(VALU_DEP_1)
	v_bfe_u32 v9, v10, 23, 1
; %bb.2328:                             ;   in Loop: Header=BB4_1985 Depth=4
	s_or_b32 exec_lo, exec_lo, s13
	v_lshrrev_b32_e32 v10, 21, v10
	s_delay_alu instid0(VALU_DEP_2) | instskip(SKIP_2) | instid1(VALU_DEP_4)
	v_cmp_gt_i32_e32 vcc_lo, 32, v9
	v_lshrrev_b32_e32 v8, 24, v8
	v_min_i32_e32 v12, 31, v9
	v_cndmask_b32_e32 v10, 3, v10, vcc_lo
	s_delay_alu instid0(VALU_DEP_3) | instskip(NEXT) | instid1(VALU_DEP_3)
	v_and_b32_e32 v8, 0x80, v8
	v_lshlrev_b32_e32 v12, 2, v12
	s_delay_alu instid0(VALU_DEP_3) | instskip(NEXT) | instid1(VALU_DEP_1)
	v_or_b32_e32 v9, v9, v10
	v_cmp_ne_u32_e32 vcc_lo, 0, v9
	v_and_b32_e32 v13, 3, v10
	s_delay_alu instid0(VALU_DEP_1) | instskip(NEXT) | instid1(VALU_DEP_1)
	v_or3_b32 v8, v12, v8, v13
	v_cndmask_b32_e32 v144, 0, v8, vcc_lo
.LBB4_2329:                             ;   in Loop: Header=BB4_1985 Depth=4
	s_or_b32 exec_lo, exec_lo, s36
.LBB4_2330:                             ;   in Loop: Header=BB4_1985 Depth=4
	s_delay_alu instid0(SALU_CYCLE_1) | instskip(SKIP_3) | instid1(VALU_DEP_1)
	s_or_b32 exec_lo, exec_lo, s35
	v_and_b32_e32 v9, 0xff, v11
	s_mov_b32 s13, 0
	s_mov_b32 s36, exec_lo
                                        ; implicit-def: $sgpr35
	v_cmpx_lt_i16_e32 0x7f, v9
	s_xor_b32 s36, exec_lo, s36
	s_cbranch_execnz .LBB4_3000
; %bb.2331:                             ;   in Loop: Header=BB4_1985 Depth=4
	s_or_saveexec_b32 s36, s36
	v_mov_b32_e32 v8, s35
	s_xor_b32 exec_lo, exec_lo, s36
	s_cbranch_execnz .LBB4_3003
.LBB4_2332:                             ;   in Loop: Header=BB4_1985 Depth=4
	s_or_b32 exec_lo, exec_lo, s36
	s_and_saveexec_b32 s35, s13
	s_cbranch_execz .LBB4_2334
.LBB4_2333:                             ;   in Loop: Header=BB4_1985 Depth=4
	v_bfe_u32 v12, v11, 2, 5
	s_delay_alu instid0(VALU_DEP_1) | instskip(SKIP_1) | instid1(VALU_DEP_1)
	v_cmp_eq_u32_e32 vcc_lo, 0, v12
	v_and_b32_e32 v8, 3, v11
	v_clz_i32_u32_e32 v9, v8
	s_delay_alu instid0(VALU_DEP_1) | instskip(NEXT) | instid1(VALU_DEP_1)
	v_min_u32_e32 v9, 32, v9
	v_subrev_nc_u32_e32 v10, 29, v9
	v_sub_nc_u32_e32 v9, 30, v9
	s_delay_alu instid0(VALU_DEP_1) | instskip(NEXT) | instid1(VALU_DEP_1)
	v_dual_cndmask_b32 v9, v12, v9 :: v_dual_lshlrev_b32 v10, v10, v11
	v_and_b32_e32 v10, 3, v10
	v_lshlrev_b32_e32 v13, 24, v11
	s_delay_alu instid0(VALU_DEP_3) | instskip(NEXT) | instid1(VALU_DEP_3)
	v_lshl_add_u32 v9, v9, 23, 0x37800000
	v_cndmask_b32_e32 v8, v8, v10, vcc_lo
	s_delay_alu instid0(VALU_DEP_3) | instskip(NEXT) | instid1(VALU_DEP_2)
	v_and_b32_e32 v10, 0x80000000, v13
	v_lshlrev_b32_e32 v8, 21, v8
	s_delay_alu instid0(VALU_DEP_1)
	v_or3_b32 v8, v10, v9, v8
.LBB4_2334:                             ;   in Loop: Header=BB4_1985 Depth=4
	s_or_b32 exec_lo, exec_lo, s35
	s_delay_alu instid0(VALU_DEP_1) | instskip(SKIP_1) | instid1(VALU_DEP_1)
	v_dual_mul_f32 v8, s34, v8 :: v_dual_mov_b32 v135, 0x80
	s_mov_b32 s35, exec_lo
	v_and_b32_e32 v9, 0x7f800000, v8
	s_delay_alu instid0(VALU_DEP_1)
	v_cmpx_ne_u32_e32 0x7f800000, v9
	s_cbranch_execz .LBB4_2342
; %bb.2335:                             ;   in Loop: Header=BB4_1985 Depth=4
	v_mov_b32_e32 v135, 0
	s_mov_b32 s36, exec_lo
	v_cmpx_ne_u32_e32 0, v8
	s_cbranch_execz .LBB4_2341
; %bb.2336:                             ;   in Loop: Header=BB4_1985 Depth=4
	v_bfe_u32 v9, v8, 23, 8
	v_and_b32_e32 v10, 0x7fffff, v8
	s_delay_alu instid0(VALU_DEP_2) | instskip(SKIP_1) | instid1(VALU_DEP_3)
	v_sub_nc_u32_e32 v12, 0x70, v9
	v_cmp_gt_u32_e32 vcc_lo, 0x71, v9
	v_or_b32_e32 v13, 0x800000, v10
	s_delay_alu instid0(VALU_DEP_3) | instskip(SKIP_2) | instid1(VALU_DEP_3)
	v_cndmask_b32_e32 v12, 0, v12, vcc_lo
	v_cmp_eq_u32_e32 vcc_lo, 0, v9
	v_add_nc_u32_e32 v9, 0xffffff91, v9
	v_cndmask_b32_e64 v12, v12, 0x6f, vcc_lo
	v_cndmask_b32_e32 v10, v13, v10, vcc_lo
	s_delay_alu instid0(VALU_DEP_3) | instskip(NEXT) | instid1(VALU_DEP_3)
	v_cndmask_b32_e64 v9, v9, 0xffffff92, vcc_lo
	v_lshl_add_u32 v13, 0x200000, v12, -1
	s_delay_alu instid0(VALU_DEP_3) | instskip(SKIP_1) | instid1(VALU_DEP_4)
	v_lshrrev_b32_e32 v14, v12, v10
	v_lshlrev_b32_e64 v134, v12, 0x100000
	v_add_nc_u32_e32 v12, v12, v9
	s_delay_alu instid0(VALU_DEP_4) | instskip(NEXT) | instid1(VALU_DEP_4)
	v_and_b32_e32 v10, v13, v10
	v_bfe_u32 v15, v14, 21, 1
	s_delay_alu instid0(VALU_DEP_2) | instskip(NEXT) | instid1(VALU_DEP_2)
	v_cmp_eq_u32_e64 s13, v10, v134
	v_add_nc_u32_e32 v13, -1, v15
	s_delay_alu instid0(VALU_DEP_1) | instskip(SKIP_2) | instid1(VALU_DEP_2)
	v_cndmask_b32_e64 v10, 0, v13, s13
	v_lshrrev_b32_e32 v13, 23, v14
	s_mov_b32 s13, exec_lo
	v_add_nc_u32_e32 v10, v10, v14
	s_delay_alu instid0(VALU_DEP_2) | instskip(NEXT) | instid1(VALU_DEP_2)
	v_xor_b32_e32 v13, 1, v13
	v_and_b32_e32 v9, 0x1fffff, v10
	s_delay_alu instid0(VALU_DEP_1) | instskip(NEXT) | instid1(VALU_DEP_3)
	v_add_nc_u32_e32 v10, v9, v14
                                        ; implicit-def: $vgpr9
	v_cmpx_ne_u32_e64 v12, v13
	s_xor_b32 s13, exec_lo, s13
; %bb.2337:                             ;   in Loop: Header=BB4_1985 Depth=4
	s_delay_alu instid0(VALU_DEP_2) | instskip(SKIP_2) | instid1(VALU_DEP_2)
	v_cmp_lt_u32_e32 vcc_lo, 0xffffff, v10
	v_sub_nc_u32_e32 v9, v12, v13
	v_cndmask_b32_e64 v12, 0, 1, vcc_lo
	v_add_co_ci_u32_e32 v9, vcc_lo, 0, v9, vcc_lo
	s_delay_alu instid0(VALU_DEP_2)
	v_lshrrev_b32_e32 v10, v12, v10
; %bb.2338:                             ;   in Loop: Header=BB4_1985 Depth=4
	s_and_not1_saveexec_b32 s13, s13
; %bb.2339:                             ;   in Loop: Header=BB4_1985 Depth=4
	s_delay_alu instid0(VALU_DEP_1)
	v_bfe_u32 v9, v10, 23, 1
; %bb.2340:                             ;   in Loop: Header=BB4_1985 Depth=4
	s_or_b32 exec_lo, exec_lo, s13
	v_lshrrev_b32_e32 v10, 21, v10
	s_delay_alu instid0(VALU_DEP_2) | instskip(SKIP_2) | instid1(VALU_DEP_3)
	v_min_i32_e32 v12, 31, v9
	v_cmp_gt_i32_e32 vcc_lo, 32, v9
	v_lshrrev_b32_e32 v8, 24, v8
	v_lshlrev_b32_e32 v12, 2, v12
	v_cndmask_b32_e32 v10, 3, v10, vcc_lo
	s_delay_alu instid0(VALU_DEP_3) | instskip(NEXT) | instid1(VALU_DEP_3)
	v_and_b32_e32 v8, 0x80, v8
	v_and_b32_e32 v12, 0xfc, v12
	s_delay_alu instid0(VALU_DEP_3) | instskip(SKIP_1) | instid1(VALU_DEP_2)
	v_and_b32_e32 v13, 3, v10
	v_or_b32_e32 v9, v9, v10
	v_or3_b32 v8, v12, v8, v13
	s_delay_alu instid0(VALU_DEP_2) | instskip(NEXT) | instid1(VALU_DEP_2)
	v_cmp_ne_u32_e32 vcc_lo, 0, v9
	v_cndmask_b32_e32 v135, 0, v8, vcc_lo
.LBB4_2341:                             ;   in Loop: Header=BB4_1985 Depth=4
	s_or_b32 exec_lo, exec_lo, s36
.LBB4_2342:                             ;   in Loop: Header=BB4_1985 Depth=4
	s_delay_alu instid0(SALU_CYCLE_1) | instskip(SKIP_3) | instid1(VALU_DEP_1)
	s_or_b32 exec_lo, exec_lo, s35
	v_lshrrev_b16 v8, 8, v11
	s_mov_b32 s13, 0
	s_mov_b32 s36, exec_lo
                                        ; implicit-def: $sgpr35
	v_cmpx_lt_i16_e32 0x7f, v8
	s_xor_b32 s36, exec_lo, s36
	s_cbranch_execnz .LBB4_3004
; %bb.2343:                             ;   in Loop: Header=BB4_1985 Depth=4
	s_or_saveexec_b32 s36, s36
	v_mov_b32_e32 v9, s35
	s_xor_b32 exec_lo, exec_lo, s36
	s_cbranch_execnz .LBB4_3007
.LBB4_2344:                             ;   in Loop: Header=BB4_1985 Depth=4
	s_or_b32 exec_lo, exec_lo, s36
	s_and_saveexec_b32 s35, s13
	s_cbranch_execz .LBB4_2346
.LBB4_2345:                             ;   in Loop: Header=BB4_1985 Depth=4
	v_and_b32_e32 v9, 0xffff, v8
	v_lshlrev_b32_e32 v8, 24, v8
	s_delay_alu instid0(VALU_DEP_2) | instskip(NEXT) | instid1(VALU_DEP_2)
	v_and_b32_e32 v10, 3, v9
	v_and_b32_e32 v8, 0x80000000, v8
	s_delay_alu instid0(VALU_DEP_2) | instskip(NEXT) | instid1(VALU_DEP_1)
	v_clz_i32_u32_e32 v12, v10
	v_min_u32_e32 v12, 32, v12
	s_delay_alu instid0(VALU_DEP_1) | instskip(SKIP_1) | instid1(VALU_DEP_2)
	v_subrev_nc_u32_e32 v13, 29, v12
	v_sub_nc_u32_e32 v12, 30, v12
	v_lshlrev_b32_e32 v13, v13, v9
	v_bfe_u32 v9, v9, 2, 5
	s_delay_alu instid0(VALU_DEP_2) | instskip(NEXT) | instid1(VALU_DEP_2)
	v_and_b32_e32 v13, 3, v13
	v_cmp_eq_u32_e32 vcc_lo, 0, v9
	s_delay_alu instid0(VALU_DEP_2) | instskip(NEXT) | instid1(VALU_DEP_1)
	v_dual_cndmask_b32 v9, v9, v12 :: v_dual_cndmask_b32 v10, v10, v13
	v_lshl_add_u32 v9, v9, 23, 0x37800000
	s_delay_alu instid0(VALU_DEP_2) | instskip(NEXT) | instid1(VALU_DEP_1)
	v_lshlrev_b32_e32 v10, 21, v10
	v_or3_b32 v9, v8, v9, v10
.LBB4_2346:                             ;   in Loop: Header=BB4_1985 Depth=4
	s_or_b32 exec_lo, exec_lo, s35
	s_delay_alu instid0(VALU_DEP_1) | instskip(SKIP_1) | instid1(VALU_DEP_1)
	v_dual_mul_f32 v8, s34, v9 :: v_dual_mov_b32 v149, 0x8000
	s_mov_b32 s35, exec_lo
	v_and_b32_e32 v9, 0x7f800000, v8
	s_delay_alu instid0(VALU_DEP_1)
	v_cmpx_ne_u32_e32 0x7f800000, v9
	s_cbranch_execz .LBB4_2354
; %bb.2347:                             ;   in Loop: Header=BB4_1985 Depth=4
	v_mov_b32_e32 v149, 0
	s_mov_b32 s36, exec_lo
	v_cmpx_ne_u32_e32 0, v8
	s_cbranch_execz .LBB4_2353
; %bb.2348:                             ;   in Loop: Header=BB4_1985 Depth=4
	v_bfe_u32 v9, v8, 23, 8
	v_and_b32_e32 v10, 0x7fffff, v8
	s_delay_alu instid0(VALU_DEP_2) | instskip(SKIP_1) | instid1(VALU_DEP_3)
	v_sub_nc_u32_e32 v12, 0x70, v9
	v_cmp_gt_u32_e32 vcc_lo, 0x71, v9
	v_or_b32_e32 v13, 0x800000, v10
	s_delay_alu instid0(VALU_DEP_3) | instskip(SKIP_2) | instid1(VALU_DEP_3)
	v_cndmask_b32_e32 v12, 0, v12, vcc_lo
	v_cmp_eq_u32_e32 vcc_lo, 0, v9
	v_add_nc_u32_e32 v9, 0xffffff91, v9
	v_cndmask_b32_e64 v12, v12, 0x6f, vcc_lo
	v_cndmask_b32_e32 v10, v13, v10, vcc_lo
	s_delay_alu instid0(VALU_DEP_3) | instskip(NEXT) | instid1(VALU_DEP_3)
	v_cndmask_b32_e64 v9, v9, 0xffffff92, vcc_lo
	v_lshl_add_u32 v13, 0x200000, v12, -1
	s_delay_alu instid0(VALU_DEP_3) | instskip(SKIP_1) | instid1(VALU_DEP_4)
	v_lshrrev_b32_e32 v14, v12, v10
	v_lshlrev_b32_e64 v134, v12, 0x100000
	v_add_nc_u32_e32 v12, v12, v9
	s_delay_alu instid0(VALU_DEP_4) | instskip(NEXT) | instid1(VALU_DEP_4)
	v_and_b32_e32 v10, v13, v10
	v_bfe_u32 v15, v14, 21, 1
	s_delay_alu instid0(VALU_DEP_2) | instskip(NEXT) | instid1(VALU_DEP_2)
	v_cmp_eq_u32_e64 s13, v10, v134
	v_add_nc_u32_e32 v13, -1, v15
	s_delay_alu instid0(VALU_DEP_1) | instskip(SKIP_2) | instid1(VALU_DEP_2)
	v_cndmask_b32_e64 v10, 0, v13, s13
	v_lshrrev_b32_e32 v13, 23, v14
	s_mov_b32 s13, exec_lo
	v_add_nc_u32_e32 v10, v10, v14
	s_delay_alu instid0(VALU_DEP_2) | instskip(NEXT) | instid1(VALU_DEP_2)
	v_xor_b32_e32 v13, 1, v13
	v_and_b32_e32 v9, 0x1fffff, v10
	s_delay_alu instid0(VALU_DEP_1) | instskip(NEXT) | instid1(VALU_DEP_3)
	v_add_nc_u32_e32 v10, v9, v14
                                        ; implicit-def: $vgpr9
	v_cmpx_ne_u32_e64 v12, v13
	s_xor_b32 s13, exec_lo, s13
; %bb.2349:                             ;   in Loop: Header=BB4_1985 Depth=4
	s_delay_alu instid0(VALU_DEP_2) | instskip(SKIP_2) | instid1(VALU_DEP_2)
	v_cmp_lt_u32_e32 vcc_lo, 0xffffff, v10
	v_sub_nc_u32_e32 v9, v12, v13
	v_cndmask_b32_e64 v12, 0, 1, vcc_lo
	v_add_co_ci_u32_e32 v9, vcc_lo, 0, v9, vcc_lo
	s_delay_alu instid0(VALU_DEP_2)
	v_lshrrev_b32_e32 v10, v12, v10
; %bb.2350:                             ;   in Loop: Header=BB4_1985 Depth=4
	s_and_not1_saveexec_b32 s13, s13
; %bb.2351:                             ;   in Loop: Header=BB4_1985 Depth=4
	s_delay_alu instid0(VALU_DEP_1)
	v_bfe_u32 v9, v10, 23, 1
; %bb.2352:                             ;   in Loop: Header=BB4_1985 Depth=4
	s_or_b32 exec_lo, exec_lo, s13
	v_lshrrev_b32_e32 v10, 21, v10
	s_delay_alu instid0(VALU_DEP_2) | instskip(SKIP_2) | instid1(VALU_DEP_3)
	v_min_i32_e32 v12, 31, v9
	v_cmp_gt_i32_e32 vcc_lo, 32, v9
	v_lshrrev_b32_e32 v8, 24, v8
	v_lshlrev_b32_e32 v12, 2, v12
	v_cndmask_b32_e32 v10, 3, v10, vcc_lo
	s_delay_alu instid0(VALU_DEP_3) | instskip(NEXT) | instid1(VALU_DEP_3)
	v_and_b32_e32 v8, 0x80, v8
	v_and_b32_e32 v12, 0xfc, v12
	s_delay_alu instid0(VALU_DEP_3) | instskip(SKIP_1) | instid1(VALU_DEP_2)
	v_and_b32_e32 v13, 3, v10
	v_or_b32_e32 v9, v9, v10
	v_or3_b32 v8, v8, v12, v13
	s_delay_alu instid0(VALU_DEP_2) | instskip(NEXT) | instid1(VALU_DEP_2)
	v_cmp_ne_u32_e32 vcc_lo, 0, v9
	v_lshlrev_b32_e32 v8, 8, v8
	s_delay_alu instid0(VALU_DEP_1)
	v_cndmask_b32_e32 v149, 0, v8, vcc_lo
.LBB4_2353:                             ;   in Loop: Header=BB4_1985 Depth=4
	s_or_b32 exec_lo, exec_lo, s36
.LBB4_2354:                             ;   in Loop: Header=BB4_1985 Depth=4
	s_delay_alu instid0(SALU_CYCLE_1) | instskip(SKIP_3) | instid1(VALU_DEP_1)
	s_or_b32 exec_lo, exec_lo, s35
	v_lshrrev_b32_e32 v8, 16, v11
	s_mov_b32 s13, 0
	s_mov_b32 s36, exec_lo
                                        ; implicit-def: $sgpr35
	v_and_b32_e32 v10, 0xff, v8
	s_delay_alu instid0(VALU_DEP_1)
	v_cmpx_lt_i16_e32 0x7f, v10
	s_xor_b32 s36, exec_lo, s36
	s_cbranch_execnz .LBB4_3008
; %bb.2355:                             ;   in Loop: Header=BB4_1985 Depth=4
	s_or_saveexec_b32 s36, s36
	v_mov_b32_e32 v9, s35
	s_xor_b32 exec_lo, exec_lo, s36
	s_cbranch_execnz .LBB4_3011
.LBB4_2356:                             ;   in Loop: Header=BB4_1985 Depth=4
	s_or_b32 exec_lo, exec_lo, s36
	s_and_saveexec_b32 s35, s13
	s_cbranch_execz .LBB4_2358
.LBB4_2357:                             ;   in Loop: Header=BB4_1985 Depth=4
	v_bfe_u32 v9, v11, 16, 2
	s_delay_alu instid0(VALU_DEP_1) | instskip(NEXT) | instid1(VALU_DEP_1)
	v_clz_i32_u32_e32 v10, v9
	v_min_u32_e32 v10, 32, v10
	s_delay_alu instid0(VALU_DEP_1) | instskip(SKIP_1) | instid1(VALU_DEP_2)
	v_subrev_nc_u32_e32 v12, 29, v10
	v_sub_nc_u32_e32 v10, 30, v10
	v_lshlrev_b32_e32 v8, v12, v8
	v_bfe_u32 v12, v11, 18, 5
	s_delay_alu instid0(VALU_DEP_2) | instskip(NEXT) | instid1(VALU_DEP_2)
	v_and_b32_e32 v8, 3, v8
	v_cmp_eq_u32_e32 vcc_lo, 0, v12
	v_dual_cndmask_b32 v10, v12, v10 :: v_dual_lshlrev_b32 v13, 8, v11
	s_delay_alu instid0(VALU_DEP_1) | instskip(NEXT) | instid1(VALU_DEP_2)
	v_dual_cndmask_b32 v8, v9, v8 :: v_dual_and_b32 v9, 0x80000000, v13
	v_lshl_add_u32 v10, v10, 23, 0x37800000
	s_delay_alu instid0(VALU_DEP_2) | instskip(NEXT) | instid1(VALU_DEP_1)
	v_lshlrev_b32_e32 v8, 21, v8
	v_or3_b32 v9, v9, v10, v8
.LBB4_2358:                             ;   in Loop: Header=BB4_1985 Depth=4
	s_or_b32 exec_lo, exec_lo, s35
	s_delay_alu instid0(VALU_DEP_1) | instskip(SKIP_2) | instid1(VALU_DEP_2)
	v_mul_f32_e32 v8, s34, v9
	v_mov_b32_e32 v134, 0x80
	s_mov_b32 s35, exec_lo
	v_and_b32_e32 v9, 0x7f800000, v8
	s_delay_alu instid0(VALU_DEP_1)
	v_cmpx_ne_u32_e32 0x7f800000, v9
	s_cbranch_execz .LBB4_2366
; %bb.2359:                             ;   in Loop: Header=BB4_1985 Depth=4
	v_mov_b32_e32 v134, 0
	s_mov_b32 s36, exec_lo
	v_cmpx_ne_u32_e32 0, v8
	s_cbranch_execz .LBB4_2365
; %bb.2360:                             ;   in Loop: Header=BB4_1985 Depth=4
	v_bfe_u32 v9, v8, 23, 8
	v_and_b32_e32 v10, 0x7fffff, v8
	s_delay_alu instid0(VALU_DEP_2) | instskip(SKIP_1) | instid1(VALU_DEP_3)
	v_sub_nc_u32_e32 v12, 0x70, v9
	v_cmp_gt_u32_e32 vcc_lo, 0x71, v9
	v_or_b32_e32 v13, 0x800000, v10
	s_delay_alu instid0(VALU_DEP_3) | instskip(SKIP_2) | instid1(VALU_DEP_3)
	v_cndmask_b32_e32 v12, 0, v12, vcc_lo
	v_cmp_eq_u32_e32 vcc_lo, 0, v9
	v_add_nc_u32_e32 v9, 0xffffff91, v9
	v_cndmask_b32_e64 v12, v12, 0x6f, vcc_lo
	v_cndmask_b32_e32 v10, v13, v10, vcc_lo
	s_delay_alu instid0(VALU_DEP_3) | instskip(NEXT) | instid1(VALU_DEP_3)
	v_cndmask_b32_e64 v9, v9, 0xffffff92, vcc_lo
	v_lshl_add_u32 v13, 0x200000, v12, -1
	s_delay_alu instid0(VALU_DEP_3) | instskip(SKIP_1) | instid1(VALU_DEP_4)
	v_lshrrev_b32_e32 v14, v12, v10
	v_lshlrev_b32_e64 v134, v12, 0x100000
	v_add_nc_u32_e32 v12, v12, v9
	s_delay_alu instid0(VALU_DEP_4) | instskip(NEXT) | instid1(VALU_DEP_4)
	v_and_b32_e32 v10, v13, v10
	v_bfe_u32 v15, v14, 21, 1
	s_delay_alu instid0(VALU_DEP_2) | instskip(NEXT) | instid1(VALU_DEP_2)
	v_cmp_eq_u32_e64 s13, v10, v134
	v_add_nc_u32_e32 v13, -1, v15
	s_delay_alu instid0(VALU_DEP_1) | instskip(SKIP_2) | instid1(VALU_DEP_2)
	v_cndmask_b32_e64 v10, 0, v13, s13
	v_lshrrev_b32_e32 v13, 23, v14
	s_mov_b32 s13, exec_lo
	v_add_nc_u32_e32 v10, v10, v14
	s_delay_alu instid0(VALU_DEP_2) | instskip(NEXT) | instid1(VALU_DEP_2)
	v_xor_b32_e32 v13, 1, v13
	v_and_b32_e32 v9, 0x1fffff, v10
	s_delay_alu instid0(VALU_DEP_1) | instskip(NEXT) | instid1(VALU_DEP_3)
	v_add_nc_u32_e32 v10, v9, v14
                                        ; implicit-def: $vgpr9
	v_cmpx_ne_u32_e64 v12, v13
	s_xor_b32 s13, exec_lo, s13
; %bb.2361:                             ;   in Loop: Header=BB4_1985 Depth=4
	s_delay_alu instid0(VALU_DEP_2) | instskip(SKIP_2) | instid1(VALU_DEP_2)
	v_cmp_lt_u32_e32 vcc_lo, 0xffffff, v10
	v_sub_nc_u32_e32 v9, v12, v13
	v_cndmask_b32_e64 v12, 0, 1, vcc_lo
	v_add_co_ci_u32_e32 v9, vcc_lo, 0, v9, vcc_lo
	s_delay_alu instid0(VALU_DEP_2)
	v_lshrrev_b32_e32 v10, v12, v10
; %bb.2362:                             ;   in Loop: Header=BB4_1985 Depth=4
	s_and_not1_saveexec_b32 s13, s13
; %bb.2363:                             ;   in Loop: Header=BB4_1985 Depth=4
	s_delay_alu instid0(VALU_DEP_1)
	v_bfe_u32 v9, v10, 23, 1
; %bb.2364:                             ;   in Loop: Header=BB4_1985 Depth=4
	s_or_b32 exec_lo, exec_lo, s13
	v_lshrrev_b32_e32 v10, 21, v10
	s_delay_alu instid0(VALU_DEP_2) | instskip(SKIP_2) | instid1(VALU_DEP_4)
	v_cmp_gt_i32_e32 vcc_lo, 32, v9
	v_min_i32_e32 v12, 31, v9
	v_lshrrev_b32_e32 v8, 24, v8
	v_cndmask_b32_e32 v10, 3, v10, vcc_lo
	s_delay_alu instid0(VALU_DEP_3) | instskip(NEXT) | instid1(VALU_DEP_3)
	v_lshlrev_b32_e32 v12, 2, v12
	v_and_b32_e32 v8, 0x80, v8
	s_delay_alu instid0(VALU_DEP_3) | instskip(NEXT) | instid1(VALU_DEP_3)
	v_or_b32_e32 v9, v9, v10
	v_and_b32_e32 v12, 0xfc, v12
	s_delay_alu instid0(VALU_DEP_2) | instskip(SKIP_1) | instid1(VALU_DEP_1)
	v_cmp_ne_u32_e32 vcc_lo, 0, v9
	v_and_b32_e32 v13, 3, v10
	v_or3_b32 v8, v12, v8, v13
	s_delay_alu instid0(VALU_DEP_1)
	v_cndmask_b32_e32 v134, 0, v8, vcc_lo
.LBB4_2365:                             ;   in Loop: Header=BB4_1985 Depth=4
	s_or_b32 exec_lo, exec_lo, s36
.LBB4_2366:                             ;   in Loop: Header=BB4_1985 Depth=4
	s_delay_alu instid0(SALU_CYCLE_1) | instskip(SKIP_3) | instid1(VALU_DEP_1)
	s_or_b32 exec_lo, exec_lo, s35
	v_lshrrev_b32_e32 v8, 24, v11
	s_mov_b32 s13, 0
	s_mov_b32 s36, exec_lo
                                        ; implicit-def: $sgpr35
	v_cmpx_lt_i16_e32 0x7f, v8
	s_xor_b32 s36, exec_lo, s36
	s_cbranch_execnz .LBB4_3012
; %bb.2367:                             ;   in Loop: Header=BB4_1985 Depth=4
	s_or_saveexec_b32 s36, s36
	v_mov_b32_e32 v9, s35
	s_xor_b32 exec_lo, exec_lo, s36
	s_cbranch_execnz .LBB4_3015
.LBB4_2368:                             ;   in Loop: Header=BB4_1985 Depth=4
	s_or_b32 exec_lo, exec_lo, s36
	s_and_saveexec_b32 s35, s13
	s_cbranch_execz .LBB4_2370
.LBB4_2369:                             ;   in Loop: Header=BB4_1985 Depth=4
	v_bfe_u32 v9, v11, 24, 2
	s_delay_alu instid0(VALU_DEP_1) | instskip(NEXT) | instid1(VALU_DEP_1)
	v_clz_i32_u32_e32 v10, v9
	v_min_u32_e32 v10, 32, v10
	s_delay_alu instid0(VALU_DEP_1) | instskip(SKIP_1) | instid1(VALU_DEP_2)
	v_subrev_nc_u32_e32 v12, 29, v10
	v_sub_nc_u32_e32 v10, 30, v10
	v_lshlrev_b32_e32 v8, v12, v8
	v_bfe_u32 v12, v11, 26, 5
	s_delay_alu instid0(VALU_DEP_2) | instskip(NEXT) | instid1(VALU_DEP_2)
	v_and_b32_e32 v8, 3, v8
	v_cmp_eq_u32_e32 vcc_lo, 0, v12
	v_cndmask_b32_e32 v10, v12, v10, vcc_lo
	s_delay_alu instid0(VALU_DEP_3) | instskip(NEXT) | instid1(VALU_DEP_2)
	v_dual_cndmask_b32 v8, v9, v8 :: v_dual_and_b32 v9, 0x80000000, v11
	v_lshl_add_u32 v10, v10, 23, 0x37800000
	s_delay_alu instid0(VALU_DEP_2) | instskip(NEXT) | instid1(VALU_DEP_1)
	v_lshlrev_b32_e32 v8, 21, v8
	v_or3_b32 v9, v9, v10, v8
.LBB4_2370:                             ;   in Loop: Header=BB4_1985 Depth=4
	s_or_b32 exec_lo, exec_lo, s35
	s_delay_alu instid0(VALU_DEP_1) | instskip(SKIP_2) | instid1(VALU_DEP_2)
	v_mul_f32_e32 v8, s34, v9
	v_mov_b32_e32 v146, 0x8000
	s_mov_b32 s34, exec_lo
	v_and_b32_e32 v9, 0x7f800000, v8
	s_delay_alu instid0(VALU_DEP_1)
	v_cmpx_ne_u32_e32 0x7f800000, v9
	s_cbranch_execz .LBB4_2378
; %bb.2371:                             ;   in Loop: Header=BB4_1985 Depth=4
	v_mov_b32_e32 v146, 0
	s_mov_b32 s35, exec_lo
	v_cmpx_ne_u32_e32 0, v8
	s_cbranch_execz .LBB4_2377
; %bb.2372:                             ;   in Loop: Header=BB4_1985 Depth=4
	v_bfe_u32 v9, v8, 23, 8
	s_delay_alu instid0(VALU_DEP_1) | instskip(SKIP_1) | instid1(VALU_DEP_2)
	v_sub_nc_u32_e32 v11, 0x70, v9
	v_cmp_gt_u32_e32 vcc_lo, 0x71, v9
	v_dual_cndmask_b32 v11, 0, v11 :: v_dual_and_b32 v10, 0x7fffff, v8
	s_delay_alu instid0(VALU_DEP_1) | instskip(SKIP_2) | instid1(VALU_DEP_4)
	v_or_b32_e32 v12, 0x800000, v10
	v_cmp_eq_u32_e32 vcc_lo, 0, v9
	v_add_nc_u32_e32 v9, 0xffffff91, v9
	v_cndmask_b32_e64 v11, v11, 0x6f, vcc_lo
	s_delay_alu instid0(VALU_DEP_4) | instskip(NEXT) | instid1(VALU_DEP_3)
	v_cndmask_b32_e32 v10, v12, v10, vcc_lo
	v_cndmask_b32_e64 v9, v9, 0xffffff92, vcc_lo
	s_delay_alu instid0(VALU_DEP_3) | instskip(NEXT) | instid1(VALU_DEP_3)
	v_lshl_add_u32 v12, 0x200000, v11, -1
	v_lshrrev_b32_e32 v13, v11, v10
	v_lshlrev_b32_e64 v15, v11, 0x100000
	s_delay_alu instid0(VALU_DEP_4) | instskip(NEXT) | instid1(VALU_DEP_4)
	v_add_nc_u32_e32 v11, v11, v9
	v_and_b32_e32 v10, v12, v10
	s_delay_alu instid0(VALU_DEP_4) | instskip(NEXT) | instid1(VALU_DEP_2)
	v_bfe_u32 v14, v13, 21, 1
	v_cmp_eq_u32_e64 s13, v10, v15
	s_delay_alu instid0(VALU_DEP_2) | instskip(NEXT) | instid1(VALU_DEP_1)
	v_add_nc_u32_e32 v12, -1, v14
	v_cndmask_b32_e64 v10, 0, v12, s13
	v_lshrrev_b32_e32 v12, 23, v13
	s_mov_b32 s13, exec_lo
	s_delay_alu instid0(VALU_DEP_2) | instskip(NEXT) | instid1(VALU_DEP_2)
	v_add_nc_u32_e32 v10, v10, v13
	v_xor_b32_e32 v12, 1, v12
	s_delay_alu instid0(VALU_DEP_2) | instskip(NEXT) | instid1(VALU_DEP_1)
	v_and_b32_e32 v9, 0x1fffff, v10
	v_add_nc_u32_e32 v10, v9, v13
                                        ; implicit-def: $vgpr9
	s_delay_alu instid0(VALU_DEP_3)
	v_cmpx_ne_u32_e64 v11, v12
	s_xor_b32 s13, exec_lo, s13
; %bb.2373:                             ;   in Loop: Header=BB4_1985 Depth=4
	s_delay_alu instid0(VALU_DEP_2) | instskip(SKIP_2) | instid1(VALU_DEP_2)
	v_cmp_lt_u32_e32 vcc_lo, 0xffffff, v10
	v_sub_nc_u32_e32 v9, v11, v12
	v_cndmask_b32_e64 v11, 0, 1, vcc_lo
	v_add_co_ci_u32_e32 v9, vcc_lo, 0, v9, vcc_lo
	s_delay_alu instid0(VALU_DEP_2)
	v_lshrrev_b32_e32 v10, v11, v10
; %bb.2374:                             ;   in Loop: Header=BB4_1985 Depth=4
	s_and_not1_saveexec_b32 s13, s13
; %bb.2375:                             ;   in Loop: Header=BB4_1985 Depth=4
	s_delay_alu instid0(VALU_DEP_1)
	v_bfe_u32 v9, v10, 23, 1
; %bb.2376:                             ;   in Loop: Header=BB4_1985 Depth=4
	s_or_b32 exec_lo, exec_lo, s13
	v_lshrrev_b32_e32 v10, 21, v10
	s_delay_alu instid0(VALU_DEP_2) | instskip(SKIP_2) | instid1(VALU_DEP_2)
	v_cmp_gt_i32_e32 vcc_lo, 32, v9
	v_min_i32_e32 v11, 31, v9
	v_lshrrev_b32_e32 v8, 24, v8
	v_dual_cndmask_b32 v10, 3, v10 :: v_dual_lshlrev_b32 v11, 2, v11
	s_delay_alu instid0(VALU_DEP_2) | instskip(NEXT) | instid1(VALU_DEP_2)
	v_and_b32_e32 v8, 0x80, v8
	v_or_b32_e32 v9, v9, v10
	v_and_b32_e32 v12, 3, v10
	s_delay_alu instid0(VALU_DEP_2) | instskip(SKIP_1) | instid1(VALU_DEP_1)
	v_cmp_ne_u32_e32 vcc_lo, 0, v9
	v_and_b32_e32 v11, 0xfc, v11
	v_or3_b32 v8, v8, v11, v12
	s_delay_alu instid0(VALU_DEP_1) | instskip(NEXT) | instid1(VALU_DEP_1)
	v_lshlrev_b32_e32 v8, 8, v8
	v_cndmask_b32_e32 v146, 0, v8, vcc_lo
.LBB4_2377:                             ;   in Loop: Header=BB4_1985 Depth=4
	s_or_b32 exec_lo, exec_lo, s35
.LBB4_2378:                             ;   in Loop: Header=BB4_1985 Depth=4
	s_delay_alu instid0(SALU_CYCLE_1)
	s_or_b32 exec_lo, exec_lo, s34
	s_clause 0x1
	global_load_b128 v[12:15], v[66:67], off slc dlc
	global_load_b128 v[8:11], v[66:67], off offset:512 slc dlc
	v_and_b32_e32 v46, 0xff, v133
	s_mov_b32 s13, 0
	s_mov_b32 s35, exec_lo
                                        ; implicit-def: $sgpr34
	s_delay_alu instid0(VALU_DEP_1)
	v_cmpx_lt_i16_e32 0x7f, v46
	s_xor_b32 s35, exec_lo, s35
	s_cbranch_execnz .LBB4_3016
; %bb.2379:                             ;   in Loop: Header=BB4_1985 Depth=4
	s_or_saveexec_b32 s35, s35
	v_mov_b32_e32 v45, s34
	s_xor_b32 exec_lo, exec_lo, s35
	s_cbranch_execnz .LBB4_3019
.LBB4_2380:                             ;   in Loop: Header=BB4_1985 Depth=4
	s_or_b32 exec_lo, exec_lo, s35
	s_and_saveexec_b32 s34, s13
	s_cbranch_execz .LBB4_2382
.LBB4_2381:                             ;   in Loop: Header=BB4_1985 Depth=4
	v_bfe_u32 v56, v133, 2, 5
	s_delay_alu instid0(VALU_DEP_1) | instskip(SKIP_1) | instid1(VALU_DEP_1)
	v_cmp_eq_u32_e32 vcc_lo, 0, v56
	v_and_b32_e32 v45, 3, v133
	v_clz_i32_u32_e32 v46, v45
	s_delay_alu instid0(VALU_DEP_1) | instskip(NEXT) | instid1(VALU_DEP_1)
	v_min_u32_e32 v46, 32, v46
	v_subrev_nc_u32_e32 v47, 29, v46
	v_sub_nc_u32_e32 v46, 30, v46
	s_delay_alu instid0(VALU_DEP_1) | instskip(SKIP_1) | instid1(VALU_DEP_2)
	v_dual_cndmask_b32 v46, v56, v46 :: v_dual_lshlrev_b32 v47, v47, v133
	v_lshlrev_b32_e32 v133, 24, v133
	v_and_b32_e32 v47, 3, v47
	s_delay_alu instid0(VALU_DEP_3) | instskip(NEXT) | instid1(VALU_DEP_3)
	v_lshl_add_u32 v46, v46, 23, 0x37800000
	v_and_b32_e32 v133, 0x80000000, v133
	s_delay_alu instid0(VALU_DEP_3) | instskip(NEXT) | instid1(VALU_DEP_1)
	v_cndmask_b32_e32 v45, v45, v47, vcc_lo
	v_lshlrev_b32_e32 v45, 21, v45
	s_delay_alu instid0(VALU_DEP_1)
	v_or3_b32 v45, v133, v46, v45
.LBB4_2382:                             ;   in Loop: Header=BB4_1985 Depth=4
	s_or_b32 exec_lo, exec_lo, s34
	s_waitcnt vmcnt(1)
	v_and_b32_e32 v46, 0xff, v12
	s_mov_b32 s13, 0
	s_mov_b32 s35, exec_lo
                                        ; implicit-def: $sgpr34
	s_delay_alu instid0(VALU_DEP_1)
	v_cmpx_lt_i16_e32 0x7f, v46
	s_xor_b32 s35, exec_lo, s35
	s_cbranch_execnz .LBB4_3020
; %bb.2383:                             ;   in Loop: Header=BB4_1985 Depth=4
	s_or_saveexec_b32 s35, s35
	v_mov_b32_e32 v133, s34
	s_xor_b32 exec_lo, exec_lo, s35
	s_cbranch_execnz .LBB4_3023
.LBB4_2384:                             ;   in Loop: Header=BB4_1985 Depth=4
	s_or_b32 exec_lo, exec_lo, s35
	s_and_saveexec_b32 s34, s13
	s_cbranch_execz .LBB4_2386
.LBB4_2385:                             ;   in Loop: Header=BB4_1985 Depth=4
	v_bfe_u32 v56, v12, 2, 5
	v_lshlrev_b32_e32 v57, 24, v12
	s_delay_alu instid0(VALU_DEP_2) | instskip(SKIP_1) | instid1(VALU_DEP_1)
	v_cmp_eq_u32_e32 vcc_lo, 0, v56
	v_and_b32_e32 v133, 3, v12
	v_clz_i32_u32_e32 v46, v133
	s_delay_alu instid0(VALU_DEP_1) | instskip(NEXT) | instid1(VALU_DEP_1)
	v_min_u32_e32 v46, 32, v46
	v_subrev_nc_u32_e32 v47, 29, v46
	v_sub_nc_u32_e32 v46, 30, v46
	s_delay_alu instid0(VALU_DEP_1) | instskip(NEXT) | instid1(VALU_DEP_1)
	v_dual_cndmask_b32 v46, v56, v46 :: v_dual_lshlrev_b32 v47, v47, v12
	v_and_b32_e32 v47, 3, v47
	s_delay_alu instid0(VALU_DEP_2) | instskip(NEXT) | instid1(VALU_DEP_2)
	v_lshl_add_u32 v46, v46, 23, 0x37800000
	v_cndmask_b32_e32 v133, v133, v47, vcc_lo
	v_and_b32_e32 v47, 0x80000000, v57
	s_delay_alu instid0(VALU_DEP_2) | instskip(NEXT) | instid1(VALU_DEP_1)
	v_lshlrev_b32_e32 v133, 21, v133
	v_or3_b32 v133, v47, v46, v133
.LBB4_2386:                             ;   in Loop: Header=BB4_1985 Depth=4
	s_or_b32 exec_lo, exec_lo, s34
	s_delay_alu instid0(VALU_DEP_1) | instskip(NEXT) | instid1(VALU_DEP_1)
	v_add_f32_e32 v45, v45, v133
	v_and_b32_e32 v133, 0x7f800000, v45
	s_delay_alu instid0(VALU_DEP_1)
	v_cmp_ne_u32_e32 vcc_lo, 0x7f800000, v133
	v_mov_b32_e32 v133, 0x80
	s_and_saveexec_b32 s34, vcc_lo
	s_cbranch_execz .LBB4_2394
; %bb.2387:                             ;   in Loop: Header=BB4_1985 Depth=4
	v_mov_b32_e32 v133, 0
	s_mov_b32 s35, exec_lo
	v_cmpx_ne_u32_e32 0, v45
	s_cbranch_execz .LBB4_2393
; %bb.2388:                             ;   in Loop: Header=BB4_1985 Depth=4
	v_bfe_u32 v133, v45, 23, 8
	s_delay_alu instid0(VALU_DEP_1) | instskip(SKIP_1) | instid1(VALU_DEP_2)
	v_sub_nc_u32_e32 v47, 0x70, v133
	v_cmp_gt_u32_e32 vcc_lo, 0x71, v133
	v_dual_cndmask_b32 v47, 0, v47 :: v_dual_and_b32 v46, 0x7fffff, v45
	s_delay_alu instid0(VALU_DEP_1) | instskip(SKIP_2) | instid1(VALU_DEP_4)
	v_or_b32_e32 v56, 0x800000, v46
	v_cmp_eq_u32_e32 vcc_lo, 0, v133
	v_add_nc_u32_e32 v133, 0xffffff91, v133
	v_cndmask_b32_e64 v47, v47, 0x6f, vcc_lo
	s_delay_alu instid0(VALU_DEP_4) | instskip(NEXT) | instid1(VALU_DEP_3)
	v_cndmask_b32_e32 v46, v56, v46, vcc_lo
	v_cndmask_b32_e64 v133, v133, 0xffffff92, vcc_lo
	s_delay_alu instid0(VALU_DEP_3) | instskip(NEXT) | instid1(VALU_DEP_3)
	v_lshl_add_u32 v56, 0x200000, v47, -1
	v_lshrrev_b32_e32 v57, v47, v46
	v_lshlrev_b32_e64 v59, v47, 0x100000
	s_delay_alu instid0(VALU_DEP_4) | instskip(NEXT) | instid1(VALU_DEP_4)
	v_add_nc_u32_e32 v47, v47, v133
	v_and_b32_e32 v46, v56, v46
	s_delay_alu instid0(VALU_DEP_4) | instskip(NEXT) | instid1(VALU_DEP_2)
	v_bfe_u32 v58, v57, 21, 1
	v_cmp_eq_u32_e64 s13, v46, v59
	s_delay_alu instid0(VALU_DEP_2) | instskip(NEXT) | instid1(VALU_DEP_1)
	v_add_nc_u32_e32 v56, -1, v58
	v_cndmask_b32_e64 v46, 0, v56, s13
	v_lshrrev_b32_e32 v56, 23, v57
	s_mov_b32 s13, exec_lo
	s_delay_alu instid0(VALU_DEP_2) | instskip(NEXT) | instid1(VALU_DEP_2)
	v_add_nc_u32_e32 v46, v46, v57
	v_xor_b32_e32 v56, 1, v56
	s_delay_alu instid0(VALU_DEP_2) | instskip(NEXT) | instid1(VALU_DEP_1)
	v_and_b32_e32 v133, 0x1fffff, v46
	v_add_nc_u32_e32 v46, v133, v57
                                        ; implicit-def: $vgpr133
	s_delay_alu instid0(VALU_DEP_3)
	v_cmpx_ne_u32_e64 v47, v56
	s_xor_b32 s13, exec_lo, s13
; %bb.2389:                             ;   in Loop: Header=BB4_1985 Depth=4
	s_delay_alu instid0(VALU_DEP_2) | instskip(SKIP_2) | instid1(VALU_DEP_2)
	v_cmp_lt_u32_e32 vcc_lo, 0xffffff, v46
	v_sub_nc_u32_e32 v133, v47, v56
	v_cndmask_b32_e64 v47, 0, 1, vcc_lo
	v_add_co_ci_u32_e32 v133, vcc_lo, 0, v133, vcc_lo
	s_delay_alu instid0(VALU_DEP_2)
	v_lshrrev_b32_e32 v46, v47, v46
; %bb.2390:                             ;   in Loop: Header=BB4_1985 Depth=4
	s_and_not1_saveexec_b32 s13, s13
; %bb.2391:                             ;   in Loop: Header=BB4_1985 Depth=4
	s_delay_alu instid0(VALU_DEP_1)
	v_bfe_u32 v133, v46, 23, 1
; %bb.2392:                             ;   in Loop: Header=BB4_1985 Depth=4
	s_or_b32 exec_lo, exec_lo, s13
	v_lshrrev_b32_e32 v46, 21, v46
	s_delay_alu instid0(VALU_DEP_2) | instskip(SKIP_2) | instid1(VALU_DEP_2)
	v_cmp_gt_i32_e32 vcc_lo, 32, v133
	v_lshrrev_b32_e32 v45, 24, v45
	v_min_i32_e32 v47, 31, v133
	v_dual_cndmask_b32 v46, 3, v46 :: v_dual_and_b32 v45, 0x80, v45
	s_delay_alu instid0(VALU_DEP_2) | instskip(NEXT) | instid1(VALU_DEP_2)
	v_lshlrev_b32_e32 v47, 2, v47
	v_or_b32_e32 v133, v133, v46
	s_delay_alu instid0(VALU_DEP_1) | instskip(SKIP_1) | instid1(VALU_DEP_1)
	v_cmp_ne_u32_e32 vcc_lo, 0, v133
	v_and_b32_e32 v56, 3, v46
	v_or3_b32 v45, v47, v45, v56
	s_delay_alu instid0(VALU_DEP_1)
	v_cndmask_b32_e32 v133, 0, v45, vcc_lo
.LBB4_2393:                             ;   in Loop: Header=BB4_1985 Depth=4
	s_or_b32 exec_lo, exec_lo, s35
.LBB4_2394:                             ;   in Loop: Header=BB4_1985 Depth=4
	s_delay_alu instid0(SALU_CYCLE_1) | instskip(SKIP_3) | instid1(VALU_DEP_1)
	s_or_b32 exec_lo, exec_lo, s34
	v_and_b32_e32 v46, 0xff, v145
	s_mov_b32 s13, 0
	s_mov_b32 s35, exec_lo
                                        ; implicit-def: $sgpr34
	v_cmpx_lt_i16_e32 0x7f, v46
	s_xor_b32 s35, exec_lo, s35
	s_cbranch_execnz .LBB4_3024
; %bb.2395:                             ;   in Loop: Header=BB4_1985 Depth=4
	s_or_saveexec_b32 s35, s35
	v_mov_b32_e32 v45, s34
	s_xor_b32 exec_lo, exec_lo, s35
	s_cbranch_execnz .LBB4_3027
.LBB4_2396:                             ;   in Loop: Header=BB4_1985 Depth=4
	s_or_b32 exec_lo, exec_lo, s35
	s_and_saveexec_b32 s34, s13
	s_cbranch_execz .LBB4_2398
.LBB4_2397:                             ;   in Loop: Header=BB4_1985 Depth=4
	v_bfe_u32 v56, v145, 2, 5
	s_delay_alu instid0(VALU_DEP_1) | instskip(SKIP_1) | instid1(VALU_DEP_1)
	v_cmp_eq_u32_e32 vcc_lo, 0, v56
	v_and_b32_e32 v45, 3, v145
	v_clz_i32_u32_e32 v46, v45
	s_delay_alu instid0(VALU_DEP_1) | instskip(NEXT) | instid1(VALU_DEP_1)
	v_min_u32_e32 v46, 32, v46
	v_subrev_nc_u32_e32 v47, 29, v46
	v_sub_nc_u32_e32 v46, 30, v46
	s_delay_alu instid0(VALU_DEP_1) | instskip(SKIP_1) | instid1(VALU_DEP_2)
	v_dual_cndmask_b32 v46, v56, v46 :: v_dual_lshlrev_b32 v47, v47, v145
	v_lshlrev_b32_e32 v145, 24, v145
	v_and_b32_e32 v47, 3, v47
	s_delay_alu instid0(VALU_DEP_3) | instskip(NEXT) | instid1(VALU_DEP_3)
	v_lshl_add_u32 v46, v46, 23, 0x37800000
	v_and_b32_e32 v145, 0x80000000, v145
	s_delay_alu instid0(VALU_DEP_3) | instskip(NEXT) | instid1(VALU_DEP_1)
	v_cndmask_b32_e32 v45, v45, v47, vcc_lo
	v_lshlrev_b32_e32 v45, 21, v45
	s_delay_alu instid0(VALU_DEP_1)
	v_or3_b32 v45, v145, v46, v45
.LBB4_2398:                             ;   in Loop: Header=BB4_1985 Depth=4
	s_or_b32 exec_lo, exec_lo, s34
	v_lshrrev_b16 v145, 8, v12
	s_mov_b32 s13, 0
	s_mov_b32 s35, exec_lo
                                        ; implicit-def: $sgpr34
	s_delay_alu instid0(VALU_DEP_1)
	v_cmpx_lt_i16_e64 0x7f, v145
	s_xor_b32 s35, exec_lo, s35
	s_cbranch_execnz .LBB4_3028
; %bb.2399:                             ;   in Loop: Header=BB4_1985 Depth=4
	s_or_saveexec_b32 s35, s35
	v_mov_b32_e32 v46, s34
	s_xor_b32 exec_lo, exec_lo, s35
	s_cbranch_execnz .LBB4_3031
.LBB4_2400:                             ;   in Loop: Header=BB4_1985 Depth=4
	s_or_b32 exec_lo, exec_lo, s35
	s_and_saveexec_b32 s34, s13
	s_cbranch_execz .LBB4_2402
.LBB4_2401:                             ;   in Loop: Header=BB4_1985 Depth=4
	v_and_b32_e32 v46, 0xffff, v145
	v_lshlrev_b32_e32 v145, 24, v145
	s_delay_alu instid0(VALU_DEP_2) | instskip(NEXT) | instid1(VALU_DEP_2)
	v_and_b32_e32 v47, 3, v46
	v_and_b32_e32 v145, 0x80000000, v145
	s_delay_alu instid0(VALU_DEP_2) | instskip(NEXT) | instid1(VALU_DEP_1)
	v_clz_i32_u32_e32 v56, v47
	v_min_u32_e32 v56, 32, v56
	s_delay_alu instid0(VALU_DEP_1) | instskip(SKIP_1) | instid1(VALU_DEP_2)
	v_subrev_nc_u32_e32 v57, 29, v56
	v_sub_nc_u32_e32 v56, 30, v56
	v_lshlrev_b32_e32 v57, v57, v46
	v_bfe_u32 v46, v46, 2, 5
	s_delay_alu instid0(VALU_DEP_2) | instskip(NEXT) | instid1(VALU_DEP_2)
	v_and_b32_e32 v57, 3, v57
	v_cmp_eq_u32_e32 vcc_lo, 0, v46
	s_delay_alu instid0(VALU_DEP_2) | instskip(NEXT) | instid1(VALU_DEP_1)
	v_dual_cndmask_b32 v46, v46, v56 :: v_dual_cndmask_b32 v47, v47, v57
	v_lshl_add_u32 v46, v46, 23, 0x37800000
	s_delay_alu instid0(VALU_DEP_2) | instskip(NEXT) | instid1(VALU_DEP_1)
	v_lshlrev_b32_e32 v47, 21, v47
	v_or3_b32 v46, v145, v46, v47
.LBB4_2402:                             ;   in Loop: Header=BB4_1985 Depth=4
	s_or_b32 exec_lo, exec_lo, s34
	s_delay_alu instid0(VALU_DEP_1) | instskip(NEXT) | instid1(VALU_DEP_1)
	v_add_f32_e32 v45, v45, v46
	v_and_b32_e32 v145, 0x7f800000, v45
	s_delay_alu instid0(VALU_DEP_1)
	v_cmp_ne_u32_e32 vcc_lo, 0x7f800000, v145
	v_mov_b32_e32 v145, 0x80
	s_and_saveexec_b32 s34, vcc_lo
	s_cbranch_execz .LBB4_2410
; %bb.2403:                             ;   in Loop: Header=BB4_1985 Depth=4
	v_mov_b32_e32 v145, 0
	s_mov_b32 s35, exec_lo
	v_cmpx_ne_u32_e32 0, v45
	s_cbranch_execz .LBB4_2409
; %bb.2404:                             ;   in Loop: Header=BB4_1985 Depth=4
	v_bfe_u32 v145, v45, 23, 8
	s_delay_alu instid0(VALU_DEP_1) | instskip(SKIP_1) | instid1(VALU_DEP_2)
	v_sub_nc_u32_e32 v47, 0x70, v145
	v_cmp_gt_u32_e32 vcc_lo, 0x71, v145
	v_dual_cndmask_b32 v47, 0, v47 :: v_dual_and_b32 v46, 0x7fffff, v45
	s_delay_alu instid0(VALU_DEP_1) | instskip(SKIP_2) | instid1(VALU_DEP_4)
	v_or_b32_e32 v56, 0x800000, v46
	v_cmp_eq_u32_e32 vcc_lo, 0, v145
	v_add_nc_u32_e32 v145, 0xffffff91, v145
	v_cndmask_b32_e64 v47, v47, 0x6f, vcc_lo
	s_delay_alu instid0(VALU_DEP_4) | instskip(NEXT) | instid1(VALU_DEP_3)
	v_cndmask_b32_e32 v46, v56, v46, vcc_lo
	v_cndmask_b32_e64 v145, v145, 0xffffff92, vcc_lo
	s_delay_alu instid0(VALU_DEP_3) | instskip(NEXT) | instid1(VALU_DEP_3)
	v_lshl_add_u32 v56, 0x200000, v47, -1
	v_lshrrev_b32_e32 v57, v47, v46
	v_lshlrev_b32_e64 v59, v47, 0x100000
	s_delay_alu instid0(VALU_DEP_4) | instskip(NEXT) | instid1(VALU_DEP_4)
	v_add_nc_u32_e32 v47, v47, v145
	v_and_b32_e32 v46, v56, v46
	s_delay_alu instid0(VALU_DEP_4) | instskip(NEXT) | instid1(VALU_DEP_2)
	v_bfe_u32 v58, v57, 21, 1
	v_cmp_eq_u32_e64 s13, v46, v59
	s_delay_alu instid0(VALU_DEP_2) | instskip(NEXT) | instid1(VALU_DEP_1)
	v_add_nc_u32_e32 v56, -1, v58
	v_cndmask_b32_e64 v46, 0, v56, s13
	v_lshrrev_b32_e32 v56, 23, v57
	s_mov_b32 s13, exec_lo
	s_delay_alu instid0(VALU_DEP_2) | instskip(NEXT) | instid1(VALU_DEP_2)
	v_add_nc_u32_e32 v46, v46, v57
	v_xor_b32_e32 v56, 1, v56
	s_delay_alu instid0(VALU_DEP_2) | instskip(NEXT) | instid1(VALU_DEP_1)
	v_and_b32_e32 v145, 0x1fffff, v46
	v_add_nc_u32_e32 v46, v145, v57
                                        ; implicit-def: $vgpr145
	s_delay_alu instid0(VALU_DEP_3)
	v_cmpx_ne_u32_e64 v47, v56
	s_xor_b32 s13, exec_lo, s13
; %bb.2405:                             ;   in Loop: Header=BB4_1985 Depth=4
	s_delay_alu instid0(VALU_DEP_2) | instskip(SKIP_2) | instid1(VALU_DEP_2)
	v_cmp_lt_u32_e32 vcc_lo, 0xffffff, v46
	v_sub_nc_u32_e32 v145, v47, v56
	v_cndmask_b32_e64 v47, 0, 1, vcc_lo
	v_add_co_ci_u32_e32 v145, vcc_lo, 0, v145, vcc_lo
	s_delay_alu instid0(VALU_DEP_2)
	v_lshrrev_b32_e32 v46, v47, v46
; %bb.2406:                             ;   in Loop: Header=BB4_1985 Depth=4
	s_and_not1_saveexec_b32 s13, s13
; %bb.2407:                             ;   in Loop: Header=BB4_1985 Depth=4
	s_delay_alu instid0(VALU_DEP_1)
	v_bfe_u32 v145, v46, 23, 1
; %bb.2408:                             ;   in Loop: Header=BB4_1985 Depth=4
	s_or_b32 exec_lo, exec_lo, s13
	v_lshrrev_b32_e32 v46, 21, v46
	s_delay_alu instid0(VALU_DEP_2) | instskip(SKIP_2) | instid1(VALU_DEP_2)
	v_cmp_gt_i32_e32 vcc_lo, 32, v145
	v_lshrrev_b32_e32 v45, 24, v45
	v_min_i32_e32 v47, 31, v145
	v_dual_cndmask_b32 v46, 3, v46 :: v_dual_and_b32 v45, 0x80, v45
	s_delay_alu instid0(VALU_DEP_2) | instskip(NEXT) | instid1(VALU_DEP_2)
	v_lshlrev_b32_e32 v47, 2, v47
	v_or_b32_e32 v145, v145, v46
	s_delay_alu instid0(VALU_DEP_1) | instskip(SKIP_1) | instid1(VALU_DEP_1)
	v_cmp_ne_u32_e32 vcc_lo, 0, v145
	v_and_b32_e32 v56, 3, v46
	v_or3_b32 v45, v47, v45, v56
	s_delay_alu instid0(VALU_DEP_1)
	v_cndmask_b32_e32 v145, 0, v45, vcc_lo
.LBB4_2409:                             ;   in Loop: Header=BB4_1985 Depth=4
	s_or_b32 exec_lo, exec_lo, s35
.LBB4_2410:                             ;   in Loop: Header=BB4_1985 Depth=4
	s_delay_alu instid0(SALU_CYCLE_1) | instskip(SKIP_3) | instid1(VALU_DEP_1)
	s_or_b32 exec_lo, exec_lo, s34
	v_and_b32_e32 v46, 0xff, v151
	s_mov_b32 s13, 0
	s_mov_b32 s35, exec_lo
                                        ; implicit-def: $sgpr34
	v_cmpx_lt_i16_e32 0x7f, v46
	s_xor_b32 s35, exec_lo, s35
	s_cbranch_execnz .LBB4_3032
; %bb.2411:                             ;   in Loop: Header=BB4_1985 Depth=4
	s_or_saveexec_b32 s35, s35
	v_mov_b32_e32 v45, s34
	s_xor_b32 exec_lo, exec_lo, s35
	s_cbranch_execnz .LBB4_3035
.LBB4_2412:                             ;   in Loop: Header=BB4_1985 Depth=4
	s_or_b32 exec_lo, exec_lo, s35
	s_and_saveexec_b32 s34, s13
	s_cbranch_execz .LBB4_2414
.LBB4_2413:                             ;   in Loop: Header=BB4_1985 Depth=4
	v_bfe_u32 v56, v151, 2, 5
	s_delay_alu instid0(VALU_DEP_1) | instskip(SKIP_1) | instid1(VALU_DEP_1)
	v_cmp_eq_u32_e32 vcc_lo, 0, v56
	v_and_b32_e32 v45, 3, v151
	v_clz_i32_u32_e32 v46, v45
	s_delay_alu instid0(VALU_DEP_1) | instskip(NEXT) | instid1(VALU_DEP_1)
	v_min_u32_e32 v46, 32, v46
	v_subrev_nc_u32_e32 v47, 29, v46
	v_sub_nc_u32_e32 v46, 30, v46
	s_delay_alu instid0(VALU_DEP_1) | instskip(SKIP_1) | instid1(VALU_DEP_2)
	v_dual_cndmask_b32 v46, v56, v46 :: v_dual_lshlrev_b32 v47, v47, v151
	v_lshlrev_b32_e32 v151, 24, v151
	v_and_b32_e32 v47, 3, v47
	s_delay_alu instid0(VALU_DEP_3) | instskip(NEXT) | instid1(VALU_DEP_3)
	v_lshl_add_u32 v46, v46, 23, 0x37800000
	v_and_b32_e32 v151, 0x80000000, v151
	s_delay_alu instid0(VALU_DEP_3) | instskip(NEXT) | instid1(VALU_DEP_1)
	v_cndmask_b32_e32 v45, v45, v47, vcc_lo
	v_lshlrev_b32_e32 v45, 21, v45
	s_delay_alu instid0(VALU_DEP_1)
	v_or3_b32 v45, v151, v46, v45
.LBB4_2414:                             ;   in Loop: Header=BB4_1985 Depth=4
	s_or_b32 exec_lo, exec_lo, s34
	v_lshrrev_b32_e32 v151, 16, v12
	s_mov_b32 s13, 0
	s_mov_b32 s35, exec_lo
                                        ; implicit-def: $sgpr34
	s_delay_alu instid0(VALU_DEP_1) | instskip(NEXT) | instid1(VALU_DEP_1)
	v_and_b32_e32 v47, 0xff, v151
	v_cmpx_lt_i16_e32 0x7f, v47
	s_xor_b32 s35, exec_lo, s35
	s_cbranch_execnz .LBB4_3036
; %bb.2415:                             ;   in Loop: Header=BB4_1985 Depth=4
	s_or_saveexec_b32 s35, s35
	v_mov_b32_e32 v46, s34
	s_xor_b32 exec_lo, exec_lo, s35
	s_cbranch_execnz .LBB4_3039
.LBB4_2416:                             ;   in Loop: Header=BB4_1985 Depth=4
	s_or_b32 exec_lo, exec_lo, s35
	s_and_saveexec_b32 s34, s13
	s_cbranch_execz .LBB4_2418
.LBB4_2417:                             ;   in Loop: Header=BB4_1985 Depth=4
	v_bfe_u32 v46, v12, 16, 2
	v_lshlrev_b32_e32 v57, 8, v12
	s_delay_alu instid0(VALU_DEP_2) | instskip(NEXT) | instid1(VALU_DEP_1)
	v_clz_i32_u32_e32 v47, v46
	v_min_u32_e32 v47, 32, v47
	s_delay_alu instid0(VALU_DEP_1) | instskip(SKIP_1) | instid1(VALU_DEP_2)
	v_subrev_nc_u32_e32 v56, 29, v47
	v_sub_nc_u32_e32 v47, 30, v47
	v_lshlrev_b32_e32 v151, v56, v151
	v_bfe_u32 v56, v12, 18, 5
	s_delay_alu instid0(VALU_DEP_2) | instskip(NEXT) | instid1(VALU_DEP_2)
	v_and_b32_e32 v151, 3, v151
	v_cmp_eq_u32_e32 vcc_lo, 0, v56
	v_cndmask_b32_e32 v47, v56, v47, vcc_lo
	s_delay_alu instid0(VALU_DEP_3) | instskip(NEXT) | instid1(VALU_DEP_2)
	v_dual_cndmask_b32 v151, v46, v151 :: v_dual_and_b32 v46, 0x80000000, v57
	v_lshl_add_u32 v47, v47, 23, 0x37800000
	s_delay_alu instid0(VALU_DEP_2) | instskip(NEXT) | instid1(VALU_DEP_1)
	v_lshlrev_b32_e32 v151, 21, v151
	v_or3_b32 v46, v46, v47, v151
.LBB4_2418:                             ;   in Loop: Header=BB4_1985 Depth=4
	s_or_b32 exec_lo, exec_lo, s34
	s_delay_alu instid0(VALU_DEP_1) | instskip(NEXT) | instid1(VALU_DEP_1)
	v_add_f32_e32 v45, v45, v46
	v_and_b32_e32 v151, 0x7f800000, v45
	s_delay_alu instid0(VALU_DEP_1)
	v_cmp_ne_u32_e32 vcc_lo, 0x7f800000, v151
	v_mov_b32_e32 v151, 0x80
	s_and_saveexec_b32 s34, vcc_lo
	s_cbranch_execz .LBB4_2426
; %bb.2419:                             ;   in Loop: Header=BB4_1985 Depth=4
	v_mov_b32_e32 v151, 0
	s_mov_b32 s35, exec_lo
	v_cmpx_ne_u32_e32 0, v45
	s_cbranch_execz .LBB4_2425
; %bb.2420:                             ;   in Loop: Header=BB4_1985 Depth=4
	v_bfe_u32 v151, v45, 23, 8
	s_delay_alu instid0(VALU_DEP_1) | instskip(SKIP_1) | instid1(VALU_DEP_2)
	v_sub_nc_u32_e32 v47, 0x70, v151
	v_cmp_gt_u32_e32 vcc_lo, 0x71, v151
	v_dual_cndmask_b32 v47, 0, v47 :: v_dual_and_b32 v46, 0x7fffff, v45
	s_delay_alu instid0(VALU_DEP_1) | instskip(SKIP_2) | instid1(VALU_DEP_4)
	v_or_b32_e32 v56, 0x800000, v46
	v_cmp_eq_u32_e32 vcc_lo, 0, v151
	v_add_nc_u32_e32 v151, 0xffffff91, v151
	v_cndmask_b32_e64 v47, v47, 0x6f, vcc_lo
	s_delay_alu instid0(VALU_DEP_4) | instskip(NEXT) | instid1(VALU_DEP_3)
	v_cndmask_b32_e32 v46, v56, v46, vcc_lo
	v_cndmask_b32_e64 v151, v151, 0xffffff92, vcc_lo
	s_delay_alu instid0(VALU_DEP_3) | instskip(NEXT) | instid1(VALU_DEP_3)
	v_lshl_add_u32 v56, 0x200000, v47, -1
	v_lshrrev_b32_e32 v57, v47, v46
	v_lshlrev_b32_e64 v59, v47, 0x100000
	s_delay_alu instid0(VALU_DEP_4) | instskip(NEXT) | instid1(VALU_DEP_4)
	v_add_nc_u32_e32 v47, v47, v151
	v_and_b32_e32 v46, v56, v46
	s_delay_alu instid0(VALU_DEP_4) | instskip(NEXT) | instid1(VALU_DEP_2)
	v_bfe_u32 v58, v57, 21, 1
	v_cmp_eq_u32_e64 s13, v46, v59
	s_delay_alu instid0(VALU_DEP_2) | instskip(NEXT) | instid1(VALU_DEP_1)
	v_add_nc_u32_e32 v56, -1, v58
	v_cndmask_b32_e64 v46, 0, v56, s13
	v_lshrrev_b32_e32 v56, 23, v57
	s_mov_b32 s13, exec_lo
	s_delay_alu instid0(VALU_DEP_2) | instskip(NEXT) | instid1(VALU_DEP_2)
	v_add_nc_u32_e32 v46, v46, v57
	v_xor_b32_e32 v56, 1, v56
	s_delay_alu instid0(VALU_DEP_2) | instskip(NEXT) | instid1(VALU_DEP_1)
	v_and_b32_e32 v151, 0x1fffff, v46
	v_add_nc_u32_e32 v46, v151, v57
                                        ; implicit-def: $vgpr151
	s_delay_alu instid0(VALU_DEP_3)
	v_cmpx_ne_u32_e64 v47, v56
	s_xor_b32 s13, exec_lo, s13
; %bb.2421:                             ;   in Loop: Header=BB4_1985 Depth=4
	s_delay_alu instid0(VALU_DEP_2) | instskip(SKIP_2) | instid1(VALU_DEP_2)
	v_cmp_lt_u32_e32 vcc_lo, 0xffffff, v46
	v_sub_nc_u32_e32 v151, v47, v56
	v_cndmask_b32_e64 v47, 0, 1, vcc_lo
	v_add_co_ci_u32_e32 v151, vcc_lo, 0, v151, vcc_lo
	s_delay_alu instid0(VALU_DEP_2)
	v_lshrrev_b32_e32 v46, v47, v46
; %bb.2422:                             ;   in Loop: Header=BB4_1985 Depth=4
	s_and_not1_saveexec_b32 s13, s13
; %bb.2423:                             ;   in Loop: Header=BB4_1985 Depth=4
	s_delay_alu instid0(VALU_DEP_1)
	v_bfe_u32 v151, v46, 23, 1
; %bb.2424:                             ;   in Loop: Header=BB4_1985 Depth=4
	s_or_b32 exec_lo, exec_lo, s13
	v_lshrrev_b32_e32 v46, 21, v46
	s_delay_alu instid0(VALU_DEP_2) | instskip(SKIP_2) | instid1(VALU_DEP_2)
	v_cmp_gt_i32_e32 vcc_lo, 32, v151
	v_lshrrev_b32_e32 v45, 24, v45
	v_min_i32_e32 v47, 31, v151
	v_dual_cndmask_b32 v46, 3, v46 :: v_dual_and_b32 v45, 0x80, v45
	s_delay_alu instid0(VALU_DEP_2) | instskip(NEXT) | instid1(VALU_DEP_2)
	v_lshlrev_b32_e32 v47, 2, v47
	v_or_b32_e32 v151, v151, v46
	s_delay_alu instid0(VALU_DEP_1) | instskip(SKIP_1) | instid1(VALU_DEP_1)
	v_cmp_ne_u32_e32 vcc_lo, 0, v151
	v_and_b32_e32 v56, 3, v46
	v_or3_b32 v45, v47, v45, v56
	s_delay_alu instid0(VALU_DEP_1)
	v_cndmask_b32_e32 v151, 0, v45, vcc_lo
.LBB4_2425:                             ;   in Loop: Header=BB4_1985 Depth=4
	s_or_b32 exec_lo, exec_lo, s35
.LBB4_2426:                             ;   in Loop: Header=BB4_1985 Depth=4
	s_delay_alu instid0(SALU_CYCLE_1) | instskip(SKIP_3) | instid1(VALU_DEP_1)
	s_or_b32 exec_lo, exec_lo, s34
	v_and_b32_e32 v46, 0xff, v177
	s_mov_b32 s13, 0
	s_mov_b32 s35, exec_lo
                                        ; implicit-def: $sgpr34
	v_cmpx_lt_i16_e32 0x7f, v46
	s_xor_b32 s35, exec_lo, s35
	s_cbranch_execnz .LBB4_3040
; %bb.2427:                             ;   in Loop: Header=BB4_1985 Depth=4
	s_or_saveexec_b32 s35, s35
	v_mov_b32_e32 v45, s34
	s_xor_b32 exec_lo, exec_lo, s35
	s_cbranch_execnz .LBB4_3043
.LBB4_2428:                             ;   in Loop: Header=BB4_1985 Depth=4
	s_or_b32 exec_lo, exec_lo, s35
	s_and_saveexec_b32 s34, s13
	s_cbranch_execz .LBB4_2430
.LBB4_2429:                             ;   in Loop: Header=BB4_1985 Depth=4
	v_lshlrev_b32_e32 v177, 8, v177
	s_delay_alu instid0(VALU_DEP_1) | instskip(SKIP_1) | instid1(VALU_DEP_2)
	v_and_b32_e32 v45, 0xff00, v177
	v_bfe_u32 v177, v177, 10, 5
	v_bfe_u32 v47, v45, 8, 2
	s_delay_alu instid0(VALU_DEP_2) | instskip(SKIP_1) | instid1(VALU_DEP_3)
	v_cmp_eq_u32_e32 vcc_lo, 0, v177
	v_lshlrev_b32_e32 v45, 16, v45
	v_clz_i32_u32_e32 v56, v47
	s_delay_alu instid0(VALU_DEP_2) | instskip(NEXT) | instid1(VALU_DEP_2)
	v_and_b32_e32 v45, 0x80000000, v45
	v_min_u32_e32 v56, 32, v56
	s_delay_alu instid0(VALU_DEP_1) | instskip(SKIP_1) | instid1(VALU_DEP_2)
	v_subrev_nc_u32_e32 v57, 29, v56
	v_sub_nc_u32_e32 v56, 30, v56
	v_lshlrev_b32_e32 v46, v57, v46
	s_delay_alu instid0(VALU_DEP_1) | instskip(NEXT) | instid1(VALU_DEP_1)
	v_dual_cndmask_b32 v177, v177, v56 :: v_dual_and_b32 v46, 3, v46
	v_lshl_add_u32 v177, v177, 23, 0x37800000
	s_delay_alu instid0(VALU_DEP_2) | instskip(NEXT) | instid1(VALU_DEP_1)
	v_cndmask_b32_e32 v46, v47, v46, vcc_lo
	v_lshlrev_b32_e32 v46, 21, v46
	s_delay_alu instid0(VALU_DEP_1)
	v_or3_b32 v45, v45, v177, v46
.LBB4_2430:                             ;   in Loop: Header=BB4_1985 Depth=4
	s_or_b32 exec_lo, exec_lo, s34
	v_lshrrev_b32_e32 v177, 24, v12
	s_mov_b32 s13, 0
	s_mov_b32 s35, exec_lo
                                        ; implicit-def: $sgpr34
	s_delay_alu instid0(VALU_DEP_1)
	v_cmpx_lt_i16_e64 0x7f, v177
	s_xor_b32 s35, exec_lo, s35
	s_cbranch_execnz .LBB4_3044
; %bb.2431:                             ;   in Loop: Header=BB4_1985 Depth=4
	s_or_saveexec_b32 s35, s35
	v_mov_b32_e32 v46, s34
	s_xor_b32 exec_lo, exec_lo, s35
	s_cbranch_execnz .LBB4_3047
.LBB4_2432:                             ;   in Loop: Header=BB4_1985 Depth=4
	s_or_b32 exec_lo, exec_lo, s35
	s_and_saveexec_b32 s34, s13
	s_cbranch_execz .LBB4_2434
.LBB4_2433:                             ;   in Loop: Header=BB4_1985 Depth=4
	v_bfe_u32 v46, v12, 24, 2
	s_delay_alu instid0(VALU_DEP_1) | instskip(NEXT) | instid1(VALU_DEP_1)
	v_clz_i32_u32_e32 v47, v46
	v_min_u32_e32 v47, 32, v47
	s_delay_alu instid0(VALU_DEP_1) | instskip(SKIP_1) | instid1(VALU_DEP_2)
	v_subrev_nc_u32_e32 v56, 29, v47
	v_sub_nc_u32_e32 v47, 30, v47
	v_lshlrev_b32_e32 v177, v56, v177
	v_bfe_u32 v56, v12, 26, 5
	v_and_b32_e32 v12, 0x80000000, v12
	s_delay_alu instid0(VALU_DEP_3) | instskip(NEXT) | instid1(VALU_DEP_3)
	v_and_b32_e32 v177, 3, v177
	v_cmp_eq_u32_e32 vcc_lo, 0, v56
	v_cndmask_b32_e32 v47, v56, v47, vcc_lo
	s_delay_alu instid0(VALU_DEP_3) | instskip(NEXT) | instid1(VALU_DEP_2)
	v_cndmask_b32_e32 v177, v46, v177, vcc_lo
	v_lshl_add_u32 v46, v47, 23, 0x37800000
	s_delay_alu instid0(VALU_DEP_2) | instskip(NEXT) | instid1(VALU_DEP_1)
	v_lshlrev_b32_e32 v177, 21, v177
	v_or3_b32 v46, v12, v46, v177
.LBB4_2434:                             ;   in Loop: Header=BB4_1985 Depth=4
	s_or_b32 exec_lo, exec_lo, s34
	s_delay_alu instid0(VALU_DEP_1) | instskip(NEXT) | instid1(VALU_DEP_1)
	v_add_f32_e32 v177, v45, v46
	v_and_b32_e32 v12, 0x7f800000, v177
	s_delay_alu instid0(VALU_DEP_1)
	v_cmp_ne_u32_e32 vcc_lo, 0x7f800000, v12
	v_mov_b32_e32 v12, 0x80
	s_and_saveexec_b32 s34, vcc_lo
	s_cbranch_execz .LBB4_2442
; %bb.2435:                             ;   in Loop: Header=BB4_1985 Depth=4
	v_mov_b32_e32 v12, 0
	s_mov_b32 s35, exec_lo
	v_cmpx_ne_u32_e32 0, v177
	s_cbranch_execz .LBB4_2441
; %bb.2436:                             ;   in Loop: Header=BB4_1985 Depth=4
	v_bfe_u32 v12, v177, 23, 8
	s_delay_alu instid0(VALU_DEP_1) | instskip(SKIP_1) | instid1(VALU_DEP_2)
	v_sub_nc_u32_e32 v46, 0x70, v12
	v_cmp_gt_u32_e32 vcc_lo, 0x71, v12
	v_dual_cndmask_b32 v46, 0, v46 :: v_dual_and_b32 v45, 0x7fffff, v177
	s_delay_alu instid0(VALU_DEP_1) | instskip(SKIP_2) | instid1(VALU_DEP_4)
	v_or_b32_e32 v47, 0x800000, v45
	v_cmp_eq_u32_e32 vcc_lo, 0, v12
	v_add_nc_u32_e32 v12, 0xffffff91, v12
	v_cndmask_b32_e64 v46, v46, 0x6f, vcc_lo
	s_delay_alu instid0(VALU_DEP_4) | instskip(NEXT) | instid1(VALU_DEP_3)
	v_cndmask_b32_e32 v45, v47, v45, vcc_lo
	v_cndmask_b32_e64 v12, v12, 0xffffff92, vcc_lo
	s_delay_alu instid0(VALU_DEP_3) | instskip(NEXT) | instid1(VALU_DEP_3)
	v_lshl_add_u32 v47, 0x200000, v46, -1
	v_lshrrev_b32_e32 v56, v46, v45
	v_lshlrev_b32_e64 v58, v46, 0x100000
	s_delay_alu instid0(VALU_DEP_4) | instskip(NEXT) | instid1(VALU_DEP_4)
	v_add_nc_u32_e32 v46, v46, v12
	v_and_b32_e32 v45, v47, v45
	s_delay_alu instid0(VALU_DEP_4) | instskip(NEXT) | instid1(VALU_DEP_2)
	v_bfe_u32 v57, v56, 21, 1
	v_cmp_eq_u32_e64 s13, v45, v58
	s_delay_alu instid0(VALU_DEP_2) | instskip(NEXT) | instid1(VALU_DEP_1)
	v_add_nc_u32_e32 v47, -1, v57
	v_cndmask_b32_e64 v45, 0, v47, s13
	v_lshrrev_b32_e32 v47, 23, v56
	s_mov_b32 s13, exec_lo
	s_delay_alu instid0(VALU_DEP_2) | instskip(NEXT) | instid1(VALU_DEP_2)
	v_add_nc_u32_e32 v45, v45, v56
	v_xor_b32_e32 v47, 1, v47
	s_delay_alu instid0(VALU_DEP_2) | instskip(NEXT) | instid1(VALU_DEP_1)
	v_and_b32_e32 v12, 0x1fffff, v45
	v_add_nc_u32_e32 v45, v12, v56
                                        ; implicit-def: $vgpr12
	s_delay_alu instid0(VALU_DEP_3)
	v_cmpx_ne_u32_e64 v46, v47
	s_xor_b32 s13, exec_lo, s13
; %bb.2437:                             ;   in Loop: Header=BB4_1985 Depth=4
	s_delay_alu instid0(VALU_DEP_2) | instskip(SKIP_2) | instid1(VALU_DEP_2)
	v_cmp_lt_u32_e32 vcc_lo, 0xffffff, v45
	v_sub_nc_u32_e32 v12, v46, v47
	v_cndmask_b32_e64 v46, 0, 1, vcc_lo
	v_add_co_ci_u32_e32 v12, vcc_lo, 0, v12, vcc_lo
	s_delay_alu instid0(VALU_DEP_2)
	v_lshrrev_b32_e32 v45, v46, v45
; %bb.2438:                             ;   in Loop: Header=BB4_1985 Depth=4
	s_and_not1_saveexec_b32 s13, s13
; %bb.2439:                             ;   in Loop: Header=BB4_1985 Depth=4
	s_delay_alu instid0(VALU_DEP_1)
	v_bfe_u32 v12, v45, 23, 1
; %bb.2440:                             ;   in Loop: Header=BB4_1985 Depth=4
	s_or_b32 exec_lo, exec_lo, s13
	v_lshrrev_b32_e32 v45, 21, v45
	s_delay_alu instid0(VALU_DEP_2) | instskip(SKIP_2) | instid1(VALU_DEP_4)
	v_cmp_gt_i32_e32 vcc_lo, 32, v12
	v_lshrrev_b32_e32 v177, 24, v177
	v_min_i32_e32 v46, 31, v12
	v_cndmask_b32_e32 v45, 3, v45, vcc_lo
	s_delay_alu instid0(VALU_DEP_3) | instskip(NEXT) | instid1(VALU_DEP_3)
	v_and_b32_e32 v177, 0x80, v177
	v_lshlrev_b32_e32 v46, 2, v46
	s_delay_alu instid0(VALU_DEP_3) | instskip(SKIP_1) | instid1(VALU_DEP_2)
	v_and_b32_e32 v47, 3, v45
	v_or_b32_e32 v12, v12, v45
	v_or3_b32 v177, v46, v177, v47
	s_delay_alu instid0(VALU_DEP_2) | instskip(NEXT) | instid1(VALU_DEP_2)
	v_cmp_ne_u32_e32 vcc_lo, 0, v12
	v_cndmask_b32_e32 v12, 0, v177, vcc_lo
.LBB4_2441:                             ;   in Loop: Header=BB4_1985 Depth=4
	s_or_b32 exec_lo, exec_lo, s35
.LBB4_2442:                             ;   in Loop: Header=BB4_1985 Depth=4
	s_delay_alu instid0(SALU_CYCLE_1) | instskip(SKIP_3) | instid1(VALU_DEP_1)
	s_or_b32 exec_lo, exec_lo, s34
	v_or_b32_e32 v44, v44, v166
	s_mov_b32 s13, 0
	s_mov_b32 s35, exec_lo
                                        ; implicit-def: $sgpr34
	v_and_b32_e32 v177, 0xff, v44
	s_delay_alu instid0(VALU_DEP_1)
	v_cmpx_lt_i16_e64 0x7f, v177
	s_xor_b32 s35, exec_lo, s35
	s_cbranch_execnz .LBB4_3048
; %bb.2443:                             ;   in Loop: Header=BB4_1985 Depth=4
	s_or_saveexec_b32 s35, s35
	v_mov_b32_e32 v166, s34
	s_xor_b32 exec_lo, exec_lo, s35
	s_cbranch_execnz .LBB4_3051
.LBB4_2444:                             ;   in Loop: Header=BB4_1985 Depth=4
	s_or_b32 exec_lo, exec_lo, s35
	s_and_saveexec_b32 s34, s13
	s_cbranch_execz .LBB4_2446
.LBB4_2445:                             ;   in Loop: Header=BB4_1985 Depth=4
	v_bfe_u32 v46, v44, 2, 5
	s_delay_alu instid0(VALU_DEP_1) | instskip(SKIP_1) | instid1(VALU_DEP_1)
	v_cmp_eq_u32_e32 vcc_lo, 0, v46
	v_and_b32_e32 v166, 3, v44
	v_clz_i32_u32_e32 v177, v166
	s_delay_alu instid0(VALU_DEP_1) | instskip(NEXT) | instid1(VALU_DEP_1)
	v_min_u32_e32 v177, 32, v177
	v_subrev_nc_u32_e32 v45, 29, v177
	v_sub_nc_u32_e32 v177, 30, v177
	s_delay_alu instid0(VALU_DEP_2) | instskip(NEXT) | instid1(VALU_DEP_2)
	v_lshlrev_b32_e32 v45, v45, v44
	v_cndmask_b32_e32 v177, v46, v177, vcc_lo
	s_delay_alu instid0(VALU_DEP_2) | instskip(SKIP_1) | instid1(VALU_DEP_3)
	v_and_b32_e32 v45, 3, v45
	v_lshlrev_b32_e32 v47, 24, v44
	v_lshl_add_u32 v177, v177, 23, 0x37800000
	s_delay_alu instid0(VALU_DEP_2) | instskip(NEXT) | instid1(VALU_DEP_1)
	v_dual_cndmask_b32 v166, v166, v45 :: v_dual_and_b32 v45, 0x80000000, v47
	v_lshlrev_b32_e32 v166, 21, v166
	s_delay_alu instid0(VALU_DEP_1)
	v_or3_b32 v166, v45, v177, v166
.LBB4_2446:                             ;   in Loop: Header=BB4_1985 Depth=4
	s_or_b32 exec_lo, exec_lo, s34
	v_and_b32_e32 v45, 0xff, v13
	s_mov_b32 s13, 0
	s_mov_b32 s35, exec_lo
                                        ; implicit-def: $sgpr34
	s_delay_alu instid0(VALU_DEP_1)
	v_cmpx_lt_i16_e32 0x7f, v45
	s_xor_b32 s35, exec_lo, s35
	s_cbranch_execnz .LBB4_3052
; %bb.2447:                             ;   in Loop: Header=BB4_1985 Depth=4
	s_or_saveexec_b32 s35, s35
	v_mov_b32_e32 v177, s34
	s_xor_b32 exec_lo, exec_lo, s35
	s_cbranch_execnz .LBB4_3055
.LBB4_2448:                             ;   in Loop: Header=BB4_1985 Depth=4
	s_or_b32 exec_lo, exec_lo, s35
	s_and_saveexec_b32 s34, s13
	s_cbranch_execz .LBB4_2450
.LBB4_2449:                             ;   in Loop: Header=BB4_1985 Depth=4
	v_and_b32_e32 v177, 3, v13
	v_bfe_u32 v47, v13, 2, 5
	s_delay_alu instid0(VALU_DEP_2) | instskip(NEXT) | instid1(VALU_DEP_2)
	v_clz_i32_u32_e32 v45, v177
	v_cmp_eq_u32_e32 vcc_lo, 0, v47
	s_delay_alu instid0(VALU_DEP_2) | instskip(NEXT) | instid1(VALU_DEP_1)
	v_min_u32_e32 v45, 32, v45
	v_subrev_nc_u32_e32 v46, 29, v45
	v_sub_nc_u32_e32 v45, 30, v45
	s_delay_alu instid0(VALU_DEP_2) | instskip(NEXT) | instid1(VALU_DEP_1)
	v_lshlrev_b32_e32 v46, v46, v13
	v_dual_cndmask_b32 v45, v47, v45 :: v_dual_and_b32 v46, 3, v46
	v_lshlrev_b32_e32 v56, 24, v13
	s_delay_alu instid0(VALU_DEP_2) | instskip(NEXT) | instid1(VALU_DEP_2)
	v_lshl_add_u32 v45, v45, 23, 0x37800000
	v_dual_cndmask_b32 v177, v177, v46 :: v_dual_and_b32 v46, 0x80000000, v56
	s_delay_alu instid0(VALU_DEP_1) | instskip(NEXT) | instid1(VALU_DEP_1)
	v_lshlrev_b32_e32 v177, 21, v177
	v_or3_b32 v177, v46, v45, v177
.LBB4_2450:                             ;   in Loop: Header=BB4_1985 Depth=4
	s_or_b32 exec_lo, exec_lo, s34
	s_delay_alu instid0(VALU_DEP_1) | instskip(NEXT) | instid1(VALU_DEP_1)
	v_add_f32_e32 v177, v166, v177
	v_and_b32_e32 v166, 0x7f800000, v177
	s_delay_alu instid0(VALU_DEP_1)
	v_cmp_ne_u32_e32 vcc_lo, 0x7f800000, v166
	v_mov_b32_e32 v166, 0x80
	s_and_saveexec_b32 s34, vcc_lo
	s_cbranch_execz .LBB4_2458
; %bb.2451:                             ;   in Loop: Header=BB4_1985 Depth=4
	v_mov_b32_e32 v166, 0
	s_mov_b32 s35, exec_lo
	v_cmpx_ne_u32_e32 0, v177
	s_cbranch_execz .LBB4_2457
; %bb.2452:                             ;   in Loop: Header=BB4_1985 Depth=4
	v_bfe_u32 v166, v177, 23, 8
	s_delay_alu instid0(VALU_DEP_1) | instskip(SKIP_1) | instid1(VALU_DEP_2)
	v_sub_nc_u32_e32 v46, 0x70, v166
	v_cmp_gt_u32_e32 vcc_lo, 0x71, v166
	v_dual_cndmask_b32 v46, 0, v46 :: v_dual_and_b32 v45, 0x7fffff, v177
	s_delay_alu instid0(VALU_DEP_1) | instskip(SKIP_2) | instid1(VALU_DEP_4)
	v_or_b32_e32 v47, 0x800000, v45
	v_cmp_eq_u32_e32 vcc_lo, 0, v166
	v_add_nc_u32_e32 v166, 0xffffff91, v166
	v_cndmask_b32_e64 v46, v46, 0x6f, vcc_lo
	s_delay_alu instid0(VALU_DEP_4) | instskip(NEXT) | instid1(VALU_DEP_3)
	v_cndmask_b32_e32 v45, v47, v45, vcc_lo
	v_cndmask_b32_e64 v166, v166, 0xffffff92, vcc_lo
	s_delay_alu instid0(VALU_DEP_3) | instskip(NEXT) | instid1(VALU_DEP_3)
	v_lshl_add_u32 v47, 0x200000, v46, -1
	v_lshrrev_b32_e32 v56, v46, v45
	v_lshlrev_b32_e64 v58, v46, 0x100000
	s_delay_alu instid0(VALU_DEP_4) | instskip(NEXT) | instid1(VALU_DEP_4)
	v_add_nc_u32_e32 v46, v46, v166
	v_and_b32_e32 v45, v47, v45
	s_delay_alu instid0(VALU_DEP_4) | instskip(NEXT) | instid1(VALU_DEP_2)
	v_bfe_u32 v57, v56, 21, 1
	v_cmp_eq_u32_e64 s13, v45, v58
	s_delay_alu instid0(VALU_DEP_2) | instskip(NEXT) | instid1(VALU_DEP_1)
	v_add_nc_u32_e32 v47, -1, v57
	v_cndmask_b32_e64 v45, 0, v47, s13
	v_lshrrev_b32_e32 v47, 23, v56
	s_mov_b32 s13, exec_lo
	s_delay_alu instid0(VALU_DEP_2) | instskip(NEXT) | instid1(VALU_DEP_2)
	v_add_nc_u32_e32 v45, v45, v56
	v_xor_b32_e32 v47, 1, v47
	s_delay_alu instid0(VALU_DEP_2) | instskip(NEXT) | instid1(VALU_DEP_1)
	v_and_b32_e32 v166, 0x1fffff, v45
	v_add_nc_u32_e32 v45, v166, v56
                                        ; implicit-def: $vgpr166
	s_delay_alu instid0(VALU_DEP_3)
	v_cmpx_ne_u32_e64 v46, v47
	s_xor_b32 s13, exec_lo, s13
; %bb.2453:                             ;   in Loop: Header=BB4_1985 Depth=4
	s_delay_alu instid0(VALU_DEP_2) | instskip(SKIP_2) | instid1(VALU_DEP_2)
	v_cmp_lt_u32_e32 vcc_lo, 0xffffff, v45
	v_sub_nc_u32_e32 v166, v46, v47
	v_cndmask_b32_e64 v46, 0, 1, vcc_lo
	v_add_co_ci_u32_e32 v166, vcc_lo, 0, v166, vcc_lo
	s_delay_alu instid0(VALU_DEP_2)
	v_lshrrev_b32_e32 v45, v46, v45
; %bb.2454:                             ;   in Loop: Header=BB4_1985 Depth=4
	s_and_not1_saveexec_b32 s13, s13
; %bb.2455:                             ;   in Loop: Header=BB4_1985 Depth=4
	s_delay_alu instid0(VALU_DEP_1)
	v_bfe_u32 v166, v45, 23, 1
; %bb.2456:                             ;   in Loop: Header=BB4_1985 Depth=4
	s_or_b32 exec_lo, exec_lo, s13
	v_lshrrev_b32_e32 v45, 21, v45
	s_delay_alu instid0(VALU_DEP_2) | instskip(SKIP_2) | instid1(VALU_DEP_4)
	v_cmp_gt_i32_e32 vcc_lo, 32, v166
	v_lshrrev_b32_e32 v177, 24, v177
	v_min_i32_e32 v46, 31, v166
	v_cndmask_b32_e32 v45, 3, v45, vcc_lo
	s_delay_alu instid0(VALU_DEP_3) | instskip(NEXT) | instid1(VALU_DEP_3)
	v_and_b32_e32 v177, 0x80, v177
	v_lshlrev_b32_e32 v46, 2, v46
	s_delay_alu instid0(VALU_DEP_3) | instskip(SKIP_1) | instid1(VALU_DEP_2)
	v_and_b32_e32 v47, 3, v45
	v_or_b32_e32 v166, v166, v45
	v_or3_b32 v177, v46, v177, v47
	s_delay_alu instid0(VALU_DEP_2) | instskip(NEXT) | instid1(VALU_DEP_2)
	v_cmp_ne_u32_e32 vcc_lo, 0, v166
	v_cndmask_b32_e32 v166, 0, v177, vcc_lo
.LBB4_2457:                             ;   in Loop: Header=BB4_1985 Depth=4
	s_or_b32 exec_lo, exec_lo, s35
.LBB4_2458:                             ;   in Loop: Header=BB4_1985 Depth=4
	s_delay_alu instid0(SALU_CYCLE_1) | instskip(SKIP_3) | instid1(VALU_DEP_1)
	s_or_b32 exec_lo, exec_lo, s34
	v_lshrrev_b16 v45, 8, v44
	s_mov_b32 s13, 0
	s_mov_b32 s35, exec_lo
                                        ; implicit-def: $sgpr34
	v_cmpx_lt_i16_e32 0x7f, v45
	s_xor_b32 s35, exec_lo, s35
	s_cbranch_execnz .LBB4_3056
; %bb.2459:                             ;   in Loop: Header=BB4_1985 Depth=4
	s_or_saveexec_b32 s35, s35
	v_mov_b32_e32 v177, s34
	s_xor_b32 exec_lo, exec_lo, s35
	s_cbranch_execnz .LBB4_3059
.LBB4_2460:                             ;   in Loop: Header=BB4_1985 Depth=4
	s_or_b32 exec_lo, exec_lo, s35
	s_and_saveexec_b32 s34, s13
	s_cbranch_execz .LBB4_2462
.LBB4_2461:                             ;   in Loop: Header=BB4_1985 Depth=4
	v_and_b32_e32 v177, 0xffff, v45
	v_lshlrev_b32_e32 v45, 24, v45
	s_delay_alu instid0(VALU_DEP_2) | instskip(NEXT) | instid1(VALU_DEP_2)
	v_and_b32_e32 v46, 3, v177
	v_and_b32_e32 v45, 0x80000000, v45
	s_delay_alu instid0(VALU_DEP_2) | instskip(NEXT) | instid1(VALU_DEP_1)
	v_clz_i32_u32_e32 v47, v46
	v_min_u32_e32 v47, 32, v47
	s_delay_alu instid0(VALU_DEP_1) | instskip(SKIP_1) | instid1(VALU_DEP_2)
	v_subrev_nc_u32_e32 v56, 29, v47
	v_sub_nc_u32_e32 v47, 30, v47
	v_lshlrev_b32_e32 v56, v56, v177
	v_bfe_u32 v177, v177, 2, 5
	s_delay_alu instid0(VALU_DEP_2) | instskip(NEXT) | instid1(VALU_DEP_2)
	v_and_b32_e32 v56, 3, v56
	v_cmp_eq_u32_e32 vcc_lo, 0, v177
	s_delay_alu instid0(VALU_DEP_2) | instskip(NEXT) | instid1(VALU_DEP_1)
	v_dual_cndmask_b32 v177, v177, v47 :: v_dual_cndmask_b32 v46, v46, v56
	v_lshl_add_u32 v177, v177, 23, 0x37800000
	s_delay_alu instid0(VALU_DEP_2) | instskip(NEXT) | instid1(VALU_DEP_1)
	v_lshlrev_b32_e32 v46, 21, v46
	v_or3_b32 v177, v45, v177, v46
.LBB4_2462:                             ;   in Loop: Header=BB4_1985 Depth=4
	s_or_b32 exec_lo, exec_lo, s34
	v_lshrrev_b16 v45, 8, v13
	s_mov_b32 s13, 0
	s_mov_b32 s35, exec_lo
                                        ; implicit-def: $sgpr34
	s_delay_alu instid0(VALU_DEP_1)
	v_cmpx_lt_i16_e32 0x7f, v45
	s_xor_b32 s35, exec_lo, s35
	s_cbranch_execnz .LBB4_3060
; %bb.2463:                             ;   in Loop: Header=BB4_1985 Depth=4
	s_or_saveexec_b32 s35, s35
	v_mov_b32_e32 v46, s34
	s_xor_b32 exec_lo, exec_lo, s35
	s_cbranch_execnz .LBB4_3063
.LBB4_2464:                             ;   in Loop: Header=BB4_1985 Depth=4
	s_or_b32 exec_lo, exec_lo, s35
	s_and_saveexec_b32 s34, s13
	s_cbranch_execz .LBB4_2466
.LBB4_2465:                             ;   in Loop: Header=BB4_1985 Depth=4
	v_and_b32_e32 v46, 0xffff, v45
	v_lshlrev_b32_e32 v45, 24, v45
	s_delay_alu instid0(VALU_DEP_2) | instskip(NEXT) | instid1(VALU_DEP_2)
	v_and_b32_e32 v47, 3, v46
	v_and_b32_e32 v45, 0x80000000, v45
	s_delay_alu instid0(VALU_DEP_2) | instskip(NEXT) | instid1(VALU_DEP_1)
	v_clz_i32_u32_e32 v56, v47
	v_min_u32_e32 v56, 32, v56
	s_delay_alu instid0(VALU_DEP_1) | instskip(SKIP_1) | instid1(VALU_DEP_2)
	v_subrev_nc_u32_e32 v57, 29, v56
	v_sub_nc_u32_e32 v56, 30, v56
	v_lshlrev_b32_e32 v57, v57, v46
	v_bfe_u32 v46, v46, 2, 5
	s_delay_alu instid0(VALU_DEP_2) | instskip(NEXT) | instid1(VALU_DEP_2)
	v_and_b32_e32 v57, 3, v57
	v_cmp_eq_u32_e32 vcc_lo, 0, v46
	s_delay_alu instid0(VALU_DEP_2) | instskip(NEXT) | instid1(VALU_DEP_1)
	v_dual_cndmask_b32 v46, v46, v56 :: v_dual_cndmask_b32 v47, v47, v57
	v_lshl_add_u32 v46, v46, 23, 0x37800000
	s_delay_alu instid0(VALU_DEP_2) | instskip(NEXT) | instid1(VALU_DEP_1)
	v_lshlrev_b32_e32 v47, 21, v47
	v_or3_b32 v46, v45, v46, v47
.LBB4_2466:                             ;   in Loop: Header=BB4_1985 Depth=4
	s_or_b32 exec_lo, exec_lo, s34
	s_delay_alu instid0(VALU_DEP_1) | instskip(NEXT) | instid1(VALU_DEP_1)
	v_add_f32_e32 v45, v177, v46
	v_and_b32_e32 v177, 0x7f800000, v45
	s_delay_alu instid0(VALU_DEP_1)
	v_cmp_ne_u32_e32 vcc_lo, 0x7f800000, v177
	v_mov_b32_e32 v177, 0x8000
	s_and_saveexec_b32 s34, vcc_lo
	s_cbranch_execz .LBB4_2474
; %bb.2467:                             ;   in Loop: Header=BB4_1985 Depth=4
	v_mov_b32_e32 v177, 0
	s_mov_b32 s35, exec_lo
	v_cmpx_ne_u32_e32 0, v45
	s_cbranch_execz .LBB4_2473
; %bb.2468:                             ;   in Loop: Header=BB4_1985 Depth=4
	v_bfe_u32 v177, v45, 23, 8
	s_delay_alu instid0(VALU_DEP_1) | instskip(SKIP_1) | instid1(VALU_DEP_2)
	v_sub_nc_u32_e32 v47, 0x70, v177
	v_cmp_gt_u32_e32 vcc_lo, 0x71, v177
	v_dual_cndmask_b32 v47, 0, v47 :: v_dual_and_b32 v46, 0x7fffff, v45
	s_delay_alu instid0(VALU_DEP_1) | instskip(SKIP_2) | instid1(VALU_DEP_4)
	v_or_b32_e32 v56, 0x800000, v46
	v_cmp_eq_u32_e32 vcc_lo, 0, v177
	v_add_nc_u32_e32 v177, 0xffffff91, v177
	v_cndmask_b32_e64 v47, v47, 0x6f, vcc_lo
	s_delay_alu instid0(VALU_DEP_4) | instskip(NEXT) | instid1(VALU_DEP_3)
	v_cndmask_b32_e32 v46, v56, v46, vcc_lo
	v_cndmask_b32_e64 v177, v177, 0xffffff92, vcc_lo
	s_delay_alu instid0(VALU_DEP_3) | instskip(NEXT) | instid1(VALU_DEP_3)
	v_lshl_add_u32 v56, 0x200000, v47, -1
	v_lshrrev_b32_e32 v57, v47, v46
	v_lshlrev_b32_e64 v59, v47, 0x100000
	s_delay_alu instid0(VALU_DEP_4) | instskip(NEXT) | instid1(VALU_DEP_4)
	v_add_nc_u32_e32 v47, v47, v177
	v_and_b32_e32 v46, v56, v46
	s_delay_alu instid0(VALU_DEP_4) | instskip(NEXT) | instid1(VALU_DEP_2)
	v_bfe_u32 v58, v57, 21, 1
	v_cmp_eq_u32_e64 s13, v46, v59
	s_delay_alu instid0(VALU_DEP_2) | instskip(NEXT) | instid1(VALU_DEP_1)
	v_add_nc_u32_e32 v56, -1, v58
	v_cndmask_b32_e64 v46, 0, v56, s13
	v_lshrrev_b32_e32 v56, 23, v57
	s_mov_b32 s13, exec_lo
	s_delay_alu instid0(VALU_DEP_2) | instskip(NEXT) | instid1(VALU_DEP_2)
	v_add_nc_u32_e32 v46, v46, v57
	v_xor_b32_e32 v56, 1, v56
	s_delay_alu instid0(VALU_DEP_2) | instskip(NEXT) | instid1(VALU_DEP_1)
	v_and_b32_e32 v177, 0x1fffff, v46
	v_add_nc_u32_e32 v46, v177, v57
                                        ; implicit-def: $vgpr177
	s_delay_alu instid0(VALU_DEP_3)
	v_cmpx_ne_u32_e64 v47, v56
	s_xor_b32 s13, exec_lo, s13
; %bb.2469:                             ;   in Loop: Header=BB4_1985 Depth=4
	s_delay_alu instid0(VALU_DEP_2) | instskip(SKIP_2) | instid1(VALU_DEP_2)
	v_cmp_lt_u32_e32 vcc_lo, 0xffffff, v46
	v_sub_nc_u32_e32 v177, v47, v56
	v_cndmask_b32_e64 v47, 0, 1, vcc_lo
	v_add_co_ci_u32_e32 v177, vcc_lo, 0, v177, vcc_lo
	s_delay_alu instid0(VALU_DEP_2)
	v_lshrrev_b32_e32 v46, v47, v46
; %bb.2470:                             ;   in Loop: Header=BB4_1985 Depth=4
	s_and_not1_saveexec_b32 s13, s13
; %bb.2471:                             ;   in Loop: Header=BB4_1985 Depth=4
	s_delay_alu instid0(VALU_DEP_1)
	v_bfe_u32 v177, v46, 23, 1
; %bb.2472:                             ;   in Loop: Header=BB4_1985 Depth=4
	s_or_b32 exec_lo, exec_lo, s13
	v_lshrrev_b32_e32 v46, 21, v46
	s_delay_alu instid0(VALU_DEP_2) | instskip(SKIP_2) | instid1(VALU_DEP_2)
	v_cmp_gt_i32_e32 vcc_lo, 32, v177
	v_min_i32_e32 v47, 31, v177
	v_lshrrev_b32_e32 v45, 24, v45
	v_dual_cndmask_b32 v46, 3, v46 :: v_dual_lshlrev_b32 v47, 2, v47
	s_delay_alu instid0(VALU_DEP_2) | instskip(NEXT) | instid1(VALU_DEP_2)
	v_and_b32_e32 v45, 0x80, v45
	v_or_b32_e32 v177, v177, v46
	s_delay_alu instid0(VALU_DEP_3) | instskip(NEXT) | instid1(VALU_DEP_2)
	v_and_b32_e32 v47, 0xfc, v47
	v_cmp_ne_u32_e32 vcc_lo, 0, v177
	v_and_b32_e32 v56, 3, v46
	s_delay_alu instid0(VALU_DEP_1) | instskip(NEXT) | instid1(VALU_DEP_1)
	v_or3_b32 v45, v45, v47, v56
	v_lshlrev_b32_e32 v45, 8, v45
	s_delay_alu instid0(VALU_DEP_1)
	v_cndmask_b32_e32 v177, 0, v45, vcc_lo
.LBB4_2473:                             ;   in Loop: Header=BB4_1985 Depth=4
	s_or_b32 exec_lo, exec_lo, s35
.LBB4_2474:                             ;   in Loop: Header=BB4_1985 Depth=4
	s_delay_alu instid0(SALU_CYCLE_1) | instskip(SKIP_3) | instid1(VALU_DEP_1)
	s_or_b32 exec_lo, exec_lo, s34
	v_or_b32_e32 v43, v43, v182
	s_mov_b32 s13, 0
	s_mov_b32 s35, exec_lo
                                        ; implicit-def: $sgpr34
	v_and_b32_e32 v45, 0xff, v43
	s_delay_alu instid0(VALU_DEP_1)
	v_cmpx_lt_i16_e32 0x7f, v45
	s_xor_b32 s35, exec_lo, s35
	s_cbranch_execnz .LBB4_3064
; %bb.2475:                             ;   in Loop: Header=BB4_1985 Depth=4
	s_or_saveexec_b32 s35, s35
	v_mov_b32_e32 v182, s34
	s_xor_b32 exec_lo, exec_lo, s35
	s_cbranch_execnz .LBB4_3067
.LBB4_2476:                             ;   in Loop: Header=BB4_1985 Depth=4
	s_or_b32 exec_lo, exec_lo, s35
	v_lshl_or_b32 v43, v43, 16, v44
	s_and_saveexec_b32 s34, s13
	s_cbranch_execz .LBB4_2478
.LBB4_2477:                             ;   in Loop: Header=BB4_1985 Depth=4
	s_delay_alu instid0(VALU_DEP_1) | instskip(SKIP_1) | instid1(VALU_DEP_2)
	v_bfe_u32 v182, v43, 16, 2
	v_lshrrev_b32_e32 v45, 16, v43
	v_clz_i32_u32_e32 v44, v182
	s_delay_alu instid0(VALU_DEP_1) | instskip(NEXT) | instid1(VALU_DEP_1)
	v_min_u32_e32 v44, 32, v44
	v_subrev_nc_u32_e32 v46, 29, v44
	v_sub_nc_u32_e32 v44, 30, v44
	s_delay_alu instid0(VALU_DEP_2) | instskip(SKIP_1) | instid1(VALU_DEP_1)
	v_lshlrev_b32_e32 v45, v46, v45
	v_bfe_u32 v46, v43, 18, 5
	v_cmp_eq_u32_e32 vcc_lo, 0, v46
	s_delay_alu instid0(VALU_DEP_3) | instskip(NEXT) | instid1(VALU_DEP_1)
	v_dual_cndmask_b32 v44, v46, v44 :: v_dual_and_b32 v45, 3, v45
	v_dual_cndmask_b32 v182, v182, v45 :: v_dual_lshlrev_b32 v47, 8, v43
	s_delay_alu instid0(VALU_DEP_2) | instskip(NEXT) | instid1(VALU_DEP_2)
	v_lshl_add_u32 v44, v44, 23, 0x37800000
	v_and_b32_e32 v45, 0x80000000, v47
	s_delay_alu instid0(VALU_DEP_3) | instskip(NEXT) | instid1(VALU_DEP_1)
	v_lshlrev_b32_e32 v182, 21, v182
	v_or3_b32 v182, v45, v44, v182
.LBB4_2478:                             ;   in Loop: Header=BB4_1985 Depth=4
	s_or_b32 exec_lo, exec_lo, s34
	v_lshrrev_b32_e32 v44, 16, v13
	s_mov_b32 s13, 0
	s_mov_b32 s35, exec_lo
                                        ; implicit-def: $sgpr34
	s_delay_alu instid0(VALU_DEP_1) | instskip(NEXT) | instid1(VALU_DEP_1)
	v_and_b32_e32 v46, 0xff, v44
	v_cmpx_lt_i16_e32 0x7f, v46
	s_xor_b32 s35, exec_lo, s35
	s_cbranch_execnz .LBB4_3068
; %bb.2479:                             ;   in Loop: Header=BB4_1985 Depth=4
	s_or_saveexec_b32 s35, s35
	v_mov_b32_e32 v45, s34
	s_xor_b32 exec_lo, exec_lo, s35
	s_cbranch_execnz .LBB4_3071
.LBB4_2480:                             ;   in Loop: Header=BB4_1985 Depth=4
	s_or_b32 exec_lo, exec_lo, s35
	s_and_saveexec_b32 s34, s13
	s_cbranch_execz .LBB4_2482
.LBB4_2481:                             ;   in Loop: Header=BB4_1985 Depth=4
	v_bfe_u32 v45, v13, 16, 2
	v_lshlrev_b32_e32 v56, 8, v13
	s_delay_alu instid0(VALU_DEP_2) | instskip(NEXT) | instid1(VALU_DEP_1)
	v_clz_i32_u32_e32 v46, v45
	v_min_u32_e32 v46, 32, v46
	s_delay_alu instid0(VALU_DEP_1) | instskip(SKIP_1) | instid1(VALU_DEP_2)
	v_subrev_nc_u32_e32 v47, 29, v46
	v_sub_nc_u32_e32 v46, 30, v46
	v_lshlrev_b32_e32 v44, v47, v44
	v_bfe_u32 v47, v13, 18, 5
	s_delay_alu instid0(VALU_DEP_2) | instskip(NEXT) | instid1(VALU_DEP_2)
	v_and_b32_e32 v44, 3, v44
	v_cmp_eq_u32_e32 vcc_lo, 0, v47
	v_cndmask_b32_e32 v46, v47, v46, vcc_lo
	s_delay_alu instid0(VALU_DEP_3) | instskip(SKIP_1) | instid1(VALU_DEP_3)
	v_cndmask_b32_e32 v44, v45, v44, vcc_lo
	v_and_b32_e32 v45, 0x80000000, v56
	v_lshl_add_u32 v46, v46, 23, 0x37800000
	s_delay_alu instid0(VALU_DEP_3) | instskip(NEXT) | instid1(VALU_DEP_1)
	v_lshlrev_b32_e32 v44, 21, v44
	v_or3_b32 v45, v45, v46, v44
.LBB4_2482:                             ;   in Loop: Header=BB4_1985 Depth=4
	s_or_b32 exec_lo, exec_lo, s34
	s_delay_alu instid0(VALU_DEP_1) | instskip(NEXT) | instid1(VALU_DEP_1)
	v_add_f32_e32 v44, v182, v45
	v_and_b32_e32 v182, 0x7f800000, v44
	s_delay_alu instid0(VALU_DEP_1)
	v_cmp_ne_u32_e32 vcc_lo, 0x7f800000, v182
	v_mov_b32_e32 v182, 0x80
	s_and_saveexec_b32 s34, vcc_lo
	s_cbranch_execz .LBB4_2490
; %bb.2483:                             ;   in Loop: Header=BB4_1985 Depth=4
	v_mov_b32_e32 v182, 0
	s_mov_b32 s35, exec_lo
	v_cmpx_ne_u32_e32 0, v44
	s_cbranch_execz .LBB4_2489
; %bb.2484:                             ;   in Loop: Header=BB4_1985 Depth=4
	v_bfe_u32 v182, v44, 23, 8
	s_delay_alu instid0(VALU_DEP_1) | instskip(SKIP_1) | instid1(VALU_DEP_2)
	v_sub_nc_u32_e32 v46, 0x70, v182
	v_cmp_gt_u32_e32 vcc_lo, 0x71, v182
	v_dual_cndmask_b32 v46, 0, v46 :: v_dual_and_b32 v45, 0x7fffff, v44
	s_delay_alu instid0(VALU_DEP_1) | instskip(SKIP_2) | instid1(VALU_DEP_4)
	v_or_b32_e32 v47, 0x800000, v45
	v_cmp_eq_u32_e32 vcc_lo, 0, v182
	v_add_nc_u32_e32 v182, 0xffffff91, v182
	v_cndmask_b32_e64 v46, v46, 0x6f, vcc_lo
	s_delay_alu instid0(VALU_DEP_4) | instskip(NEXT) | instid1(VALU_DEP_3)
	v_cndmask_b32_e32 v45, v47, v45, vcc_lo
	v_cndmask_b32_e64 v182, v182, 0xffffff92, vcc_lo
	s_delay_alu instid0(VALU_DEP_3) | instskip(NEXT) | instid1(VALU_DEP_3)
	v_lshl_add_u32 v47, 0x200000, v46, -1
	v_lshrrev_b32_e32 v56, v46, v45
	v_lshlrev_b32_e64 v58, v46, 0x100000
	s_delay_alu instid0(VALU_DEP_4) | instskip(NEXT) | instid1(VALU_DEP_4)
	v_add_nc_u32_e32 v46, v46, v182
	v_and_b32_e32 v45, v47, v45
	s_delay_alu instid0(VALU_DEP_4) | instskip(NEXT) | instid1(VALU_DEP_2)
	v_bfe_u32 v57, v56, 21, 1
	v_cmp_eq_u32_e64 s13, v45, v58
	s_delay_alu instid0(VALU_DEP_2) | instskip(NEXT) | instid1(VALU_DEP_1)
	v_add_nc_u32_e32 v47, -1, v57
	v_cndmask_b32_e64 v45, 0, v47, s13
	v_lshrrev_b32_e32 v47, 23, v56
	s_mov_b32 s13, exec_lo
	s_delay_alu instid0(VALU_DEP_2) | instskip(NEXT) | instid1(VALU_DEP_2)
	v_add_nc_u32_e32 v45, v45, v56
	v_xor_b32_e32 v47, 1, v47
	s_delay_alu instid0(VALU_DEP_2) | instskip(NEXT) | instid1(VALU_DEP_1)
	v_and_b32_e32 v182, 0x1fffff, v45
	v_add_nc_u32_e32 v45, v182, v56
                                        ; implicit-def: $vgpr182
	s_delay_alu instid0(VALU_DEP_3)
	v_cmpx_ne_u32_e64 v46, v47
	s_xor_b32 s13, exec_lo, s13
; %bb.2485:                             ;   in Loop: Header=BB4_1985 Depth=4
	s_delay_alu instid0(VALU_DEP_2) | instskip(SKIP_2) | instid1(VALU_DEP_2)
	v_cmp_lt_u32_e32 vcc_lo, 0xffffff, v45
	v_sub_nc_u32_e32 v182, v46, v47
	v_cndmask_b32_e64 v46, 0, 1, vcc_lo
	v_add_co_ci_u32_e32 v182, vcc_lo, 0, v182, vcc_lo
	s_delay_alu instid0(VALU_DEP_2)
	v_lshrrev_b32_e32 v45, v46, v45
; %bb.2486:                             ;   in Loop: Header=BB4_1985 Depth=4
	s_and_not1_saveexec_b32 s13, s13
; %bb.2487:                             ;   in Loop: Header=BB4_1985 Depth=4
	s_delay_alu instid0(VALU_DEP_1)
	v_bfe_u32 v182, v45, 23, 1
; %bb.2488:                             ;   in Loop: Header=BB4_1985 Depth=4
	s_or_b32 exec_lo, exec_lo, s13
	v_lshrrev_b32_e32 v45, 21, v45
	s_delay_alu instid0(VALU_DEP_2) | instskip(SKIP_2) | instid1(VALU_DEP_2)
	v_cmp_gt_i32_e32 vcc_lo, 32, v182
	v_min_i32_e32 v46, 31, v182
	v_lshrrev_b32_e32 v44, 24, v44
	v_dual_cndmask_b32 v45, 3, v45 :: v_dual_lshlrev_b32 v46, 2, v46
	s_delay_alu instid0(VALU_DEP_2) | instskip(NEXT) | instid1(VALU_DEP_2)
	v_and_b32_e32 v44, 0x80, v44
	v_or_b32_e32 v182, v182, v45
	s_delay_alu instid0(VALU_DEP_3) | instskip(NEXT) | instid1(VALU_DEP_2)
	v_and_b32_e32 v46, 0xfc, v46
	v_cmp_ne_u32_e32 vcc_lo, 0, v182
	v_and_b32_e32 v47, 3, v45
	s_delay_alu instid0(VALU_DEP_1) | instskip(NEXT) | instid1(VALU_DEP_1)
	v_or3_b32 v44, v46, v44, v47
	v_cndmask_b32_e32 v182, 0, v44, vcc_lo
.LBB4_2489:                             ;   in Loop: Header=BB4_1985 Depth=4
	s_or_b32 exec_lo, exec_lo, s35
.LBB4_2490:                             ;   in Loop: Header=BB4_1985 Depth=4
	s_delay_alu instid0(SALU_CYCLE_1) | instskip(SKIP_3) | instid1(VALU_DEP_1)
	s_or_b32 exec_lo, exec_lo, s34
	v_lshrrev_b32_e32 v45, 24, v43
	s_mov_b32 s13, 0
	s_mov_b32 s35, exec_lo
                                        ; implicit-def: $sgpr34
	v_cmpx_lt_i16_e32 0x7f, v45
	s_xor_b32 s35, exec_lo, s35
	s_cbranch_execnz .LBB4_3072
; %bb.2491:                             ;   in Loop: Header=BB4_1985 Depth=4
	s_or_saveexec_b32 s35, s35
	v_mov_b32_e32 v44, s34
	s_xor_b32 exec_lo, exec_lo, s35
	s_cbranch_execnz .LBB4_3075
.LBB4_2492:                             ;   in Loop: Header=BB4_1985 Depth=4
	s_or_b32 exec_lo, exec_lo, s35
	s_and_saveexec_b32 s34, s13
	s_cbranch_execz .LBB4_2494
.LBB4_2493:                             ;   in Loop: Header=BB4_1985 Depth=4
	v_bfe_u32 v44, v43, 24, 2
	s_delay_alu instid0(VALU_DEP_1) | instskip(NEXT) | instid1(VALU_DEP_1)
	v_clz_i32_u32_e32 v46, v44
	v_min_u32_e32 v46, 32, v46
	s_delay_alu instid0(VALU_DEP_1) | instskip(SKIP_1) | instid1(VALU_DEP_2)
	v_subrev_nc_u32_e32 v47, 29, v46
	v_sub_nc_u32_e32 v46, 30, v46
	v_lshlrev_b32_e32 v45, v47, v45
	v_bfe_u32 v47, v43, 26, 5
	v_and_b32_e32 v43, 0x80000000, v43
	s_delay_alu instid0(VALU_DEP_2) | instskip(NEXT) | instid1(VALU_DEP_4)
	v_cmp_eq_u32_e32 vcc_lo, 0, v47
	v_dual_cndmask_b32 v46, v47, v46 :: v_dual_and_b32 v45, 3, v45
	s_delay_alu instid0(VALU_DEP_1) | instskip(NEXT) | instid1(VALU_DEP_2)
	v_cndmask_b32_e32 v44, v44, v45, vcc_lo
	v_lshl_add_u32 v45, v46, 23, 0x37800000
	s_delay_alu instid0(VALU_DEP_2) | instskip(NEXT) | instid1(VALU_DEP_1)
	v_lshlrev_b32_e32 v44, 21, v44
	v_or3_b32 v44, v43, v45, v44
.LBB4_2494:                             ;   in Loop: Header=BB4_1985 Depth=4
	s_or_b32 exec_lo, exec_lo, s34
	v_lshrrev_b32_e32 v43, 24, v13
	s_mov_b32 s13, 0
	s_mov_b32 s35, exec_lo
                                        ; implicit-def: $sgpr34
	s_delay_alu instid0(VALU_DEP_1)
	v_cmpx_lt_i16_e32 0x7f, v43
	s_xor_b32 s35, exec_lo, s35
	s_cbranch_execnz .LBB4_3076
; %bb.2495:                             ;   in Loop: Header=BB4_1985 Depth=4
	s_or_saveexec_b32 s35, s35
	v_mov_b32_e32 v45, s34
	s_xor_b32 exec_lo, exec_lo, s35
	s_cbranch_execnz .LBB4_3079
.LBB4_2496:                             ;   in Loop: Header=BB4_1985 Depth=4
	s_or_b32 exec_lo, exec_lo, s35
	s_and_saveexec_b32 s34, s13
	s_cbranch_execz .LBB4_2498
.LBB4_2497:                             ;   in Loop: Header=BB4_1985 Depth=4
	v_bfe_u32 v45, v13, 24, 2
	s_delay_alu instid0(VALU_DEP_1) | instskip(NEXT) | instid1(VALU_DEP_1)
	v_clz_i32_u32_e32 v46, v45
	v_min_u32_e32 v46, 32, v46
	s_delay_alu instid0(VALU_DEP_1) | instskip(SKIP_1) | instid1(VALU_DEP_2)
	v_subrev_nc_u32_e32 v47, 29, v46
	v_sub_nc_u32_e32 v46, 30, v46
	v_lshlrev_b32_e32 v43, v47, v43
	v_bfe_u32 v47, v13, 26, 5
	v_and_b32_e32 v13, 0x80000000, v13
	s_delay_alu instid0(VALU_DEP_2) | instskip(NEXT) | instid1(VALU_DEP_4)
	v_cmp_eq_u32_e32 vcc_lo, 0, v47
	v_dual_cndmask_b32 v46, v47, v46 :: v_dual_and_b32 v43, 3, v43
	s_delay_alu instid0(VALU_DEP_1) | instskip(NEXT) | instid1(VALU_DEP_2)
	v_cndmask_b32_e32 v43, v45, v43, vcc_lo
	v_lshl_add_u32 v45, v46, 23, 0x37800000
	s_delay_alu instid0(VALU_DEP_2) | instskip(NEXT) | instid1(VALU_DEP_1)
	v_lshlrev_b32_e32 v43, 21, v43
	v_or3_b32 v45, v13, v45, v43
.LBB4_2498:                             ;   in Loop: Header=BB4_1985 Depth=4
	s_or_b32 exec_lo, exec_lo, s34
	s_delay_alu instid0(VALU_DEP_1) | instskip(NEXT) | instid1(VALU_DEP_1)
	v_add_f32_e32 v43, v44, v45
	v_and_b32_e32 v13, 0x7f800000, v43
	s_delay_alu instid0(VALU_DEP_1)
	v_cmp_ne_u32_e32 vcc_lo, 0x7f800000, v13
	v_mov_b32_e32 v13, 0x8000
	s_and_saveexec_b32 s34, vcc_lo
	s_cbranch_execz .LBB4_2506
; %bb.2499:                             ;   in Loop: Header=BB4_1985 Depth=4
	v_mov_b32_e32 v13, 0
	s_mov_b32 s35, exec_lo
	v_cmpx_ne_u32_e32 0, v43
	s_cbranch_execz .LBB4_2505
; %bb.2500:                             ;   in Loop: Header=BB4_1985 Depth=4
	v_bfe_u32 v13, v43, 23, 8
	s_delay_alu instid0(VALU_DEP_1) | instskip(SKIP_1) | instid1(VALU_DEP_2)
	v_sub_nc_u32_e32 v45, 0x70, v13
	v_cmp_gt_u32_e32 vcc_lo, 0x71, v13
	v_dual_cndmask_b32 v45, 0, v45 :: v_dual_and_b32 v44, 0x7fffff, v43
	s_delay_alu instid0(VALU_DEP_1) | instskip(SKIP_2) | instid1(VALU_DEP_4)
	v_or_b32_e32 v46, 0x800000, v44
	v_cmp_eq_u32_e32 vcc_lo, 0, v13
	v_add_nc_u32_e32 v13, 0xffffff91, v13
	v_cndmask_b32_e64 v45, v45, 0x6f, vcc_lo
	s_delay_alu instid0(VALU_DEP_4) | instskip(NEXT) | instid1(VALU_DEP_3)
	v_cndmask_b32_e32 v44, v46, v44, vcc_lo
	v_cndmask_b32_e64 v13, v13, 0xffffff92, vcc_lo
	s_delay_alu instid0(VALU_DEP_3) | instskip(NEXT) | instid1(VALU_DEP_3)
	v_lshl_add_u32 v46, 0x200000, v45, -1
	v_lshrrev_b32_e32 v47, v45, v44
	v_lshlrev_b32_e64 v57, v45, 0x100000
	s_delay_alu instid0(VALU_DEP_4) | instskip(NEXT) | instid1(VALU_DEP_4)
	v_add_nc_u32_e32 v45, v45, v13
	v_and_b32_e32 v44, v46, v44
	s_delay_alu instid0(VALU_DEP_4) | instskip(NEXT) | instid1(VALU_DEP_2)
	v_bfe_u32 v56, v47, 21, 1
	v_cmp_eq_u32_e64 s13, v44, v57
	s_delay_alu instid0(VALU_DEP_2) | instskip(NEXT) | instid1(VALU_DEP_1)
	v_add_nc_u32_e32 v46, -1, v56
	v_cndmask_b32_e64 v44, 0, v46, s13
	v_lshrrev_b32_e32 v46, 23, v47
	s_mov_b32 s13, exec_lo
	s_delay_alu instid0(VALU_DEP_2) | instskip(NEXT) | instid1(VALU_DEP_2)
	v_add_nc_u32_e32 v44, v44, v47
	v_xor_b32_e32 v46, 1, v46
	s_delay_alu instid0(VALU_DEP_2) | instskip(NEXT) | instid1(VALU_DEP_1)
	v_and_b32_e32 v13, 0x1fffff, v44
	v_add_nc_u32_e32 v44, v13, v47
                                        ; implicit-def: $vgpr13
	s_delay_alu instid0(VALU_DEP_3)
	v_cmpx_ne_u32_e64 v45, v46
	s_xor_b32 s13, exec_lo, s13
; %bb.2501:                             ;   in Loop: Header=BB4_1985 Depth=4
	s_delay_alu instid0(VALU_DEP_2) | instskip(SKIP_2) | instid1(VALU_DEP_2)
	v_cmp_lt_u32_e32 vcc_lo, 0xffffff, v44
	v_sub_nc_u32_e32 v13, v45, v46
	v_cndmask_b32_e64 v45, 0, 1, vcc_lo
	v_add_co_ci_u32_e32 v13, vcc_lo, 0, v13, vcc_lo
	s_delay_alu instid0(VALU_DEP_2)
	v_lshrrev_b32_e32 v44, v45, v44
; %bb.2502:                             ;   in Loop: Header=BB4_1985 Depth=4
	s_and_not1_saveexec_b32 s13, s13
; %bb.2503:                             ;   in Loop: Header=BB4_1985 Depth=4
	s_delay_alu instid0(VALU_DEP_1)
	v_bfe_u32 v13, v44, 23, 1
; %bb.2504:                             ;   in Loop: Header=BB4_1985 Depth=4
	s_or_b32 exec_lo, exec_lo, s13
	v_lshrrev_b32_e32 v44, 21, v44
	s_delay_alu instid0(VALU_DEP_2) | instskip(SKIP_2) | instid1(VALU_DEP_2)
	v_cmp_gt_i32_e32 vcc_lo, 32, v13
	v_min_i32_e32 v45, 31, v13
	v_lshrrev_b32_e32 v43, 24, v43
	v_dual_cndmask_b32 v44, 3, v44 :: v_dual_lshlrev_b32 v45, 2, v45
	s_delay_alu instid0(VALU_DEP_2) | instskip(NEXT) | instid1(VALU_DEP_2)
	v_and_b32_e32 v43, 0x80, v43
	v_or_b32_e32 v13, v13, v44
	s_delay_alu instid0(VALU_DEP_3) | instskip(NEXT) | instid1(VALU_DEP_2)
	v_and_b32_e32 v45, 0xfc, v45
	v_cmp_ne_u32_e32 vcc_lo, 0, v13
	v_and_b32_e32 v46, 3, v44
	s_delay_alu instid0(VALU_DEP_1) | instskip(NEXT) | instid1(VALU_DEP_1)
	v_or3_b32 v43, v43, v45, v46
	v_lshlrev_b32_e32 v43, 8, v43
	s_delay_alu instid0(VALU_DEP_1)
	v_cndmask_b32_e32 v13, 0, v43, vcc_lo
.LBB4_2505:                             ;   in Loop: Header=BB4_1985 Depth=4
	s_or_b32 exec_lo, exec_lo, s35
.LBB4_2506:                             ;   in Loop: Header=BB4_1985 Depth=4
	s_delay_alu instid0(SALU_CYCLE_1) | instskip(SKIP_3) | instid1(VALU_DEP_1)
	s_or_b32 exec_lo, exec_lo, s34
	v_and_b32_e32 v44, 0xff, v42
	s_mov_b32 s13, 0
	s_mov_b32 s35, exec_lo
                                        ; implicit-def: $sgpr34
	v_cmpx_lt_i16_e32 0x7f, v44
	s_xor_b32 s35, exec_lo, s35
	s_cbranch_execnz .LBB4_3080
; %bb.2507:                             ;   in Loop: Header=BB4_1985 Depth=4
	s_or_saveexec_b32 s35, s35
	v_mov_b32_e32 v43, s34
	s_xor_b32 exec_lo, exec_lo, s35
	s_cbranch_execnz .LBB4_3083
.LBB4_2508:                             ;   in Loop: Header=BB4_1985 Depth=4
	s_or_b32 exec_lo, exec_lo, s35
	s_and_saveexec_b32 s34, s13
	s_cbranch_execz .LBB4_2510
.LBB4_2509:                             ;   in Loop: Header=BB4_1985 Depth=4
	v_bfe_u32 v46, v42, 2, 5
	s_delay_alu instid0(VALU_DEP_1) | instskip(SKIP_1) | instid1(VALU_DEP_1)
	v_cmp_eq_u32_e32 vcc_lo, 0, v46
	v_and_b32_e32 v43, 3, v42
	v_clz_i32_u32_e32 v44, v43
	s_delay_alu instid0(VALU_DEP_1) | instskip(NEXT) | instid1(VALU_DEP_1)
	v_min_u32_e32 v44, 32, v44
	v_subrev_nc_u32_e32 v45, 29, v44
	v_sub_nc_u32_e32 v44, 30, v44
	s_delay_alu instid0(VALU_DEP_1) | instskip(NEXT) | instid1(VALU_DEP_1)
	v_dual_cndmask_b32 v44, v46, v44 :: v_dual_lshlrev_b32 v45, v45, v42
	v_and_b32_e32 v45, 3, v45
	v_lshlrev_b32_e32 v42, 24, v42
	s_delay_alu instid0(VALU_DEP_3) | instskip(NEXT) | instid1(VALU_DEP_2)
	v_lshl_add_u32 v44, v44, 23, 0x37800000
	v_dual_cndmask_b32 v43, v43, v45 :: v_dual_and_b32 v42, 0x80000000, v42
	s_delay_alu instid0(VALU_DEP_1) | instskip(NEXT) | instid1(VALU_DEP_1)
	v_lshlrev_b32_e32 v43, 21, v43
	v_or3_b32 v43, v42, v44, v43
.LBB4_2510:                             ;   in Loop: Header=BB4_1985 Depth=4
	s_or_b32 exec_lo, exec_lo, s34
	v_and_b32_e32 v44, 0xff, v14
	s_mov_b32 s13, 0
	s_mov_b32 s35, exec_lo
                                        ; implicit-def: $sgpr34
	s_delay_alu instid0(VALU_DEP_1)
	v_cmpx_lt_i16_e32 0x7f, v44
	s_xor_b32 s35, exec_lo, s35
	s_cbranch_execnz .LBB4_3084
; %bb.2511:                             ;   in Loop: Header=BB4_1985 Depth=4
	s_or_saveexec_b32 s35, s35
	v_mov_b32_e32 v42, s34
	s_xor_b32 exec_lo, exec_lo, s35
	s_cbranch_execnz .LBB4_3087
.LBB4_2512:                             ;   in Loop: Header=BB4_1985 Depth=4
	s_or_b32 exec_lo, exec_lo, s35
	s_and_saveexec_b32 s34, s13
	s_cbranch_execz .LBB4_2514
.LBB4_2513:                             ;   in Loop: Header=BB4_1985 Depth=4
	v_and_b32_e32 v42, 3, v14
	v_bfe_u32 v46, v14, 2, 5
	s_delay_alu instid0(VALU_DEP_2) | instskip(NEXT) | instid1(VALU_DEP_2)
	v_clz_i32_u32_e32 v44, v42
	v_cmp_eq_u32_e32 vcc_lo, 0, v46
	s_delay_alu instid0(VALU_DEP_2) | instskip(NEXT) | instid1(VALU_DEP_1)
	v_min_u32_e32 v44, 32, v44
	v_subrev_nc_u32_e32 v45, 29, v44
	v_sub_nc_u32_e32 v44, 30, v44
	s_delay_alu instid0(VALU_DEP_1) | instskip(NEXT) | instid1(VALU_DEP_1)
	v_dual_cndmask_b32 v44, v46, v44 :: v_dual_lshlrev_b32 v45, v45, v14
	v_and_b32_e32 v45, 3, v45
	v_lshlrev_b32_e32 v47, 24, v14
	s_delay_alu instid0(VALU_DEP_3) | instskip(NEXT) | instid1(VALU_DEP_2)
	v_lshl_add_u32 v44, v44, 23, 0x37800000
	v_dual_cndmask_b32 v42, v42, v45 :: v_dual_and_b32 v45, 0x80000000, v47
	s_delay_alu instid0(VALU_DEP_1) | instskip(NEXT) | instid1(VALU_DEP_1)
	v_lshlrev_b32_e32 v42, 21, v42
	v_or3_b32 v42, v45, v44, v42
.LBB4_2514:                             ;   in Loop: Header=BB4_1985 Depth=4
	s_or_b32 exec_lo, exec_lo, s34
	s_delay_alu instid0(VALU_DEP_1) | instskip(NEXT) | instid1(VALU_DEP_1)
	v_add_f32_e32 v43, v43, v42
	v_and_b32_e32 v42, 0x7f800000, v43
	s_delay_alu instid0(VALU_DEP_1)
	v_cmp_ne_u32_e32 vcc_lo, 0x7f800000, v42
	v_mov_b32_e32 v42, 0x80
	s_and_saveexec_b32 s34, vcc_lo
	s_cbranch_execz .LBB4_2522
; %bb.2515:                             ;   in Loop: Header=BB4_1985 Depth=4
	v_mov_b32_e32 v42, 0
	s_mov_b32 s35, exec_lo
	v_cmpx_ne_u32_e32 0, v43
	s_cbranch_execz .LBB4_2521
; %bb.2516:                             ;   in Loop: Header=BB4_1985 Depth=4
	v_bfe_u32 v42, v43, 23, 8
	s_delay_alu instid0(VALU_DEP_1) | instskip(SKIP_1) | instid1(VALU_DEP_2)
	v_sub_nc_u32_e32 v45, 0x70, v42
	v_cmp_gt_u32_e32 vcc_lo, 0x71, v42
	v_dual_cndmask_b32 v45, 0, v45 :: v_dual_and_b32 v44, 0x7fffff, v43
	s_delay_alu instid0(VALU_DEP_1) | instskip(SKIP_2) | instid1(VALU_DEP_4)
	v_or_b32_e32 v46, 0x800000, v44
	v_cmp_eq_u32_e32 vcc_lo, 0, v42
	v_add_nc_u32_e32 v42, 0xffffff91, v42
	v_cndmask_b32_e64 v45, v45, 0x6f, vcc_lo
	s_delay_alu instid0(VALU_DEP_2) | instskip(SKIP_1) | instid1(VALU_DEP_3)
	v_cndmask_b32_e64 v42, v42, 0xffffff92, vcc_lo
	v_cndmask_b32_e32 v44, v46, v44, vcc_lo
	v_lshl_add_u32 v46, 0x200000, v45, -1
	v_lshlrev_b32_e64 v57, v45, 0x100000
	s_delay_alu instid0(VALU_DEP_3) | instskip(SKIP_1) | instid1(VALU_DEP_4)
	v_lshrrev_b32_e32 v47, v45, v44
	v_add_nc_u32_e32 v45, v45, v42
	v_and_b32_e32 v44, v46, v44
	s_delay_alu instid0(VALU_DEP_3) | instskip(NEXT) | instid1(VALU_DEP_2)
	v_bfe_u32 v56, v47, 21, 1
	v_cmp_eq_u32_e64 s13, v44, v57
	s_delay_alu instid0(VALU_DEP_2) | instskip(NEXT) | instid1(VALU_DEP_1)
	v_add_nc_u32_e32 v46, -1, v56
	v_cndmask_b32_e64 v44, 0, v46, s13
	v_lshrrev_b32_e32 v46, 23, v47
	s_mov_b32 s13, exec_lo
	s_delay_alu instid0(VALU_DEP_2) | instskip(NEXT) | instid1(VALU_DEP_2)
	v_add_nc_u32_e32 v44, v44, v47
	v_xor_b32_e32 v46, 1, v46
	s_delay_alu instid0(VALU_DEP_2) | instskip(NEXT) | instid1(VALU_DEP_1)
	v_and_b32_e32 v42, 0x1fffff, v44
	v_add_nc_u32_e32 v44, v42, v47
                                        ; implicit-def: $vgpr42
	s_delay_alu instid0(VALU_DEP_3)
	v_cmpx_ne_u32_e64 v45, v46
	s_xor_b32 s13, exec_lo, s13
; %bb.2517:                             ;   in Loop: Header=BB4_1985 Depth=4
	s_delay_alu instid0(VALU_DEP_2) | instskip(SKIP_2) | instid1(VALU_DEP_2)
	v_cmp_lt_u32_e32 vcc_lo, 0xffffff, v44
	v_sub_nc_u32_e32 v42, v45, v46
	v_cndmask_b32_e64 v45, 0, 1, vcc_lo
	v_add_co_ci_u32_e32 v42, vcc_lo, 0, v42, vcc_lo
	s_delay_alu instid0(VALU_DEP_2)
	v_lshrrev_b32_e32 v44, v45, v44
; %bb.2518:                             ;   in Loop: Header=BB4_1985 Depth=4
	s_and_not1_saveexec_b32 s13, s13
; %bb.2519:                             ;   in Loop: Header=BB4_1985 Depth=4
	s_delay_alu instid0(VALU_DEP_1)
	v_bfe_u32 v42, v44, 23, 1
; %bb.2520:                             ;   in Loop: Header=BB4_1985 Depth=4
	s_or_b32 exec_lo, exec_lo, s13
	v_lshrrev_b32_e32 v44, 21, v44
	s_delay_alu instid0(VALU_DEP_2) | instskip(SKIP_2) | instid1(VALU_DEP_2)
	v_cmp_gt_i32_e32 vcc_lo, 32, v42
	v_lshrrev_b32_e32 v43, 24, v43
	v_min_i32_e32 v45, 31, v42
	v_dual_cndmask_b32 v44, 3, v44 :: v_dual_and_b32 v43, 0x80, v43
	s_delay_alu instid0(VALU_DEP_1) | instskip(SKIP_1) | instid1(VALU_DEP_2)
	v_or_b32_e32 v42, v42, v44
	v_and_b32_e32 v46, 3, v44
	v_cmp_ne_u32_e32 vcc_lo, 0, v42
	v_lshlrev_b32_e32 v45, 2, v45
	s_delay_alu instid0(VALU_DEP_1) | instskip(NEXT) | instid1(VALU_DEP_1)
	v_or3_b32 v43, v45, v43, v46
	v_cndmask_b32_e32 v42, 0, v43, vcc_lo
.LBB4_2521:                             ;   in Loop: Header=BB4_1985 Depth=4
	s_or_b32 exec_lo, exec_lo, s35
.LBB4_2522:                             ;   in Loop: Header=BB4_1985 Depth=4
	s_delay_alu instid0(SALU_CYCLE_1) | instskip(SKIP_3) | instid1(VALU_DEP_1)
	s_or_b32 exec_lo, exec_lo, s34
	v_and_b32_e32 v44, 0xff, v40
	s_mov_b32 s13, 0
	s_mov_b32 s35, exec_lo
                                        ; implicit-def: $sgpr34
	v_cmpx_lt_i16_e32 0x7f, v44
	s_xor_b32 s35, exec_lo, s35
	s_cbranch_execnz .LBB4_3088
; %bb.2523:                             ;   in Loop: Header=BB4_1985 Depth=4
	s_or_saveexec_b32 s35, s35
	v_mov_b32_e32 v43, s34
	s_xor_b32 exec_lo, exec_lo, s35
	s_cbranch_execnz .LBB4_3091
.LBB4_2524:                             ;   in Loop: Header=BB4_1985 Depth=4
	s_or_b32 exec_lo, exec_lo, s35
	s_and_saveexec_b32 s34, s13
	s_cbranch_execz .LBB4_2526
.LBB4_2525:                             ;   in Loop: Header=BB4_1985 Depth=4
	v_and_b32_e32 v43, 3, v40
	v_bfe_u32 v46, v40, 2, 5
	s_delay_alu instid0(VALU_DEP_2) | instskip(NEXT) | instid1(VALU_DEP_2)
	v_clz_i32_u32_e32 v44, v43
	v_cmp_eq_u32_e32 vcc_lo, 0, v46
	s_delay_alu instid0(VALU_DEP_2) | instskip(NEXT) | instid1(VALU_DEP_1)
	v_min_u32_e32 v44, 32, v44
	v_subrev_nc_u32_e32 v45, 29, v44
	v_sub_nc_u32_e32 v44, 30, v44
	s_delay_alu instid0(VALU_DEP_2) | instskip(NEXT) | instid1(VALU_DEP_1)
	v_lshlrev_b32_e32 v45, v45, v40
	v_dual_cndmask_b32 v44, v46, v44 :: v_dual_and_b32 v45, 3, v45
	v_lshlrev_b32_e32 v40, 24, v40
	s_delay_alu instid0(VALU_DEP_2) | instskip(NEXT) | instid1(VALU_DEP_2)
	v_lshl_add_u32 v44, v44, 23, 0x37800000
	v_dual_cndmask_b32 v43, v43, v45 :: v_dual_and_b32 v40, 0x80000000, v40
	s_delay_alu instid0(VALU_DEP_1) | instskip(NEXT) | instid1(VALU_DEP_1)
	v_lshlrev_b32_e32 v43, 21, v43
	v_or3_b32 v43, v40, v44, v43
.LBB4_2526:                             ;   in Loop: Header=BB4_1985 Depth=4
	s_or_b32 exec_lo, exec_lo, s34
	v_lshrrev_b16 v40, 8, v14
	s_mov_b32 s13, 0
	s_mov_b32 s35, exec_lo
                                        ; implicit-def: $sgpr34
	s_delay_alu instid0(VALU_DEP_1)
	v_cmpx_lt_i16_e32 0x7f, v40
	s_xor_b32 s35, exec_lo, s35
	s_cbranch_execnz .LBB4_3092
; %bb.2527:                             ;   in Loop: Header=BB4_1985 Depth=4
	s_or_saveexec_b32 s35, s35
	v_mov_b32_e32 v44, s34
	s_xor_b32 exec_lo, exec_lo, s35
	s_cbranch_execnz .LBB4_3095
.LBB4_2528:                             ;   in Loop: Header=BB4_1985 Depth=4
	s_or_b32 exec_lo, exec_lo, s35
	s_and_saveexec_b32 s34, s13
	s_cbranch_execz .LBB4_2530
.LBB4_2529:                             ;   in Loop: Header=BB4_1985 Depth=4
	v_and_b32_e32 v44, 0xffff, v40
	v_lshlrev_b32_e32 v40, 24, v40
	s_delay_alu instid0(VALU_DEP_2) | instskip(NEXT) | instid1(VALU_DEP_2)
	v_and_b32_e32 v45, 3, v44
	v_and_b32_e32 v40, 0x80000000, v40
	s_delay_alu instid0(VALU_DEP_2) | instskip(NEXT) | instid1(VALU_DEP_1)
	v_clz_i32_u32_e32 v46, v45
	v_min_u32_e32 v46, 32, v46
	s_delay_alu instid0(VALU_DEP_1) | instskip(SKIP_1) | instid1(VALU_DEP_2)
	v_subrev_nc_u32_e32 v47, 29, v46
	v_sub_nc_u32_e32 v46, 30, v46
	v_lshlrev_b32_e32 v47, v47, v44
	v_bfe_u32 v44, v44, 2, 5
	s_delay_alu instid0(VALU_DEP_2) | instskip(NEXT) | instid1(VALU_DEP_2)
	v_and_b32_e32 v47, 3, v47
	v_cmp_eq_u32_e32 vcc_lo, 0, v44
	s_delay_alu instid0(VALU_DEP_2) | instskip(NEXT) | instid1(VALU_DEP_1)
	v_dual_cndmask_b32 v44, v44, v46 :: v_dual_cndmask_b32 v45, v45, v47
	v_lshl_add_u32 v44, v44, 23, 0x37800000
	s_delay_alu instid0(VALU_DEP_2) | instskip(NEXT) | instid1(VALU_DEP_1)
	v_lshlrev_b32_e32 v45, 21, v45
	v_or3_b32 v44, v40, v44, v45
.LBB4_2530:                             ;   in Loop: Header=BB4_1985 Depth=4
	s_or_b32 exec_lo, exec_lo, s34
	s_delay_alu instid0(VALU_DEP_1) | instskip(NEXT) | instid1(VALU_DEP_1)
	v_add_f32_e32 v43, v43, v44
	v_and_b32_e32 v40, 0x7f800000, v43
	s_delay_alu instid0(VALU_DEP_1)
	v_cmp_ne_u32_e32 vcc_lo, 0x7f800000, v40
	v_mov_b32_e32 v40, 0x80
	s_and_saveexec_b32 s34, vcc_lo
	s_cbranch_execz .LBB4_2538
; %bb.2531:                             ;   in Loop: Header=BB4_1985 Depth=4
	v_mov_b32_e32 v40, 0
	s_mov_b32 s35, exec_lo
	v_cmpx_ne_u32_e32 0, v43
	s_cbranch_execz .LBB4_2537
; %bb.2532:                             ;   in Loop: Header=BB4_1985 Depth=4
	v_bfe_u32 v40, v43, 23, 8
	s_delay_alu instid0(VALU_DEP_1) | instskip(SKIP_1) | instid1(VALU_DEP_2)
	v_sub_nc_u32_e32 v45, 0x70, v40
	v_cmp_gt_u32_e32 vcc_lo, 0x71, v40
	v_dual_cndmask_b32 v45, 0, v45 :: v_dual_and_b32 v44, 0x7fffff, v43
	s_delay_alu instid0(VALU_DEP_1) | instskip(SKIP_2) | instid1(VALU_DEP_4)
	v_or_b32_e32 v46, 0x800000, v44
	v_cmp_eq_u32_e32 vcc_lo, 0, v40
	v_add_nc_u32_e32 v40, 0xffffff91, v40
	v_cndmask_b32_e64 v45, v45, 0x6f, vcc_lo
	s_delay_alu instid0(VALU_DEP_4) | instskip(NEXT) | instid1(VALU_DEP_3)
	v_cndmask_b32_e32 v44, v46, v44, vcc_lo
	v_cndmask_b32_e64 v40, v40, 0xffffff92, vcc_lo
	s_delay_alu instid0(VALU_DEP_3) | instskip(NEXT) | instid1(VALU_DEP_3)
	v_lshl_add_u32 v46, 0x200000, v45, -1
	v_lshrrev_b32_e32 v47, v45, v44
	v_lshlrev_b32_e64 v57, v45, 0x100000
	s_delay_alu instid0(VALU_DEP_4) | instskip(NEXT) | instid1(VALU_DEP_4)
	v_add_nc_u32_e32 v45, v45, v40
	v_and_b32_e32 v44, v46, v44
	s_delay_alu instid0(VALU_DEP_4) | instskip(NEXT) | instid1(VALU_DEP_2)
	v_bfe_u32 v56, v47, 21, 1
	v_cmp_eq_u32_e64 s13, v44, v57
	s_delay_alu instid0(VALU_DEP_2) | instskip(NEXT) | instid1(VALU_DEP_1)
	v_add_nc_u32_e32 v46, -1, v56
	v_cndmask_b32_e64 v44, 0, v46, s13
	v_lshrrev_b32_e32 v46, 23, v47
	s_mov_b32 s13, exec_lo
	s_delay_alu instid0(VALU_DEP_2) | instskip(NEXT) | instid1(VALU_DEP_2)
	v_add_nc_u32_e32 v44, v44, v47
	v_xor_b32_e32 v46, 1, v46
	s_delay_alu instid0(VALU_DEP_2) | instskip(NEXT) | instid1(VALU_DEP_1)
	v_and_b32_e32 v40, 0x1fffff, v44
	v_add_nc_u32_e32 v44, v40, v47
                                        ; implicit-def: $vgpr40
	s_delay_alu instid0(VALU_DEP_3)
	v_cmpx_ne_u32_e64 v45, v46
	s_xor_b32 s13, exec_lo, s13
; %bb.2533:                             ;   in Loop: Header=BB4_1985 Depth=4
	s_delay_alu instid0(VALU_DEP_2) | instskip(SKIP_2) | instid1(VALU_DEP_2)
	v_cmp_lt_u32_e32 vcc_lo, 0xffffff, v44
	v_sub_nc_u32_e32 v40, v45, v46
	v_cndmask_b32_e64 v45, 0, 1, vcc_lo
	v_add_co_ci_u32_e32 v40, vcc_lo, 0, v40, vcc_lo
	s_delay_alu instid0(VALU_DEP_2)
	v_lshrrev_b32_e32 v44, v45, v44
; %bb.2534:                             ;   in Loop: Header=BB4_1985 Depth=4
	s_and_not1_saveexec_b32 s13, s13
; %bb.2535:                             ;   in Loop: Header=BB4_1985 Depth=4
	s_delay_alu instid0(VALU_DEP_1)
	v_bfe_u32 v40, v44, 23, 1
; %bb.2536:                             ;   in Loop: Header=BB4_1985 Depth=4
	s_or_b32 exec_lo, exec_lo, s13
	v_lshrrev_b32_e32 v44, 21, v44
	s_delay_alu instid0(VALU_DEP_2) | instskip(SKIP_2) | instid1(VALU_DEP_2)
	v_cmp_gt_i32_e32 vcc_lo, 32, v40
	v_lshrrev_b32_e32 v43, 24, v43
	v_min_i32_e32 v45, 31, v40
	v_dual_cndmask_b32 v44, 3, v44 :: v_dual_and_b32 v43, 0x80, v43
	s_delay_alu instid0(VALU_DEP_1) | instskip(SKIP_1) | instid1(VALU_DEP_2)
	v_or_b32_e32 v40, v40, v44
	v_and_b32_e32 v46, 3, v44
	v_cmp_ne_u32_e32 vcc_lo, 0, v40
	v_lshlrev_b32_e32 v45, 2, v45
	s_delay_alu instid0(VALU_DEP_1) | instskip(NEXT) | instid1(VALU_DEP_1)
	v_or3_b32 v43, v45, v43, v46
	v_cndmask_b32_e32 v40, 0, v43, vcc_lo
.LBB4_2537:                             ;   in Loop: Header=BB4_1985 Depth=4
	s_or_b32 exec_lo, exec_lo, s35
.LBB4_2538:                             ;   in Loop: Header=BB4_1985 Depth=4
	s_delay_alu instid0(SALU_CYCLE_1) | instskip(SKIP_3) | instid1(VALU_DEP_1)
	s_or_b32 exec_lo, exec_lo, s34
	v_and_b32_e32 v44, 0xff, v183
	s_mov_b32 s13, 0
	s_mov_b32 s35, exec_lo
                                        ; implicit-def: $sgpr34
	v_cmpx_lt_i16_e32 0x7f, v44
	s_xor_b32 s35, exec_lo, s35
	s_cbranch_execnz .LBB4_3096
; %bb.2539:                             ;   in Loop: Header=BB4_1985 Depth=4
	s_or_saveexec_b32 s35, s35
	v_mov_b32_e32 v43, s34
	s_xor_b32 exec_lo, exec_lo, s35
	s_cbranch_execnz .LBB4_3099
.LBB4_2540:                             ;   in Loop: Header=BB4_1985 Depth=4
	s_or_b32 exec_lo, exec_lo, s35
	s_and_saveexec_b32 s34, s13
	s_cbranch_execz .LBB4_2542
.LBB4_2541:                             ;   in Loop: Header=BB4_1985 Depth=4
	v_bfe_u32 v46, v183, 2, 5
	s_delay_alu instid0(VALU_DEP_1) | instskip(SKIP_1) | instid1(VALU_DEP_1)
	v_cmp_eq_u32_e32 vcc_lo, 0, v46
	v_and_b32_e32 v43, 3, v183
	v_clz_i32_u32_e32 v44, v43
	s_delay_alu instid0(VALU_DEP_1) | instskip(NEXT) | instid1(VALU_DEP_1)
	v_min_u32_e32 v44, 32, v44
	v_subrev_nc_u32_e32 v45, 29, v44
	v_sub_nc_u32_e32 v44, 30, v44
	s_delay_alu instid0(VALU_DEP_1) | instskip(SKIP_1) | instid1(VALU_DEP_2)
	v_dual_cndmask_b32 v44, v46, v44 :: v_dual_lshlrev_b32 v45, v45, v183
	v_lshlrev_b32_e32 v183, 24, v183
	v_and_b32_e32 v45, 3, v45
	s_delay_alu instid0(VALU_DEP_3) | instskip(NEXT) | instid1(VALU_DEP_3)
	v_lshl_add_u32 v44, v44, 23, 0x37800000
	v_and_b32_e32 v183, 0x80000000, v183
	s_delay_alu instid0(VALU_DEP_3) | instskip(NEXT) | instid1(VALU_DEP_1)
	v_cndmask_b32_e32 v43, v43, v45, vcc_lo
	v_lshlrev_b32_e32 v43, 21, v43
	s_delay_alu instid0(VALU_DEP_1)
	v_or3_b32 v43, v183, v44, v43
.LBB4_2542:                             ;   in Loop: Header=BB4_1985 Depth=4
	s_or_b32 exec_lo, exec_lo, s34
	v_lshrrev_b32_e32 v183, 16, v14
	s_mov_b32 s13, 0
	s_mov_b32 s35, exec_lo
                                        ; implicit-def: $sgpr34
	s_delay_alu instid0(VALU_DEP_1) | instskip(NEXT) | instid1(VALU_DEP_1)
	v_and_b32_e32 v45, 0xff, v183
	v_cmpx_lt_i16_e32 0x7f, v45
	s_xor_b32 s35, exec_lo, s35
	s_cbranch_execnz .LBB4_3100
; %bb.2543:                             ;   in Loop: Header=BB4_1985 Depth=4
	s_or_saveexec_b32 s35, s35
	v_mov_b32_e32 v44, s34
	s_xor_b32 exec_lo, exec_lo, s35
	s_cbranch_execnz .LBB4_3103
.LBB4_2544:                             ;   in Loop: Header=BB4_1985 Depth=4
	s_or_b32 exec_lo, exec_lo, s35
	s_and_saveexec_b32 s34, s13
	s_cbranch_execz .LBB4_2546
.LBB4_2545:                             ;   in Loop: Header=BB4_1985 Depth=4
	v_bfe_u32 v44, v14, 16, 2
	v_lshlrev_b32_e32 v47, 8, v14
	s_delay_alu instid0(VALU_DEP_2) | instskip(NEXT) | instid1(VALU_DEP_1)
	v_clz_i32_u32_e32 v45, v44
	v_min_u32_e32 v45, 32, v45
	s_delay_alu instid0(VALU_DEP_1) | instskip(SKIP_1) | instid1(VALU_DEP_2)
	v_subrev_nc_u32_e32 v46, 29, v45
	v_sub_nc_u32_e32 v45, 30, v45
	v_lshlrev_b32_e32 v183, v46, v183
	v_bfe_u32 v46, v14, 18, 5
	s_delay_alu instid0(VALU_DEP_2) | instskip(NEXT) | instid1(VALU_DEP_2)
	v_and_b32_e32 v183, 3, v183
	v_cmp_eq_u32_e32 vcc_lo, 0, v46
	v_cndmask_b32_e32 v45, v46, v45, vcc_lo
	s_delay_alu instid0(VALU_DEP_3) | instskip(SKIP_1) | instid1(VALU_DEP_3)
	v_cndmask_b32_e32 v183, v44, v183, vcc_lo
	v_and_b32_e32 v44, 0x80000000, v47
	v_lshl_add_u32 v45, v45, 23, 0x37800000
	s_delay_alu instid0(VALU_DEP_3) | instskip(NEXT) | instid1(VALU_DEP_1)
	v_lshlrev_b32_e32 v183, 21, v183
	v_or3_b32 v44, v44, v45, v183
.LBB4_2546:                             ;   in Loop: Header=BB4_1985 Depth=4
	s_or_b32 exec_lo, exec_lo, s34
	s_delay_alu instid0(VALU_DEP_1) | instskip(NEXT) | instid1(VALU_DEP_1)
	v_add_f32_e32 v43, v43, v44
	v_and_b32_e32 v183, 0x7f800000, v43
	s_delay_alu instid0(VALU_DEP_1)
	v_cmp_ne_u32_e32 vcc_lo, 0x7f800000, v183
	v_mov_b32_e32 v183, 0x80
	s_and_saveexec_b32 s34, vcc_lo
	s_cbranch_execz .LBB4_2554
; %bb.2547:                             ;   in Loop: Header=BB4_1985 Depth=4
	v_mov_b32_e32 v183, 0
	s_mov_b32 s35, exec_lo
	v_cmpx_ne_u32_e32 0, v43
	s_cbranch_execz .LBB4_2553
; %bb.2548:                             ;   in Loop: Header=BB4_1985 Depth=4
	v_bfe_u32 v183, v43, 23, 8
	s_delay_alu instid0(VALU_DEP_1) | instskip(SKIP_1) | instid1(VALU_DEP_2)
	v_sub_nc_u32_e32 v45, 0x70, v183
	v_cmp_gt_u32_e32 vcc_lo, 0x71, v183
	v_dual_cndmask_b32 v45, 0, v45 :: v_dual_and_b32 v44, 0x7fffff, v43
	s_delay_alu instid0(VALU_DEP_1) | instskip(SKIP_2) | instid1(VALU_DEP_4)
	v_or_b32_e32 v46, 0x800000, v44
	v_cmp_eq_u32_e32 vcc_lo, 0, v183
	v_add_nc_u32_e32 v183, 0xffffff91, v183
	v_cndmask_b32_e64 v45, v45, 0x6f, vcc_lo
	s_delay_alu instid0(VALU_DEP_4) | instskip(NEXT) | instid1(VALU_DEP_3)
	v_cndmask_b32_e32 v44, v46, v44, vcc_lo
	v_cndmask_b32_e64 v183, v183, 0xffffff92, vcc_lo
	s_delay_alu instid0(VALU_DEP_3) | instskip(NEXT) | instid1(VALU_DEP_3)
	v_lshl_add_u32 v46, 0x200000, v45, -1
	v_lshrrev_b32_e32 v47, v45, v44
	v_lshlrev_b32_e64 v57, v45, 0x100000
	s_delay_alu instid0(VALU_DEP_4) | instskip(NEXT) | instid1(VALU_DEP_4)
	v_add_nc_u32_e32 v45, v45, v183
	v_and_b32_e32 v44, v46, v44
	s_delay_alu instid0(VALU_DEP_4) | instskip(NEXT) | instid1(VALU_DEP_2)
	v_bfe_u32 v56, v47, 21, 1
	v_cmp_eq_u32_e64 s13, v44, v57
	s_delay_alu instid0(VALU_DEP_2) | instskip(NEXT) | instid1(VALU_DEP_1)
	v_add_nc_u32_e32 v46, -1, v56
	v_cndmask_b32_e64 v44, 0, v46, s13
	v_lshrrev_b32_e32 v46, 23, v47
	s_mov_b32 s13, exec_lo
	s_delay_alu instid0(VALU_DEP_2) | instskip(NEXT) | instid1(VALU_DEP_2)
	v_add_nc_u32_e32 v44, v44, v47
	v_xor_b32_e32 v46, 1, v46
	s_delay_alu instid0(VALU_DEP_2) | instskip(NEXT) | instid1(VALU_DEP_1)
	v_and_b32_e32 v183, 0x1fffff, v44
	v_add_nc_u32_e32 v44, v183, v47
                                        ; implicit-def: $vgpr183
	s_delay_alu instid0(VALU_DEP_3)
	v_cmpx_ne_u32_e64 v45, v46
	s_xor_b32 s13, exec_lo, s13
; %bb.2549:                             ;   in Loop: Header=BB4_1985 Depth=4
	s_delay_alu instid0(VALU_DEP_2) | instskip(SKIP_2) | instid1(VALU_DEP_2)
	v_cmp_lt_u32_e32 vcc_lo, 0xffffff, v44
	v_sub_nc_u32_e32 v183, v45, v46
	v_cndmask_b32_e64 v45, 0, 1, vcc_lo
	v_add_co_ci_u32_e32 v183, vcc_lo, 0, v183, vcc_lo
	s_delay_alu instid0(VALU_DEP_2)
	v_lshrrev_b32_e32 v44, v45, v44
; %bb.2550:                             ;   in Loop: Header=BB4_1985 Depth=4
	s_and_not1_saveexec_b32 s13, s13
; %bb.2551:                             ;   in Loop: Header=BB4_1985 Depth=4
	s_delay_alu instid0(VALU_DEP_1)
	v_bfe_u32 v183, v44, 23, 1
; %bb.2552:                             ;   in Loop: Header=BB4_1985 Depth=4
	s_or_b32 exec_lo, exec_lo, s13
	v_lshrrev_b32_e32 v44, 21, v44
	s_delay_alu instid0(VALU_DEP_2) | instskip(SKIP_2) | instid1(VALU_DEP_2)
	v_cmp_gt_i32_e32 vcc_lo, 32, v183
	v_lshrrev_b32_e32 v43, 24, v43
	v_min_i32_e32 v45, 31, v183
	v_dual_cndmask_b32 v44, 3, v44 :: v_dual_and_b32 v43, 0x80, v43
	s_delay_alu instid0(VALU_DEP_2) | instskip(NEXT) | instid1(VALU_DEP_2)
	v_lshlrev_b32_e32 v45, 2, v45
	v_or_b32_e32 v183, v183, v44
	s_delay_alu instid0(VALU_DEP_1) | instskip(SKIP_1) | instid1(VALU_DEP_1)
	v_cmp_ne_u32_e32 vcc_lo, 0, v183
	v_and_b32_e32 v46, 3, v44
	v_or3_b32 v43, v45, v43, v46
	s_delay_alu instid0(VALU_DEP_1)
	v_cndmask_b32_e32 v183, 0, v43, vcc_lo
.LBB4_2553:                             ;   in Loop: Header=BB4_1985 Depth=4
	s_or_b32 exec_lo, exec_lo, s35
.LBB4_2554:                             ;   in Loop: Header=BB4_1985 Depth=4
	s_delay_alu instid0(SALU_CYCLE_1) | instskip(SKIP_3) | instid1(VALU_DEP_1)
	s_or_b32 exec_lo, exec_lo, s34
	v_and_b32_e32 v44, 0xff, v180
	s_mov_b32 s13, 0
	s_mov_b32 s35, exec_lo
                                        ; implicit-def: $sgpr34
	v_cmpx_lt_i16_e32 0x7f, v44
	s_xor_b32 s35, exec_lo, s35
	s_cbranch_execnz .LBB4_3104
; %bb.2555:                             ;   in Loop: Header=BB4_1985 Depth=4
	s_or_saveexec_b32 s35, s35
	v_mov_b32_e32 v43, s34
	s_xor_b32 exec_lo, exec_lo, s35
	s_cbranch_execnz .LBB4_3107
.LBB4_2556:                             ;   in Loop: Header=BB4_1985 Depth=4
	s_or_b32 exec_lo, exec_lo, s35
	s_and_saveexec_b32 s34, s13
	s_cbranch_execz .LBB4_2558
.LBB4_2557:                             ;   in Loop: Header=BB4_1985 Depth=4
	v_lshlrev_b32_e32 v180, 8, v180
	s_delay_alu instid0(VALU_DEP_1) | instskip(SKIP_1) | instid1(VALU_DEP_2)
	v_and_b32_e32 v43, 0xff00, v180
	v_bfe_u32 v180, v180, 10, 5
	v_bfe_u32 v45, v43, 8, 2
	s_delay_alu instid0(VALU_DEP_2) | instskip(NEXT) | instid1(VALU_DEP_2)
	v_cmp_eq_u32_e32 vcc_lo, 0, v180
	v_clz_i32_u32_e32 v46, v45
	s_delay_alu instid0(VALU_DEP_1) | instskip(NEXT) | instid1(VALU_DEP_1)
	v_min_u32_e32 v46, 32, v46
	v_subrev_nc_u32_e32 v47, 29, v46
	v_sub_nc_u32_e32 v46, 30, v46
	s_delay_alu instid0(VALU_DEP_2) | instskip(NEXT) | instid1(VALU_DEP_2)
	v_lshlrev_b32_e32 v44, v47, v44
	v_cndmask_b32_e32 v180, v180, v46, vcc_lo
	s_delay_alu instid0(VALU_DEP_2) | instskip(SKIP_1) | instid1(VALU_DEP_3)
	v_and_b32_e32 v44, 3, v44
	v_lshlrev_b32_e32 v43, 16, v43
	v_lshl_add_u32 v180, v180, 23, 0x37800000
	s_delay_alu instid0(VALU_DEP_2) | instskip(NEXT) | instid1(VALU_DEP_1)
	v_dual_cndmask_b32 v44, v45, v44 :: v_dual_and_b32 v43, 0x80000000, v43
	v_lshlrev_b32_e32 v44, 21, v44
	s_delay_alu instid0(VALU_DEP_1)
	v_or3_b32 v43, v43, v180, v44
.LBB4_2558:                             ;   in Loop: Header=BB4_1985 Depth=4
	s_or_b32 exec_lo, exec_lo, s34
	v_lshrrev_b32_e32 v180, 24, v14
	s_mov_b32 s13, 0
	s_mov_b32 s35, exec_lo
                                        ; implicit-def: $sgpr34
	s_delay_alu instid0(VALU_DEP_1)
	v_cmpx_lt_i16_e64 0x7f, v180
	s_xor_b32 s35, exec_lo, s35
	s_cbranch_execnz .LBB4_3108
; %bb.2559:                             ;   in Loop: Header=BB4_1985 Depth=4
	s_or_saveexec_b32 s35, s35
	v_mov_b32_e32 v44, s34
	s_xor_b32 exec_lo, exec_lo, s35
	s_cbranch_execnz .LBB4_3111
.LBB4_2560:                             ;   in Loop: Header=BB4_1985 Depth=4
	s_or_b32 exec_lo, exec_lo, s35
	s_and_saveexec_b32 s34, s13
	s_cbranch_execz .LBB4_2562
.LBB4_2561:                             ;   in Loop: Header=BB4_1985 Depth=4
	v_bfe_u32 v44, v14, 24, 2
	s_delay_alu instid0(VALU_DEP_1) | instskip(NEXT) | instid1(VALU_DEP_1)
	v_clz_i32_u32_e32 v45, v44
	v_min_u32_e32 v45, 32, v45
	s_delay_alu instid0(VALU_DEP_1) | instskip(SKIP_1) | instid1(VALU_DEP_2)
	v_subrev_nc_u32_e32 v46, 29, v45
	v_sub_nc_u32_e32 v45, 30, v45
	v_lshlrev_b32_e32 v180, v46, v180
	v_bfe_u32 v46, v14, 26, 5
	v_and_b32_e32 v14, 0x80000000, v14
	s_delay_alu instid0(VALU_DEP_2) | instskip(NEXT) | instid1(VALU_DEP_4)
	v_cmp_eq_u32_e32 vcc_lo, 0, v46
	v_dual_cndmask_b32 v45, v46, v45 :: v_dual_and_b32 v180, 3, v180
	s_delay_alu instid0(VALU_DEP_1) | instskip(NEXT) | instid1(VALU_DEP_2)
	v_cndmask_b32_e32 v180, v44, v180, vcc_lo
	v_lshl_add_u32 v44, v45, 23, 0x37800000
	s_delay_alu instid0(VALU_DEP_2) | instskip(NEXT) | instid1(VALU_DEP_1)
	v_lshlrev_b32_e32 v180, 21, v180
	v_or3_b32 v44, v14, v44, v180
.LBB4_2562:                             ;   in Loop: Header=BB4_1985 Depth=4
	s_or_b32 exec_lo, exec_lo, s34
	s_delay_alu instid0(VALU_DEP_1) | instskip(NEXT) | instid1(VALU_DEP_1)
	v_add_f32_e32 v180, v43, v44
	v_and_b32_e32 v14, 0x7f800000, v180
	s_delay_alu instid0(VALU_DEP_1)
	v_cmp_ne_u32_e32 vcc_lo, 0x7f800000, v14
	v_mov_b32_e32 v14, 0x80
	s_and_saveexec_b32 s34, vcc_lo
	s_cbranch_execz .LBB4_2570
; %bb.2563:                             ;   in Loop: Header=BB4_1985 Depth=4
	v_mov_b32_e32 v14, 0
	s_mov_b32 s35, exec_lo
	v_cmpx_ne_u32_e32 0, v180
	s_cbranch_execz .LBB4_2569
; %bb.2564:                             ;   in Loop: Header=BB4_1985 Depth=4
	v_bfe_u32 v14, v180, 23, 8
	v_and_b32_e32 v43, 0x7fffff, v180
	s_delay_alu instid0(VALU_DEP_2) | instskip(SKIP_1) | instid1(VALU_DEP_3)
	v_sub_nc_u32_e32 v44, 0x70, v14
	v_cmp_gt_u32_e32 vcc_lo, 0x71, v14
	v_or_b32_e32 v45, 0x800000, v43
	s_delay_alu instid0(VALU_DEP_3) | instskip(SKIP_1) | instid1(VALU_DEP_3)
	v_cndmask_b32_e32 v44, 0, v44, vcc_lo
	v_cmp_eq_u32_e32 vcc_lo, 0, v14
	v_dual_cndmask_b32 v43, v45, v43 :: v_dual_add_nc_u32 v14, 0xffffff91, v14
	s_delay_alu instid0(VALU_DEP_3) | instskip(NEXT) | instid1(VALU_DEP_2)
	v_cndmask_b32_e64 v44, v44, 0x6f, vcc_lo
	v_cndmask_b32_e64 v14, v14, 0xffffff92, vcc_lo
	s_delay_alu instid0(VALU_DEP_2) | instskip(SKIP_2) | instid1(VALU_DEP_4)
	v_lshrrev_b32_e32 v46, v44, v43
	v_lshl_add_u32 v45, 0x200000, v44, -1
	v_lshlrev_b32_e64 v56, v44, 0x100000
	v_add_nc_u32_e32 v44, v44, v14
	s_delay_alu instid0(VALU_DEP_4) | instskip(NEXT) | instid1(VALU_DEP_4)
	v_bfe_u32 v47, v46, 21, 1
	v_and_b32_e32 v43, v45, v43
	s_delay_alu instid0(VALU_DEP_2) | instskip(NEXT) | instid1(VALU_DEP_2)
	v_add_nc_u32_e32 v45, -1, v47
	v_cmp_eq_u32_e64 s13, v43, v56
	s_delay_alu instid0(VALU_DEP_1) | instskip(SKIP_2) | instid1(VALU_DEP_2)
	v_cndmask_b32_e64 v43, 0, v45, s13
	v_lshrrev_b32_e32 v45, 23, v46
	s_mov_b32 s13, exec_lo
	v_add_nc_u32_e32 v43, v43, v46
	s_delay_alu instid0(VALU_DEP_2) | instskip(NEXT) | instid1(VALU_DEP_2)
	v_xor_b32_e32 v45, 1, v45
	v_and_b32_e32 v14, 0x1fffff, v43
	s_delay_alu instid0(VALU_DEP_1) | instskip(NEXT) | instid1(VALU_DEP_3)
	v_add_nc_u32_e32 v43, v14, v46
                                        ; implicit-def: $vgpr14
	v_cmpx_ne_u32_e64 v44, v45
	s_xor_b32 s13, exec_lo, s13
; %bb.2565:                             ;   in Loop: Header=BB4_1985 Depth=4
	s_delay_alu instid0(VALU_DEP_2) | instskip(SKIP_2) | instid1(VALU_DEP_2)
	v_cmp_lt_u32_e32 vcc_lo, 0xffffff, v43
	v_sub_nc_u32_e32 v14, v44, v45
	v_cndmask_b32_e64 v44, 0, 1, vcc_lo
	v_add_co_ci_u32_e32 v14, vcc_lo, 0, v14, vcc_lo
	s_delay_alu instid0(VALU_DEP_2)
	v_lshrrev_b32_e32 v43, v44, v43
; %bb.2566:                             ;   in Loop: Header=BB4_1985 Depth=4
	s_and_not1_saveexec_b32 s13, s13
; %bb.2567:                             ;   in Loop: Header=BB4_1985 Depth=4
	s_delay_alu instid0(VALU_DEP_1)
	v_bfe_u32 v14, v43, 23, 1
; %bb.2568:                             ;   in Loop: Header=BB4_1985 Depth=4
	s_or_b32 exec_lo, exec_lo, s13
	v_lshrrev_b32_e32 v43, 21, v43
	s_delay_alu instid0(VALU_DEP_2) | instskip(SKIP_2) | instid1(VALU_DEP_2)
	v_cmp_gt_i32_e32 vcc_lo, 32, v14
	v_lshrrev_b32_e32 v180, 24, v180
	v_min_i32_e32 v44, 31, v14
	v_dual_cndmask_b32 v43, 3, v43 :: v_dual_and_b32 v180, 0x80, v180
	s_delay_alu instid0(VALU_DEP_2) | instskip(NEXT) | instid1(VALU_DEP_2)
	v_lshlrev_b32_e32 v44, 2, v44
	v_or_b32_e32 v14, v14, v43
	s_delay_alu instid0(VALU_DEP_1) | instskip(SKIP_1) | instid1(VALU_DEP_1)
	v_cmp_ne_u32_e32 vcc_lo, 0, v14
	v_and_b32_e32 v45, 3, v43
	v_or3_b32 v180, v44, v180, v45
	s_delay_alu instid0(VALU_DEP_1)
	v_cndmask_b32_e32 v14, 0, v180, vcc_lo
.LBB4_2569:                             ;   in Loop: Header=BB4_1985 Depth=4
	s_or_b32 exec_lo, exec_lo, s35
.LBB4_2570:                             ;   in Loop: Header=BB4_1985 Depth=4
	s_delay_alu instid0(SALU_CYCLE_1) | instskip(SKIP_3) | instid1(VALU_DEP_1)
	s_or_b32 exec_lo, exec_lo, s34
	v_or_b32_e32 v41, v41, v179
	s_mov_b32 s13, 0
	s_mov_b32 s35, exec_lo
                                        ; implicit-def: $sgpr34
	v_and_b32_e32 v180, 0xff, v41
	s_delay_alu instid0(VALU_DEP_1)
	v_cmpx_lt_i16_e64 0x7f, v180
	s_xor_b32 s35, exec_lo, s35
	s_cbranch_execnz .LBB4_3112
; %bb.2571:                             ;   in Loop: Header=BB4_1985 Depth=4
	s_or_saveexec_b32 s35, s35
	v_mov_b32_e32 v179, s34
	s_xor_b32 exec_lo, exec_lo, s35
	s_cbranch_execnz .LBB4_3115
.LBB4_2572:                             ;   in Loop: Header=BB4_1985 Depth=4
	s_or_b32 exec_lo, exec_lo, s35
	s_and_saveexec_b32 s34, s13
	s_cbranch_execz .LBB4_2574
.LBB4_2573:                             ;   in Loop: Header=BB4_1985 Depth=4
	v_bfe_u32 v44, v41, 2, 5
	v_lshlrev_b32_e32 v45, 24, v41
	s_delay_alu instid0(VALU_DEP_2) | instskip(SKIP_1) | instid1(VALU_DEP_1)
	v_cmp_eq_u32_e32 vcc_lo, 0, v44
	v_and_b32_e32 v179, 3, v41
	v_clz_i32_u32_e32 v180, v179
	s_delay_alu instid0(VALU_DEP_1) | instskip(NEXT) | instid1(VALU_DEP_1)
	v_min_u32_e32 v180, 32, v180
	v_subrev_nc_u32_e32 v43, 29, v180
	v_sub_nc_u32_e32 v180, 30, v180
	s_delay_alu instid0(VALU_DEP_1) | instskip(NEXT) | instid1(VALU_DEP_1)
	v_dual_cndmask_b32 v180, v44, v180 :: v_dual_lshlrev_b32 v43, v43, v41
	v_and_b32_e32 v43, 3, v43
	s_delay_alu instid0(VALU_DEP_2) | instskip(NEXT) | instid1(VALU_DEP_2)
	v_lshl_add_u32 v180, v180, 23, 0x37800000
	v_cndmask_b32_e32 v179, v179, v43, vcc_lo
	v_and_b32_e32 v43, 0x80000000, v45
	s_delay_alu instid0(VALU_DEP_2) | instskip(NEXT) | instid1(VALU_DEP_1)
	v_lshlrev_b32_e32 v179, 21, v179
	v_or3_b32 v179, v43, v180, v179
.LBB4_2574:                             ;   in Loop: Header=BB4_1985 Depth=4
	s_or_b32 exec_lo, exec_lo, s34
	v_and_b32_e32 v43, 0xff, v15
	s_mov_b32 s13, 0
	s_mov_b32 s35, exec_lo
                                        ; implicit-def: $sgpr34
	s_delay_alu instid0(VALU_DEP_1)
	v_cmpx_lt_i16_e32 0x7f, v43
	s_xor_b32 s35, exec_lo, s35
	s_cbranch_execnz .LBB4_3116
; %bb.2575:                             ;   in Loop: Header=BB4_1985 Depth=4
	s_or_saveexec_b32 s35, s35
	v_mov_b32_e32 v180, s34
	s_xor_b32 exec_lo, exec_lo, s35
	s_cbranch_execnz .LBB4_3119
.LBB4_2576:                             ;   in Loop: Header=BB4_1985 Depth=4
	s_or_b32 exec_lo, exec_lo, s35
	s_and_saveexec_b32 s34, s13
	s_cbranch_execz .LBB4_2578
.LBB4_2577:                             ;   in Loop: Header=BB4_1985 Depth=4
	v_and_b32_e32 v180, 3, v15
	v_bfe_u32 v45, v15, 2, 5
	v_lshlrev_b32_e32 v46, 24, v15
	s_delay_alu instid0(VALU_DEP_3) | instskip(NEXT) | instid1(VALU_DEP_3)
	v_clz_i32_u32_e32 v43, v180
	v_cmp_eq_u32_e32 vcc_lo, 0, v45
	s_delay_alu instid0(VALU_DEP_2) | instskip(NEXT) | instid1(VALU_DEP_1)
	v_min_u32_e32 v43, 32, v43
	v_subrev_nc_u32_e32 v44, 29, v43
	v_sub_nc_u32_e32 v43, 30, v43
	s_delay_alu instid0(VALU_DEP_2) | instskip(NEXT) | instid1(VALU_DEP_1)
	v_lshlrev_b32_e32 v44, v44, v15
	v_dual_cndmask_b32 v43, v45, v43 :: v_dual_and_b32 v44, 3, v44
	s_delay_alu instid0(VALU_DEP_1) | instskip(NEXT) | instid1(VALU_DEP_2)
	v_lshl_add_u32 v43, v43, 23, 0x37800000
	v_cndmask_b32_e32 v180, v180, v44, vcc_lo
	v_and_b32_e32 v44, 0x80000000, v46
	s_delay_alu instid0(VALU_DEP_2) | instskip(NEXT) | instid1(VALU_DEP_1)
	v_lshlrev_b32_e32 v180, 21, v180
	v_or3_b32 v180, v44, v43, v180
.LBB4_2578:                             ;   in Loop: Header=BB4_1985 Depth=4
	s_or_b32 exec_lo, exec_lo, s34
	s_delay_alu instid0(VALU_DEP_1) | instskip(NEXT) | instid1(VALU_DEP_1)
	v_add_f32_e32 v180, v179, v180
	v_and_b32_e32 v179, 0x7f800000, v180
	s_delay_alu instid0(VALU_DEP_1)
	v_cmp_ne_u32_e32 vcc_lo, 0x7f800000, v179
	v_mov_b32_e32 v179, 0x80
	s_and_saveexec_b32 s34, vcc_lo
	s_cbranch_execz .LBB4_2586
; %bb.2579:                             ;   in Loop: Header=BB4_1985 Depth=4
	v_mov_b32_e32 v179, 0
	s_mov_b32 s35, exec_lo
	v_cmpx_ne_u32_e32 0, v180
	s_cbranch_execz .LBB4_2585
; %bb.2580:                             ;   in Loop: Header=BB4_1985 Depth=4
	v_bfe_u32 v179, v180, 23, 8
	v_and_b32_e32 v43, 0x7fffff, v180
	s_delay_alu instid0(VALU_DEP_2) | instskip(SKIP_1) | instid1(VALU_DEP_3)
	v_sub_nc_u32_e32 v44, 0x70, v179
	v_cmp_gt_u32_e32 vcc_lo, 0x71, v179
	v_or_b32_e32 v45, 0x800000, v43
	s_delay_alu instid0(VALU_DEP_3) | instskip(SKIP_2) | instid1(VALU_DEP_4)
	v_cndmask_b32_e32 v44, 0, v44, vcc_lo
	v_cmp_eq_u32_e32 vcc_lo, 0, v179
	v_add_nc_u32_e32 v179, 0xffffff91, v179
	v_cndmask_b32_e32 v43, v45, v43, vcc_lo
	s_delay_alu instid0(VALU_DEP_4) | instskip(NEXT) | instid1(VALU_DEP_3)
	v_cndmask_b32_e64 v44, v44, 0x6f, vcc_lo
	v_cndmask_b32_e64 v179, v179, 0xffffff92, vcc_lo
	s_delay_alu instid0(VALU_DEP_2) | instskip(SKIP_2) | instid1(VALU_DEP_4)
	v_lshrrev_b32_e32 v46, v44, v43
	v_lshl_add_u32 v45, 0x200000, v44, -1
	v_lshlrev_b32_e64 v56, v44, 0x100000
	v_add_nc_u32_e32 v44, v44, v179
	s_delay_alu instid0(VALU_DEP_4) | instskip(NEXT) | instid1(VALU_DEP_4)
	v_bfe_u32 v47, v46, 21, 1
	v_and_b32_e32 v43, v45, v43
	s_delay_alu instid0(VALU_DEP_2) | instskip(NEXT) | instid1(VALU_DEP_2)
	v_add_nc_u32_e32 v45, -1, v47
	v_cmp_eq_u32_e64 s13, v43, v56
	s_delay_alu instid0(VALU_DEP_1) | instskip(SKIP_2) | instid1(VALU_DEP_2)
	v_cndmask_b32_e64 v43, 0, v45, s13
	v_lshrrev_b32_e32 v45, 23, v46
	s_mov_b32 s13, exec_lo
	v_add_nc_u32_e32 v43, v43, v46
	s_delay_alu instid0(VALU_DEP_2) | instskip(NEXT) | instid1(VALU_DEP_2)
	v_xor_b32_e32 v45, 1, v45
	v_and_b32_e32 v179, 0x1fffff, v43
	s_delay_alu instid0(VALU_DEP_1) | instskip(NEXT) | instid1(VALU_DEP_3)
	v_add_nc_u32_e32 v43, v179, v46
                                        ; implicit-def: $vgpr179
	v_cmpx_ne_u32_e64 v44, v45
	s_xor_b32 s13, exec_lo, s13
; %bb.2581:                             ;   in Loop: Header=BB4_1985 Depth=4
	s_delay_alu instid0(VALU_DEP_2) | instskip(SKIP_2) | instid1(VALU_DEP_2)
	v_cmp_lt_u32_e32 vcc_lo, 0xffffff, v43
	v_sub_nc_u32_e32 v179, v44, v45
	v_cndmask_b32_e64 v44, 0, 1, vcc_lo
	v_add_co_ci_u32_e32 v179, vcc_lo, 0, v179, vcc_lo
	s_delay_alu instid0(VALU_DEP_2)
	v_lshrrev_b32_e32 v43, v44, v43
; %bb.2582:                             ;   in Loop: Header=BB4_1985 Depth=4
	s_and_not1_saveexec_b32 s13, s13
; %bb.2583:                             ;   in Loop: Header=BB4_1985 Depth=4
	s_delay_alu instid0(VALU_DEP_1)
	v_bfe_u32 v179, v43, 23, 1
; %bb.2584:                             ;   in Loop: Header=BB4_1985 Depth=4
	s_or_b32 exec_lo, exec_lo, s13
	v_lshrrev_b32_e32 v43, 21, v43
	s_delay_alu instid0(VALU_DEP_2) | instskip(SKIP_2) | instid1(VALU_DEP_2)
	v_cmp_gt_i32_e32 vcc_lo, 32, v179
	v_lshrrev_b32_e32 v180, 24, v180
	v_min_i32_e32 v44, 31, v179
	v_dual_cndmask_b32 v43, 3, v43 :: v_dual_and_b32 v180, 0x80, v180
	s_delay_alu instid0(VALU_DEP_2) | instskip(NEXT) | instid1(VALU_DEP_2)
	v_lshlrev_b32_e32 v44, 2, v44
	v_and_b32_e32 v45, 3, v43
	v_or_b32_e32 v179, v179, v43
	s_delay_alu instid0(VALU_DEP_2) | instskip(NEXT) | instid1(VALU_DEP_2)
	v_or3_b32 v180, v44, v180, v45
	v_cmp_ne_u32_e32 vcc_lo, 0, v179
	s_delay_alu instid0(VALU_DEP_2)
	v_cndmask_b32_e32 v179, 0, v180, vcc_lo
.LBB4_2585:                             ;   in Loop: Header=BB4_1985 Depth=4
	s_or_b32 exec_lo, exec_lo, s35
.LBB4_2586:                             ;   in Loop: Header=BB4_1985 Depth=4
	s_delay_alu instid0(SALU_CYCLE_1) | instskip(SKIP_3) | instid1(VALU_DEP_1)
	s_or_b32 exec_lo, exec_lo, s34
	v_lshrrev_b16 v43, 8, v41
	s_mov_b32 s13, 0
	s_mov_b32 s35, exec_lo
                                        ; implicit-def: $sgpr34
	v_cmpx_lt_i16_e32 0x7f, v43
	s_xor_b32 s35, exec_lo, s35
	s_cbranch_execnz .LBB4_3120
; %bb.2587:                             ;   in Loop: Header=BB4_1985 Depth=4
	s_or_saveexec_b32 s35, s35
	v_mov_b32_e32 v180, s34
	s_xor_b32 exec_lo, exec_lo, s35
	s_cbranch_execnz .LBB4_3123
.LBB4_2588:                             ;   in Loop: Header=BB4_1985 Depth=4
	s_or_b32 exec_lo, exec_lo, s35
	s_and_saveexec_b32 s34, s13
	s_cbranch_execz .LBB4_2590
.LBB4_2589:                             ;   in Loop: Header=BB4_1985 Depth=4
	v_and_b32_e32 v180, 0xffff, v43
	s_delay_alu instid0(VALU_DEP_1) | instskip(NEXT) | instid1(VALU_DEP_1)
	v_and_b32_e32 v44, 3, v180
	v_clz_i32_u32_e32 v45, v44
	s_delay_alu instid0(VALU_DEP_1) | instskip(NEXT) | instid1(VALU_DEP_1)
	v_min_u32_e32 v45, 32, v45
	v_subrev_nc_u32_e32 v46, 29, v45
	v_sub_nc_u32_e32 v45, 30, v45
	s_delay_alu instid0(VALU_DEP_2) | instskip(SKIP_1) | instid1(VALU_DEP_2)
	v_lshlrev_b32_e32 v46, v46, v180
	v_bfe_u32 v180, v180, 2, 5
	v_and_b32_e32 v46, 3, v46
	s_delay_alu instid0(VALU_DEP_2) | instskip(SKIP_1) | instid1(VALU_DEP_1)
	v_cmp_eq_u32_e32 vcc_lo, 0, v180
	v_dual_cndmask_b32 v180, v180, v45 :: v_dual_lshlrev_b32 v43, 24, v43
	v_dual_cndmask_b32 v44, v44, v46 :: v_dual_and_b32 v43, 0x80000000, v43
	s_delay_alu instid0(VALU_DEP_2) | instskip(NEXT) | instid1(VALU_DEP_2)
	v_lshl_add_u32 v180, v180, 23, 0x37800000
	v_lshlrev_b32_e32 v44, 21, v44
	s_delay_alu instid0(VALU_DEP_1)
	v_or3_b32 v180, v43, v180, v44
.LBB4_2590:                             ;   in Loop: Header=BB4_1985 Depth=4
	s_or_b32 exec_lo, exec_lo, s34
	v_lshrrev_b16 v43, 8, v15
	s_mov_b32 s13, 0
	s_mov_b32 s35, exec_lo
                                        ; implicit-def: $sgpr34
	s_delay_alu instid0(VALU_DEP_1)
	v_cmpx_lt_i16_e32 0x7f, v43
	s_xor_b32 s35, exec_lo, s35
	s_cbranch_execnz .LBB4_3124
; %bb.2591:                             ;   in Loop: Header=BB4_1985 Depth=4
	s_or_saveexec_b32 s35, s35
	v_mov_b32_e32 v44, s34
	s_xor_b32 exec_lo, exec_lo, s35
	s_cbranch_execnz .LBB4_3127
.LBB4_2592:                             ;   in Loop: Header=BB4_1985 Depth=4
	s_or_b32 exec_lo, exec_lo, s35
	s_and_saveexec_b32 s34, s13
	s_cbranch_execz .LBB4_2594
.LBB4_2593:                             ;   in Loop: Header=BB4_1985 Depth=4
	v_and_b32_e32 v44, 0xffff, v43
	v_lshlrev_b32_e32 v43, 24, v43
	s_delay_alu instid0(VALU_DEP_2) | instskip(NEXT) | instid1(VALU_DEP_2)
	v_and_b32_e32 v45, 3, v44
	v_and_b32_e32 v43, 0x80000000, v43
	s_delay_alu instid0(VALU_DEP_2) | instskip(NEXT) | instid1(VALU_DEP_1)
	v_clz_i32_u32_e32 v46, v45
	v_min_u32_e32 v46, 32, v46
	s_delay_alu instid0(VALU_DEP_1) | instskip(SKIP_1) | instid1(VALU_DEP_2)
	v_subrev_nc_u32_e32 v47, 29, v46
	v_sub_nc_u32_e32 v46, 30, v46
	v_lshlrev_b32_e32 v47, v47, v44
	v_bfe_u32 v44, v44, 2, 5
	s_delay_alu instid0(VALU_DEP_2) | instskip(NEXT) | instid1(VALU_DEP_2)
	v_and_b32_e32 v47, 3, v47
	v_cmp_eq_u32_e32 vcc_lo, 0, v44
	s_delay_alu instid0(VALU_DEP_2) | instskip(NEXT) | instid1(VALU_DEP_1)
	v_dual_cndmask_b32 v44, v44, v46 :: v_dual_cndmask_b32 v45, v45, v47
	v_lshl_add_u32 v44, v44, 23, 0x37800000
	s_delay_alu instid0(VALU_DEP_2) | instskip(NEXT) | instid1(VALU_DEP_1)
	v_lshlrev_b32_e32 v45, 21, v45
	v_or3_b32 v44, v43, v44, v45
.LBB4_2594:                             ;   in Loop: Header=BB4_1985 Depth=4
	s_or_b32 exec_lo, exec_lo, s34
	s_delay_alu instid0(VALU_DEP_1) | instskip(NEXT) | instid1(VALU_DEP_1)
	v_add_f32_e32 v43, v180, v44
	v_and_b32_e32 v180, 0x7f800000, v43
	s_delay_alu instid0(VALU_DEP_1)
	v_cmp_ne_u32_e32 vcc_lo, 0x7f800000, v180
	v_mov_b32_e32 v180, 0x8000
	s_and_saveexec_b32 s34, vcc_lo
	s_cbranch_execz .LBB4_2602
; %bb.2595:                             ;   in Loop: Header=BB4_1985 Depth=4
	v_mov_b32_e32 v180, 0
	s_mov_b32 s35, exec_lo
	v_cmpx_ne_u32_e32 0, v43
	s_cbranch_execz .LBB4_2601
; %bb.2596:                             ;   in Loop: Header=BB4_1985 Depth=4
	v_bfe_u32 v180, v43, 23, 8
	s_delay_alu instid0(VALU_DEP_1) | instskip(SKIP_1) | instid1(VALU_DEP_2)
	v_sub_nc_u32_e32 v45, 0x70, v180
	v_cmp_gt_u32_e32 vcc_lo, 0x71, v180
	v_dual_cndmask_b32 v45, 0, v45 :: v_dual_and_b32 v44, 0x7fffff, v43
	s_delay_alu instid0(VALU_DEP_1) | instskip(SKIP_2) | instid1(VALU_DEP_4)
	v_or_b32_e32 v46, 0x800000, v44
	v_cmp_eq_u32_e32 vcc_lo, 0, v180
	v_add_nc_u32_e32 v180, 0xffffff91, v180
	v_cndmask_b32_e64 v45, v45, 0x6f, vcc_lo
	s_delay_alu instid0(VALU_DEP_4) | instskip(NEXT) | instid1(VALU_DEP_3)
	v_cndmask_b32_e32 v44, v46, v44, vcc_lo
	v_cndmask_b32_e64 v180, v180, 0xffffff92, vcc_lo
	s_delay_alu instid0(VALU_DEP_3) | instskip(NEXT) | instid1(VALU_DEP_3)
	v_lshl_add_u32 v46, 0x200000, v45, -1
	v_lshrrev_b32_e32 v47, v45, v44
	v_lshlrev_b32_e64 v57, v45, 0x100000
	s_delay_alu instid0(VALU_DEP_4) | instskip(NEXT) | instid1(VALU_DEP_4)
	v_add_nc_u32_e32 v45, v45, v180
	v_and_b32_e32 v44, v46, v44
	s_delay_alu instid0(VALU_DEP_4) | instskip(NEXT) | instid1(VALU_DEP_2)
	v_bfe_u32 v56, v47, 21, 1
	v_cmp_eq_u32_e64 s13, v44, v57
	s_delay_alu instid0(VALU_DEP_2) | instskip(NEXT) | instid1(VALU_DEP_1)
	v_add_nc_u32_e32 v46, -1, v56
	v_cndmask_b32_e64 v44, 0, v46, s13
	v_lshrrev_b32_e32 v46, 23, v47
	s_mov_b32 s13, exec_lo
	s_delay_alu instid0(VALU_DEP_2) | instskip(NEXT) | instid1(VALU_DEP_2)
	v_add_nc_u32_e32 v44, v44, v47
	v_xor_b32_e32 v46, 1, v46
	s_delay_alu instid0(VALU_DEP_2) | instskip(NEXT) | instid1(VALU_DEP_1)
	v_and_b32_e32 v180, 0x1fffff, v44
	v_add_nc_u32_e32 v44, v180, v47
                                        ; implicit-def: $vgpr180
	s_delay_alu instid0(VALU_DEP_3)
	v_cmpx_ne_u32_e64 v45, v46
	s_xor_b32 s13, exec_lo, s13
; %bb.2597:                             ;   in Loop: Header=BB4_1985 Depth=4
	s_delay_alu instid0(VALU_DEP_2) | instskip(SKIP_2) | instid1(VALU_DEP_2)
	v_cmp_lt_u32_e32 vcc_lo, 0xffffff, v44
	v_sub_nc_u32_e32 v180, v45, v46
	v_cndmask_b32_e64 v45, 0, 1, vcc_lo
	v_add_co_ci_u32_e32 v180, vcc_lo, 0, v180, vcc_lo
	s_delay_alu instid0(VALU_DEP_2)
	v_lshrrev_b32_e32 v44, v45, v44
; %bb.2598:                             ;   in Loop: Header=BB4_1985 Depth=4
	s_and_not1_saveexec_b32 s13, s13
; %bb.2599:                             ;   in Loop: Header=BB4_1985 Depth=4
	s_delay_alu instid0(VALU_DEP_1)
	v_bfe_u32 v180, v44, 23, 1
; %bb.2600:                             ;   in Loop: Header=BB4_1985 Depth=4
	s_or_b32 exec_lo, exec_lo, s13
	v_lshrrev_b32_e32 v44, 21, v44
	s_delay_alu instid0(VALU_DEP_2) | instskip(SKIP_2) | instid1(VALU_DEP_2)
	v_cmp_gt_i32_e32 vcc_lo, 32, v180
	v_min_i32_e32 v45, 31, v180
	v_lshrrev_b32_e32 v43, 24, v43
	v_dual_cndmask_b32 v44, 3, v44 :: v_dual_lshlrev_b32 v45, 2, v45
	s_delay_alu instid0(VALU_DEP_2) | instskip(NEXT) | instid1(VALU_DEP_2)
	v_and_b32_e32 v43, 0x80, v43
	v_or_b32_e32 v180, v180, v44
	v_and_b32_e32 v46, 3, v44
	s_delay_alu instid0(VALU_DEP_2) | instskip(SKIP_1) | instid1(VALU_DEP_1)
	v_cmp_ne_u32_e32 vcc_lo, 0, v180
	v_and_b32_e32 v45, 0xfc, v45
	v_or3_b32 v43, v43, v45, v46
	s_delay_alu instid0(VALU_DEP_1) | instskip(NEXT) | instid1(VALU_DEP_1)
	v_lshlrev_b32_e32 v43, 8, v43
	v_cndmask_b32_e32 v180, 0, v43, vcc_lo
.LBB4_2601:                             ;   in Loop: Header=BB4_1985 Depth=4
	s_or_b32 exec_lo, exec_lo, s35
.LBB4_2602:                             ;   in Loop: Header=BB4_1985 Depth=4
	s_delay_alu instid0(SALU_CYCLE_1) | instskip(SKIP_3) | instid1(VALU_DEP_1)
	s_or_b32 exec_lo, exec_lo, s34
	v_or_b32_e32 v181, v181, v178
	s_mov_b32 s13, 0
	s_mov_b32 s35, exec_lo
                                        ; implicit-def: $sgpr34
	v_and_b32_e32 v43, 0xff, v181
	s_delay_alu instid0(VALU_DEP_1)
	v_cmpx_lt_i16_e32 0x7f, v43
	s_xor_b32 s35, exec_lo, s35
	s_cbranch_execnz .LBB4_3128
; %bb.2603:                             ;   in Loop: Header=BB4_1985 Depth=4
	s_or_saveexec_b32 s35, s35
	v_mov_b32_e32 v178, s34
	s_xor_b32 exec_lo, exec_lo, s35
	s_cbranch_execnz .LBB4_3131
.LBB4_2604:                             ;   in Loop: Header=BB4_1985 Depth=4
	s_or_b32 exec_lo, exec_lo, s35
	v_lshl_or_b32 v181, v181, 16, v41
	s_and_saveexec_b32 s34, s13
	s_cbranch_execz .LBB4_2606
.LBB4_2605:                             ;   in Loop: Header=BB4_1985 Depth=4
	s_delay_alu instid0(VALU_DEP_1) | instskip(SKIP_1) | instid1(VALU_DEP_2)
	v_bfe_u32 v178, v181, 16, 2
	v_lshrrev_b32_e32 v43, 16, v181
	v_clz_i32_u32_e32 v41, v178
	s_delay_alu instid0(VALU_DEP_1) | instskip(NEXT) | instid1(VALU_DEP_1)
	v_min_u32_e32 v41, 32, v41
	v_subrev_nc_u32_e32 v44, 29, v41
	v_sub_nc_u32_e32 v41, 30, v41
	s_delay_alu instid0(VALU_DEP_2) | instskip(SKIP_1) | instid1(VALU_DEP_2)
	v_lshlrev_b32_e32 v43, v44, v43
	v_bfe_u32 v44, v181, 18, 5
	v_and_b32_e32 v43, 3, v43
	s_delay_alu instid0(VALU_DEP_2) | instskip(NEXT) | instid1(VALU_DEP_2)
	v_cmp_eq_u32_e32 vcc_lo, 0, v44
	v_dual_cndmask_b32 v178, v178, v43 :: v_dual_lshlrev_b32 v45, 8, v181
	v_cndmask_b32_e32 v41, v44, v41, vcc_lo
	s_delay_alu instid0(VALU_DEP_2) | instskip(NEXT) | instid1(VALU_DEP_3)
	v_and_b32_e32 v43, 0x80000000, v45
	v_lshlrev_b32_e32 v178, 21, v178
	s_delay_alu instid0(VALU_DEP_3) | instskip(NEXT) | instid1(VALU_DEP_1)
	v_lshl_add_u32 v41, v41, 23, 0x37800000
	v_or3_b32 v178, v43, v41, v178
.LBB4_2606:                             ;   in Loop: Header=BB4_1985 Depth=4
	s_or_b32 exec_lo, exec_lo, s34
	v_lshrrev_b32_e32 v41, 16, v15
	s_mov_b32 s13, 0
	s_mov_b32 s35, exec_lo
                                        ; implicit-def: $sgpr34
	s_delay_alu instid0(VALU_DEP_1) | instskip(NEXT) | instid1(VALU_DEP_1)
	v_and_b32_e32 v44, 0xff, v41
	v_cmpx_lt_i16_e32 0x7f, v44
	s_xor_b32 s35, exec_lo, s35
	s_cbranch_execnz .LBB4_3132
; %bb.2607:                             ;   in Loop: Header=BB4_1985 Depth=4
	s_or_saveexec_b32 s35, s35
	v_mov_b32_e32 v43, s34
	s_xor_b32 exec_lo, exec_lo, s35
	s_cbranch_execnz .LBB4_3135
.LBB4_2608:                             ;   in Loop: Header=BB4_1985 Depth=4
	s_or_b32 exec_lo, exec_lo, s35
	s_and_saveexec_b32 s34, s13
	s_cbranch_execz .LBB4_2610
.LBB4_2609:                             ;   in Loop: Header=BB4_1985 Depth=4
	v_bfe_u32 v43, v15, 16, 2
	s_delay_alu instid0(VALU_DEP_1) | instskip(NEXT) | instid1(VALU_DEP_1)
	v_clz_i32_u32_e32 v44, v43
	v_min_u32_e32 v44, 32, v44
	s_delay_alu instid0(VALU_DEP_1) | instskip(SKIP_1) | instid1(VALU_DEP_2)
	v_subrev_nc_u32_e32 v45, 29, v44
	v_sub_nc_u32_e32 v44, 30, v44
	v_lshlrev_b32_e32 v41, v45, v41
	v_bfe_u32 v45, v15, 18, 5
	s_delay_alu instid0(VALU_DEP_1) | instskip(NEXT) | instid1(VALU_DEP_3)
	v_cmp_eq_u32_e32 vcc_lo, 0, v45
	v_dual_cndmask_b32 v44, v45, v44 :: v_dual_and_b32 v41, 3, v41
	s_delay_alu instid0(VALU_DEP_1) | instskip(NEXT) | instid1(VALU_DEP_2)
	v_dual_cndmask_b32 v41, v43, v41 :: v_dual_lshlrev_b32 v46, 8, v15
	v_lshl_add_u32 v44, v44, 23, 0x37800000
	s_delay_alu instid0(VALU_DEP_2) | instskip(NEXT) | instid1(VALU_DEP_3)
	v_and_b32_e32 v43, 0x80000000, v46
	v_lshlrev_b32_e32 v41, 21, v41
	s_delay_alu instid0(VALU_DEP_1)
	v_or3_b32 v43, v43, v44, v41
.LBB4_2610:                             ;   in Loop: Header=BB4_1985 Depth=4
	s_or_b32 exec_lo, exec_lo, s34
	s_delay_alu instid0(VALU_DEP_1) | instskip(NEXT) | instid1(VALU_DEP_1)
	v_add_f32_e32 v41, v178, v43
	v_and_b32_e32 v178, 0x7f800000, v41
	s_delay_alu instid0(VALU_DEP_1)
	v_cmp_ne_u32_e32 vcc_lo, 0x7f800000, v178
	v_mov_b32_e32 v178, 0x80
	s_and_saveexec_b32 s34, vcc_lo
	s_cbranch_execz .LBB4_2618
; %bb.2611:                             ;   in Loop: Header=BB4_1985 Depth=4
	v_mov_b32_e32 v178, 0
	s_mov_b32 s35, exec_lo
	v_cmpx_ne_u32_e32 0, v41
	s_cbranch_execz .LBB4_2617
; %bb.2612:                             ;   in Loop: Header=BB4_1985 Depth=4
	v_bfe_u32 v178, v41, 23, 8
	s_delay_alu instid0(VALU_DEP_1) | instskip(SKIP_1) | instid1(VALU_DEP_2)
	v_sub_nc_u32_e32 v44, 0x70, v178
	v_cmp_gt_u32_e32 vcc_lo, 0x71, v178
	v_dual_cndmask_b32 v44, 0, v44 :: v_dual_and_b32 v43, 0x7fffff, v41
	s_delay_alu instid0(VALU_DEP_1) | instskip(SKIP_2) | instid1(VALU_DEP_4)
	v_or_b32_e32 v45, 0x800000, v43
	v_cmp_eq_u32_e32 vcc_lo, 0, v178
	v_add_nc_u32_e32 v178, 0xffffff91, v178
	v_cndmask_b32_e64 v44, v44, 0x6f, vcc_lo
	s_delay_alu instid0(VALU_DEP_4) | instskip(NEXT) | instid1(VALU_DEP_3)
	v_cndmask_b32_e32 v43, v45, v43, vcc_lo
	v_cndmask_b32_e64 v178, v178, 0xffffff92, vcc_lo
	s_delay_alu instid0(VALU_DEP_3) | instskip(NEXT) | instid1(VALU_DEP_3)
	v_lshl_add_u32 v45, 0x200000, v44, -1
	v_lshrrev_b32_e32 v46, v44, v43
	v_lshlrev_b32_e64 v56, v44, 0x100000
	s_delay_alu instid0(VALU_DEP_4) | instskip(NEXT) | instid1(VALU_DEP_4)
	v_add_nc_u32_e32 v44, v44, v178
	v_and_b32_e32 v43, v45, v43
	s_delay_alu instid0(VALU_DEP_4) | instskip(NEXT) | instid1(VALU_DEP_2)
	v_bfe_u32 v47, v46, 21, 1
	v_cmp_eq_u32_e64 s13, v43, v56
	s_delay_alu instid0(VALU_DEP_2) | instskip(NEXT) | instid1(VALU_DEP_1)
	v_add_nc_u32_e32 v45, -1, v47
	v_cndmask_b32_e64 v43, 0, v45, s13
	v_lshrrev_b32_e32 v45, 23, v46
	s_mov_b32 s13, exec_lo
	s_delay_alu instid0(VALU_DEP_2) | instskip(NEXT) | instid1(VALU_DEP_2)
	v_add_nc_u32_e32 v43, v43, v46
	v_xor_b32_e32 v45, 1, v45
	s_delay_alu instid0(VALU_DEP_2) | instskip(NEXT) | instid1(VALU_DEP_1)
	v_and_b32_e32 v178, 0x1fffff, v43
	v_add_nc_u32_e32 v43, v178, v46
                                        ; implicit-def: $vgpr178
	s_delay_alu instid0(VALU_DEP_3)
	v_cmpx_ne_u32_e64 v44, v45
	s_xor_b32 s13, exec_lo, s13
; %bb.2613:                             ;   in Loop: Header=BB4_1985 Depth=4
	s_delay_alu instid0(VALU_DEP_2) | instskip(SKIP_2) | instid1(VALU_DEP_2)
	v_cmp_lt_u32_e32 vcc_lo, 0xffffff, v43
	v_sub_nc_u32_e32 v178, v44, v45
	v_cndmask_b32_e64 v44, 0, 1, vcc_lo
	v_add_co_ci_u32_e32 v178, vcc_lo, 0, v178, vcc_lo
	s_delay_alu instid0(VALU_DEP_2)
	v_lshrrev_b32_e32 v43, v44, v43
; %bb.2614:                             ;   in Loop: Header=BB4_1985 Depth=4
	s_and_not1_saveexec_b32 s13, s13
; %bb.2615:                             ;   in Loop: Header=BB4_1985 Depth=4
	s_delay_alu instid0(VALU_DEP_1)
	v_bfe_u32 v178, v43, 23, 1
; %bb.2616:                             ;   in Loop: Header=BB4_1985 Depth=4
	s_or_b32 exec_lo, exec_lo, s13
	v_lshrrev_b32_e32 v43, 21, v43
	s_delay_alu instid0(VALU_DEP_2) | instskip(SKIP_2) | instid1(VALU_DEP_2)
	v_cmp_gt_i32_e32 vcc_lo, 32, v178
	v_min_i32_e32 v44, 31, v178
	v_lshrrev_b32_e32 v41, 24, v41
	v_dual_cndmask_b32 v43, 3, v43 :: v_dual_lshlrev_b32 v44, 2, v44
	s_delay_alu instid0(VALU_DEP_2) | instskip(NEXT) | instid1(VALU_DEP_2)
	v_and_b32_e32 v41, 0x80, v41
	v_or_b32_e32 v178, v178, v43
	s_delay_alu instid0(VALU_DEP_3) | instskip(NEXT) | instid1(VALU_DEP_2)
	v_and_b32_e32 v44, 0xfc, v44
	v_cmp_ne_u32_e32 vcc_lo, 0, v178
	v_and_b32_e32 v45, 3, v43
	s_delay_alu instid0(VALU_DEP_1) | instskip(NEXT) | instid1(VALU_DEP_1)
	v_or3_b32 v41, v44, v41, v45
	v_cndmask_b32_e32 v178, 0, v41, vcc_lo
.LBB4_2617:                             ;   in Loop: Header=BB4_1985 Depth=4
	s_or_b32 exec_lo, exec_lo, s35
.LBB4_2618:                             ;   in Loop: Header=BB4_1985 Depth=4
	s_delay_alu instid0(SALU_CYCLE_1) | instskip(SKIP_3) | instid1(VALU_DEP_1)
	s_or_b32 exec_lo, exec_lo, s34
	v_lshrrev_b32_e32 v43, 24, v181
	s_mov_b32 s13, 0
	s_mov_b32 s35, exec_lo
                                        ; implicit-def: $sgpr34
	v_cmpx_lt_i16_e32 0x7f, v43
	s_xor_b32 s35, exec_lo, s35
	s_cbranch_execnz .LBB4_3136
; %bb.2619:                             ;   in Loop: Header=BB4_1985 Depth=4
	s_or_saveexec_b32 s35, s35
	v_mov_b32_e32 v41, s34
	s_xor_b32 exec_lo, exec_lo, s35
	s_cbranch_execnz .LBB4_3139
.LBB4_2620:                             ;   in Loop: Header=BB4_1985 Depth=4
	s_or_b32 exec_lo, exec_lo, s35
	s_and_saveexec_b32 s34, s13
	s_cbranch_execz .LBB4_2622
.LBB4_2621:                             ;   in Loop: Header=BB4_1985 Depth=4
	v_bfe_u32 v41, v181, 24, 2
	s_delay_alu instid0(VALU_DEP_1) | instskip(NEXT) | instid1(VALU_DEP_1)
	v_clz_i32_u32_e32 v44, v41
	v_min_u32_e32 v44, 32, v44
	s_delay_alu instid0(VALU_DEP_1) | instskip(SKIP_1) | instid1(VALU_DEP_2)
	v_subrev_nc_u32_e32 v45, 29, v44
	v_sub_nc_u32_e32 v44, 30, v44
	v_lshlrev_b32_e32 v43, v45, v43
	v_bfe_u32 v45, v181, 26, 5
	v_and_b32_e32 v181, 0x80000000, v181
	s_delay_alu instid0(VALU_DEP_2) | instskip(NEXT) | instid1(VALU_DEP_4)
	v_cmp_eq_u32_e32 vcc_lo, 0, v45
	v_dual_cndmask_b32 v44, v45, v44 :: v_dual_and_b32 v43, 3, v43
	s_delay_alu instid0(VALU_DEP_1) | instskip(NEXT) | instid1(VALU_DEP_2)
	v_cndmask_b32_e32 v41, v41, v43, vcc_lo
	v_lshl_add_u32 v43, v44, 23, 0x37800000
	s_delay_alu instid0(VALU_DEP_2) | instskip(NEXT) | instid1(VALU_DEP_1)
	v_lshlrev_b32_e32 v41, 21, v41
	v_or3_b32 v41, v181, v43, v41
.LBB4_2622:                             ;   in Loop: Header=BB4_1985 Depth=4
	s_or_b32 exec_lo, exec_lo, s34
	v_lshrrev_b32_e32 v181, 24, v15
	s_mov_b32 s13, 0
	s_mov_b32 s35, exec_lo
                                        ; implicit-def: $sgpr34
	s_delay_alu instid0(VALU_DEP_1)
	v_cmpx_lt_i16_e64 0x7f, v181
	s_xor_b32 s35, exec_lo, s35
	s_cbranch_execnz .LBB4_3140
; %bb.2623:                             ;   in Loop: Header=BB4_1985 Depth=4
	s_or_saveexec_b32 s35, s35
	v_mov_b32_e32 v43, s34
	s_xor_b32 exec_lo, exec_lo, s35
	s_cbranch_execnz .LBB4_3143
.LBB4_2624:                             ;   in Loop: Header=BB4_1985 Depth=4
	s_or_b32 exec_lo, exec_lo, s35
	s_and_saveexec_b32 s34, s13
	s_cbranch_execz .LBB4_2626
.LBB4_2625:                             ;   in Loop: Header=BB4_1985 Depth=4
	v_bfe_u32 v43, v15, 24, 2
	s_delay_alu instid0(VALU_DEP_1) | instskip(NEXT) | instid1(VALU_DEP_1)
	v_clz_i32_u32_e32 v44, v43
	v_min_u32_e32 v44, 32, v44
	s_delay_alu instid0(VALU_DEP_1) | instskip(SKIP_1) | instid1(VALU_DEP_2)
	v_subrev_nc_u32_e32 v45, 29, v44
	v_sub_nc_u32_e32 v44, 30, v44
	v_lshlrev_b32_e32 v181, v45, v181
	v_bfe_u32 v45, v15, 26, 5
	v_and_b32_e32 v15, 0x80000000, v15
	s_delay_alu instid0(VALU_DEP_2) | instskip(NEXT) | instid1(VALU_DEP_4)
	v_cmp_eq_u32_e32 vcc_lo, 0, v45
	v_dual_cndmask_b32 v44, v45, v44 :: v_dual_and_b32 v181, 3, v181
	s_delay_alu instid0(VALU_DEP_1) | instskip(NEXT) | instid1(VALU_DEP_2)
	v_cndmask_b32_e32 v181, v43, v181, vcc_lo
	v_lshl_add_u32 v43, v44, 23, 0x37800000
	s_delay_alu instid0(VALU_DEP_2) | instskip(NEXT) | instid1(VALU_DEP_1)
	v_lshlrev_b32_e32 v181, 21, v181
	v_or3_b32 v43, v15, v43, v181
.LBB4_2626:                             ;   in Loop: Header=BB4_1985 Depth=4
	s_or_b32 exec_lo, exec_lo, s34
	s_delay_alu instid0(VALU_DEP_1) | instskip(NEXT) | instid1(VALU_DEP_1)
	v_add_f32_e32 v181, v41, v43
	v_and_b32_e32 v15, 0x7f800000, v181
	s_delay_alu instid0(VALU_DEP_1)
	v_cmp_ne_u32_e32 vcc_lo, 0x7f800000, v15
	v_mov_b32_e32 v15, 0x8000
	s_and_saveexec_b32 s34, vcc_lo
	s_cbranch_execz .LBB4_2634
; %bb.2627:                             ;   in Loop: Header=BB4_1985 Depth=4
	v_mov_b32_e32 v15, 0
	s_mov_b32 s35, exec_lo
	v_cmpx_ne_u32_e32 0, v181
	s_cbranch_execz .LBB4_2633
; %bb.2628:                             ;   in Loop: Header=BB4_1985 Depth=4
	v_bfe_u32 v15, v181, 23, 8
	v_and_b32_e32 v41, 0x7fffff, v181
	s_delay_alu instid0(VALU_DEP_2) | instskip(SKIP_1) | instid1(VALU_DEP_3)
	v_sub_nc_u32_e32 v43, 0x70, v15
	v_cmp_gt_u32_e32 vcc_lo, 0x71, v15
	v_or_b32_e32 v44, 0x800000, v41
	s_delay_alu instid0(VALU_DEP_3) | instskip(SKIP_2) | instid1(VALU_DEP_3)
	v_cndmask_b32_e32 v43, 0, v43, vcc_lo
	v_cmp_eq_u32_e32 vcc_lo, 0, v15
	v_add_nc_u32_e32 v15, 0xffffff91, v15
	v_cndmask_b32_e64 v43, v43, 0x6f, vcc_lo
	v_cndmask_b32_e32 v41, v44, v41, vcc_lo
	s_delay_alu instid0(VALU_DEP_3) | instskip(NEXT) | instid1(VALU_DEP_3)
	v_cndmask_b32_e64 v15, v15, 0xffffff92, vcc_lo
	v_lshl_add_u32 v44, 0x200000, v43, -1
	s_delay_alu instid0(VALU_DEP_3) | instskip(SKIP_1) | instid1(VALU_DEP_4)
	v_lshrrev_b32_e32 v45, v43, v41
	v_lshlrev_b32_e64 v47, v43, 0x100000
	v_add_nc_u32_e32 v43, v43, v15
	s_delay_alu instid0(VALU_DEP_4) | instskip(NEXT) | instid1(VALU_DEP_4)
	v_and_b32_e32 v41, v44, v41
	v_bfe_u32 v46, v45, 21, 1
	s_delay_alu instid0(VALU_DEP_2) | instskip(NEXT) | instid1(VALU_DEP_2)
	v_cmp_eq_u32_e64 s13, v41, v47
	v_add_nc_u32_e32 v44, -1, v46
	s_delay_alu instid0(VALU_DEP_1) | instskip(SKIP_2) | instid1(VALU_DEP_2)
	v_cndmask_b32_e64 v41, 0, v44, s13
	v_lshrrev_b32_e32 v44, 23, v45
	s_mov_b32 s13, exec_lo
	v_add_nc_u32_e32 v41, v41, v45
	s_delay_alu instid0(VALU_DEP_2) | instskip(NEXT) | instid1(VALU_DEP_2)
	v_xor_b32_e32 v44, 1, v44
	v_and_b32_e32 v15, 0x1fffff, v41
	s_delay_alu instid0(VALU_DEP_1) | instskip(NEXT) | instid1(VALU_DEP_3)
	v_add_nc_u32_e32 v41, v15, v45
                                        ; implicit-def: $vgpr15
	v_cmpx_ne_u32_e64 v43, v44
	s_xor_b32 s13, exec_lo, s13
; %bb.2629:                             ;   in Loop: Header=BB4_1985 Depth=4
	s_delay_alu instid0(VALU_DEP_2) | instskip(SKIP_2) | instid1(VALU_DEP_2)
	v_cmp_lt_u32_e32 vcc_lo, 0xffffff, v41
	v_sub_nc_u32_e32 v15, v43, v44
	v_cndmask_b32_e64 v43, 0, 1, vcc_lo
	v_add_co_ci_u32_e32 v15, vcc_lo, 0, v15, vcc_lo
	s_delay_alu instid0(VALU_DEP_2)
	v_lshrrev_b32_e32 v41, v43, v41
; %bb.2630:                             ;   in Loop: Header=BB4_1985 Depth=4
	s_and_not1_saveexec_b32 s13, s13
; %bb.2631:                             ;   in Loop: Header=BB4_1985 Depth=4
	s_delay_alu instid0(VALU_DEP_1)
	v_bfe_u32 v15, v41, 23, 1
; %bb.2632:                             ;   in Loop: Header=BB4_1985 Depth=4
	s_or_b32 exec_lo, exec_lo, s13
	v_lshrrev_b32_e32 v41, 21, v41
	s_delay_alu instid0(VALU_DEP_2) | instskip(SKIP_2) | instid1(VALU_DEP_3)
	v_min_i32_e32 v43, 31, v15
	v_cmp_gt_i32_e32 vcc_lo, 32, v15
	v_lshrrev_b32_e32 v181, 24, v181
	v_lshlrev_b32_e32 v43, 2, v43
	v_cndmask_b32_e32 v41, 3, v41, vcc_lo
	s_delay_alu instid0(VALU_DEP_3) | instskip(NEXT) | instid1(VALU_DEP_3)
	v_and_b32_e32 v181, 0x80, v181
	v_and_b32_e32 v43, 0xfc, v43
	s_delay_alu instid0(VALU_DEP_3) | instskip(SKIP_1) | instid1(VALU_DEP_2)
	v_and_b32_e32 v44, 3, v41
	v_or_b32_e32 v15, v15, v41
	v_or3_b32 v181, v181, v43, v44
	s_delay_alu instid0(VALU_DEP_2) | instskip(NEXT) | instid1(VALU_DEP_2)
	v_cmp_ne_u32_e32 vcc_lo, 0, v15
	v_lshlrev_b32_e32 v181, 8, v181
	s_delay_alu instid0(VALU_DEP_1)
	v_cndmask_b32_e32 v15, 0, v181, vcc_lo
.LBB4_2633:                             ;   in Loop: Header=BB4_1985 Depth=4
	s_or_b32 exec_lo, exec_lo, s35
.LBB4_2634:                             ;   in Loop: Header=BB4_1985 Depth=4
	s_delay_alu instid0(SALU_CYCLE_1) | instskip(SKIP_3) | instid1(VALU_DEP_1)
	s_or_b32 exec_lo, exec_lo, s34
	v_and_b32_e32 v41, 0xff, v176
	s_mov_b32 s13, 0
	s_mov_b32 s35, exec_lo
                                        ; implicit-def: $sgpr34
	v_cmpx_lt_i16_e32 0x7f, v41
	s_xor_b32 s35, exec_lo, s35
	s_cbranch_execnz .LBB4_3144
; %bb.2635:                             ;   in Loop: Header=BB4_1985 Depth=4
	s_or_saveexec_b32 s35, s35
	v_mov_b32_e32 v181, s34
	s_xor_b32 exec_lo, exec_lo, s35
	s_cbranch_execnz .LBB4_3147
.LBB4_2636:                             ;   in Loop: Header=BB4_1985 Depth=4
	s_or_b32 exec_lo, exec_lo, s35
	s_and_saveexec_b32 s34, s13
	s_cbranch_execz .LBB4_2638
.LBB4_2637:                             ;   in Loop: Header=BB4_1985 Depth=4
	v_and_b32_e32 v181, 3, v176
	v_bfe_u32 v44, v176, 2, 5
	s_delay_alu instid0(VALU_DEP_2) | instskip(NEXT) | instid1(VALU_DEP_2)
	v_clz_i32_u32_e32 v41, v181
	v_cmp_eq_u32_e32 vcc_lo, 0, v44
	s_delay_alu instid0(VALU_DEP_2) | instskip(NEXT) | instid1(VALU_DEP_1)
	v_min_u32_e32 v41, 32, v41
	v_subrev_nc_u32_e32 v43, 29, v41
	v_sub_nc_u32_e32 v41, 30, v41
	s_delay_alu instid0(VALU_DEP_2) | instskip(NEXT) | instid1(VALU_DEP_2)
	v_lshlrev_b32_e32 v43, v43, v176
	v_dual_cndmask_b32 v41, v44, v41 :: v_dual_lshlrev_b32 v176, 24, v176
	s_delay_alu instid0(VALU_DEP_2) | instskip(NEXT) | instid1(VALU_DEP_2)
	v_and_b32_e32 v43, 3, v43
	v_and_b32_e32 v176, 0x80000000, v176
	s_delay_alu instid0(VALU_DEP_3) | instskip(NEXT) | instid1(VALU_DEP_3)
	v_lshl_add_u32 v41, v41, 23, 0x37800000
	v_cndmask_b32_e32 v181, v181, v43, vcc_lo
	s_delay_alu instid0(VALU_DEP_1) | instskip(NEXT) | instid1(VALU_DEP_1)
	v_lshlrev_b32_e32 v181, 21, v181
	v_or3_b32 v181, v176, v41, v181
.LBB4_2638:                             ;   in Loop: Header=BB4_1985 Depth=4
	s_or_b32 exec_lo, exec_lo, s34
	s_waitcnt vmcnt(0)
	v_and_b32_e32 v41, 0xff, v8
	s_mov_b32 s13, 0
	s_mov_b32 s35, exec_lo
                                        ; implicit-def: $sgpr34
	s_delay_alu instid0(VALU_DEP_1)
	v_cmpx_lt_i16_e32 0x7f, v41
	s_xor_b32 s35, exec_lo, s35
	s_cbranch_execnz .LBB4_3148
; %bb.2639:                             ;   in Loop: Header=BB4_1985 Depth=4
	s_or_saveexec_b32 s35, s35
	v_mov_b32_e32 v176, s34
	s_xor_b32 exec_lo, exec_lo, s35
	s_cbranch_execnz .LBB4_3151
.LBB4_2640:                             ;   in Loop: Header=BB4_1985 Depth=4
	s_or_b32 exec_lo, exec_lo, s35
	s_and_saveexec_b32 s34, s13
	s_cbranch_execz .LBB4_2642
.LBB4_2641:                             ;   in Loop: Header=BB4_1985 Depth=4
	v_bfe_u32 v44, v8, 2, 5
	s_delay_alu instid0(VALU_DEP_1) | instskip(SKIP_1) | instid1(VALU_DEP_1)
	v_cmp_eq_u32_e32 vcc_lo, 0, v44
	v_and_b32_e32 v176, 3, v8
	v_clz_i32_u32_e32 v41, v176
	s_delay_alu instid0(VALU_DEP_1) | instskip(NEXT) | instid1(VALU_DEP_1)
	v_min_u32_e32 v41, 32, v41
	v_subrev_nc_u32_e32 v43, 29, v41
	v_sub_nc_u32_e32 v41, 30, v41
	s_delay_alu instid0(VALU_DEP_2) | instskip(NEXT) | instid1(VALU_DEP_2)
	v_lshlrev_b32_e32 v43, v43, v8
	v_cndmask_b32_e32 v41, v44, v41, vcc_lo
	s_delay_alu instid0(VALU_DEP_2) | instskip(SKIP_1) | instid1(VALU_DEP_3)
	v_and_b32_e32 v43, 3, v43
	v_lshlrev_b32_e32 v45, 24, v8
	v_lshl_add_u32 v41, v41, 23, 0x37800000
	s_delay_alu instid0(VALU_DEP_2) | instskip(NEXT) | instid1(VALU_DEP_1)
	v_dual_cndmask_b32 v176, v176, v43 :: v_dual_and_b32 v43, 0x80000000, v45
	v_lshlrev_b32_e32 v176, 21, v176
	s_delay_alu instid0(VALU_DEP_1)
	v_or3_b32 v176, v43, v41, v176
.LBB4_2642:                             ;   in Loop: Header=BB4_1985 Depth=4
	s_or_b32 exec_lo, exec_lo, s34
	s_delay_alu instid0(VALU_DEP_1) | instskip(NEXT) | instid1(VALU_DEP_1)
	v_add_f32_e32 v181, v181, v176
	v_and_b32_e32 v176, 0x7f800000, v181
	s_delay_alu instid0(VALU_DEP_1)
	v_cmp_ne_u32_e32 vcc_lo, 0x7f800000, v176
	v_mov_b32_e32 v176, 0x80
	s_and_saveexec_b32 s34, vcc_lo
	s_cbranch_execz .LBB4_2650
; %bb.2643:                             ;   in Loop: Header=BB4_1985 Depth=4
	v_mov_b32_e32 v176, 0
	s_mov_b32 s35, exec_lo
	v_cmpx_ne_u32_e32 0, v181
	s_cbranch_execz .LBB4_2649
; %bb.2644:                             ;   in Loop: Header=BB4_1985 Depth=4
	v_bfe_u32 v176, v181, 23, 8
	v_and_b32_e32 v41, 0x7fffff, v181
	s_delay_alu instid0(VALU_DEP_2) | instskip(SKIP_1) | instid1(VALU_DEP_3)
	v_sub_nc_u32_e32 v43, 0x70, v176
	v_cmp_gt_u32_e32 vcc_lo, 0x71, v176
	v_or_b32_e32 v44, 0x800000, v41
	s_delay_alu instid0(VALU_DEP_3) | instskip(SKIP_2) | instid1(VALU_DEP_3)
	v_cndmask_b32_e32 v43, 0, v43, vcc_lo
	v_cmp_eq_u32_e32 vcc_lo, 0, v176
	v_add_nc_u32_e32 v176, 0xffffff91, v176
	v_cndmask_b32_e64 v43, v43, 0x6f, vcc_lo
	v_cndmask_b32_e32 v41, v44, v41, vcc_lo
	s_delay_alu instid0(VALU_DEP_3) | instskip(NEXT) | instid1(VALU_DEP_3)
	v_cndmask_b32_e64 v176, v176, 0xffffff92, vcc_lo
	v_lshl_add_u32 v44, 0x200000, v43, -1
	s_delay_alu instid0(VALU_DEP_3) | instskip(SKIP_1) | instid1(VALU_DEP_4)
	v_lshrrev_b32_e32 v45, v43, v41
	v_lshlrev_b32_e64 v47, v43, 0x100000
	v_add_nc_u32_e32 v43, v43, v176
	s_delay_alu instid0(VALU_DEP_4) | instskip(NEXT) | instid1(VALU_DEP_4)
	v_and_b32_e32 v41, v44, v41
	v_bfe_u32 v46, v45, 21, 1
	s_delay_alu instid0(VALU_DEP_2) | instskip(NEXT) | instid1(VALU_DEP_2)
	v_cmp_eq_u32_e64 s13, v41, v47
	v_add_nc_u32_e32 v44, -1, v46
	s_delay_alu instid0(VALU_DEP_1) | instskip(SKIP_2) | instid1(VALU_DEP_2)
	v_cndmask_b32_e64 v41, 0, v44, s13
	v_lshrrev_b32_e32 v44, 23, v45
	s_mov_b32 s13, exec_lo
	v_add_nc_u32_e32 v41, v41, v45
	s_delay_alu instid0(VALU_DEP_2) | instskip(NEXT) | instid1(VALU_DEP_2)
	v_xor_b32_e32 v44, 1, v44
	v_and_b32_e32 v176, 0x1fffff, v41
	s_delay_alu instid0(VALU_DEP_1) | instskip(NEXT) | instid1(VALU_DEP_3)
	v_add_nc_u32_e32 v41, v176, v45
                                        ; implicit-def: $vgpr176
	v_cmpx_ne_u32_e64 v43, v44
	s_xor_b32 s13, exec_lo, s13
; %bb.2645:                             ;   in Loop: Header=BB4_1985 Depth=4
	s_delay_alu instid0(VALU_DEP_2) | instskip(SKIP_2) | instid1(VALU_DEP_2)
	v_cmp_lt_u32_e32 vcc_lo, 0xffffff, v41
	v_sub_nc_u32_e32 v176, v43, v44
	v_cndmask_b32_e64 v43, 0, 1, vcc_lo
	v_add_co_ci_u32_e32 v176, vcc_lo, 0, v176, vcc_lo
	s_delay_alu instid0(VALU_DEP_2)
	v_lshrrev_b32_e32 v41, v43, v41
; %bb.2646:                             ;   in Loop: Header=BB4_1985 Depth=4
	s_and_not1_saveexec_b32 s13, s13
; %bb.2647:                             ;   in Loop: Header=BB4_1985 Depth=4
	s_delay_alu instid0(VALU_DEP_1)
	v_bfe_u32 v176, v41, 23, 1
; %bb.2648:                             ;   in Loop: Header=BB4_1985 Depth=4
	s_or_b32 exec_lo, exec_lo, s13
	v_lshrrev_b32_e32 v41, 21, v41
	s_delay_alu instid0(VALU_DEP_2) | instskip(SKIP_2) | instid1(VALU_DEP_4)
	v_cmp_gt_i32_e32 vcc_lo, 32, v176
	v_lshrrev_b32_e32 v181, 24, v181
	v_min_i32_e32 v43, 31, v176
	v_cndmask_b32_e32 v41, 3, v41, vcc_lo
	s_delay_alu instid0(VALU_DEP_3) | instskip(NEXT) | instid1(VALU_DEP_2)
	v_and_b32_e32 v181, 0x80, v181
	v_or_b32_e32 v176, v176, v41
	v_and_b32_e32 v44, 3, v41
	s_delay_alu instid0(VALU_DEP_2) | instskip(SKIP_1) | instid1(VALU_DEP_1)
	v_cmp_ne_u32_e32 vcc_lo, 0, v176
	v_lshlrev_b32_e32 v43, 2, v43
	v_or3_b32 v181, v43, v181, v44
	s_delay_alu instid0(VALU_DEP_1)
	v_cndmask_b32_e32 v176, 0, v181, vcc_lo
.LBB4_2649:                             ;   in Loop: Header=BB4_1985 Depth=4
	s_or_b32 exec_lo, exec_lo, s35
.LBB4_2650:                             ;   in Loop: Header=BB4_1985 Depth=4
	s_delay_alu instid0(SALU_CYCLE_1) | instskip(SKIP_3) | instid1(VALU_DEP_1)
	s_or_b32 exec_lo, exec_lo, s34
	v_and_b32_e32 v41, 0xff, v165
	s_mov_b32 s13, 0
	s_mov_b32 s35, exec_lo
                                        ; implicit-def: $sgpr34
	v_cmpx_lt_i16_e32 0x7f, v41
	s_xor_b32 s35, exec_lo, s35
	s_cbranch_execnz .LBB4_3152
; %bb.2651:                             ;   in Loop: Header=BB4_1985 Depth=4
	s_or_saveexec_b32 s35, s35
	v_mov_b32_e32 v181, s34
	s_xor_b32 exec_lo, exec_lo, s35
	s_cbranch_execnz .LBB4_3155
.LBB4_2652:                             ;   in Loop: Header=BB4_1985 Depth=4
	s_or_b32 exec_lo, exec_lo, s35
	s_and_saveexec_b32 s34, s13
	s_cbranch_execz .LBB4_2654
.LBB4_2653:                             ;   in Loop: Header=BB4_1985 Depth=4
	v_and_b32_e32 v181, 3, v165
	v_bfe_u32 v44, v165, 2, 5
	s_delay_alu instid0(VALU_DEP_2) | instskip(NEXT) | instid1(VALU_DEP_2)
	v_clz_i32_u32_e32 v41, v181
	v_cmp_eq_u32_e32 vcc_lo, 0, v44
	s_delay_alu instid0(VALU_DEP_2) | instskip(NEXT) | instid1(VALU_DEP_1)
	v_min_u32_e32 v41, 32, v41
	v_subrev_nc_u32_e32 v43, 29, v41
	v_sub_nc_u32_e32 v41, 30, v41
	s_delay_alu instid0(VALU_DEP_2) | instskip(SKIP_1) | instid1(VALU_DEP_3)
	v_lshlrev_b32_e32 v43, v43, v165
	v_lshlrev_b32_e32 v165, 24, v165
	v_cndmask_b32_e32 v41, v44, v41, vcc_lo
	s_delay_alu instid0(VALU_DEP_3) | instskip(NEXT) | instid1(VALU_DEP_3)
	v_and_b32_e32 v43, 3, v43
	v_and_b32_e32 v165, 0x80000000, v165
	s_delay_alu instid0(VALU_DEP_3) | instskip(NEXT) | instid1(VALU_DEP_3)
	v_lshl_add_u32 v41, v41, 23, 0x37800000
	v_cndmask_b32_e32 v181, v181, v43, vcc_lo
	s_delay_alu instid0(VALU_DEP_1) | instskip(NEXT) | instid1(VALU_DEP_1)
	v_lshlrev_b32_e32 v181, 21, v181
	v_or3_b32 v181, v165, v41, v181
.LBB4_2654:                             ;   in Loop: Header=BB4_1985 Depth=4
	s_or_b32 exec_lo, exec_lo, s34
	v_lshrrev_b16 v165, 8, v8
	s_mov_b32 s13, 0
	s_mov_b32 s35, exec_lo
                                        ; implicit-def: $sgpr34
	s_delay_alu instid0(VALU_DEP_1)
	v_cmpx_lt_i16_e64 0x7f, v165
	s_xor_b32 s35, exec_lo, s35
	s_cbranch_execnz .LBB4_3156
; %bb.2655:                             ;   in Loop: Header=BB4_1985 Depth=4
	s_or_saveexec_b32 s35, s35
	v_mov_b32_e32 v41, s34
	s_xor_b32 exec_lo, exec_lo, s35
	s_cbranch_execnz .LBB4_3159
.LBB4_2656:                             ;   in Loop: Header=BB4_1985 Depth=4
	s_or_b32 exec_lo, exec_lo, s35
	s_and_saveexec_b32 s34, s13
	s_cbranch_execz .LBB4_2658
.LBB4_2657:                             ;   in Loop: Header=BB4_1985 Depth=4
	v_and_b32_e32 v41, 0xffff, v165
	v_lshlrev_b32_e32 v165, 24, v165
	s_delay_alu instid0(VALU_DEP_2) | instskip(NEXT) | instid1(VALU_DEP_2)
	v_and_b32_e32 v43, 3, v41
	v_and_b32_e32 v165, 0x80000000, v165
	s_delay_alu instid0(VALU_DEP_2) | instskip(NEXT) | instid1(VALU_DEP_1)
	v_clz_i32_u32_e32 v44, v43
	v_min_u32_e32 v44, 32, v44
	s_delay_alu instid0(VALU_DEP_1) | instskip(SKIP_1) | instid1(VALU_DEP_2)
	v_subrev_nc_u32_e32 v45, 29, v44
	v_sub_nc_u32_e32 v44, 30, v44
	v_lshlrev_b32_e32 v45, v45, v41
	v_bfe_u32 v41, v41, 2, 5
	s_delay_alu instid0(VALU_DEP_2) | instskip(NEXT) | instid1(VALU_DEP_2)
	v_and_b32_e32 v45, 3, v45
	v_cmp_eq_u32_e32 vcc_lo, 0, v41
	v_cndmask_b32_e32 v41, v41, v44, vcc_lo
	s_delay_alu instid0(VALU_DEP_3) | instskip(NEXT) | instid1(VALU_DEP_2)
	v_cndmask_b32_e32 v43, v43, v45, vcc_lo
	v_lshl_add_u32 v41, v41, 23, 0x37800000
	s_delay_alu instid0(VALU_DEP_2) | instskip(NEXT) | instid1(VALU_DEP_1)
	v_lshlrev_b32_e32 v43, 21, v43
	v_or3_b32 v41, v165, v41, v43
.LBB4_2658:                             ;   in Loop: Header=BB4_1985 Depth=4
	s_or_b32 exec_lo, exec_lo, s34
	s_delay_alu instid0(VALU_DEP_1) | instskip(NEXT) | instid1(VALU_DEP_1)
	v_add_f32_e32 v181, v181, v41
	v_and_b32_e32 v165, 0x7f800000, v181
	s_delay_alu instid0(VALU_DEP_1)
	v_cmp_ne_u32_e32 vcc_lo, 0x7f800000, v165
	v_mov_b32_e32 v165, 0x80
	s_and_saveexec_b32 s34, vcc_lo
	s_cbranch_execz .LBB4_2666
; %bb.2659:                             ;   in Loop: Header=BB4_1985 Depth=4
	v_mov_b32_e32 v165, 0
	s_mov_b32 s35, exec_lo
	v_cmpx_ne_u32_e32 0, v181
	s_cbranch_execz .LBB4_2665
; %bb.2660:                             ;   in Loop: Header=BB4_1985 Depth=4
	v_bfe_u32 v165, v181, 23, 8
	v_and_b32_e32 v41, 0x7fffff, v181
	s_delay_alu instid0(VALU_DEP_2) | instskip(SKIP_1) | instid1(VALU_DEP_3)
	v_sub_nc_u32_e32 v43, 0x70, v165
	v_cmp_gt_u32_e32 vcc_lo, 0x71, v165
	v_or_b32_e32 v44, 0x800000, v41
	s_delay_alu instid0(VALU_DEP_3) | instskip(SKIP_2) | instid1(VALU_DEP_3)
	v_cndmask_b32_e32 v43, 0, v43, vcc_lo
	v_cmp_eq_u32_e32 vcc_lo, 0, v165
	v_add_nc_u32_e32 v165, 0xffffff91, v165
	v_cndmask_b32_e64 v43, v43, 0x6f, vcc_lo
	v_cndmask_b32_e32 v41, v44, v41, vcc_lo
	s_delay_alu instid0(VALU_DEP_3) | instskip(NEXT) | instid1(VALU_DEP_3)
	v_cndmask_b32_e64 v165, v165, 0xffffff92, vcc_lo
	v_lshl_add_u32 v44, 0x200000, v43, -1
	s_delay_alu instid0(VALU_DEP_3) | instskip(SKIP_1) | instid1(VALU_DEP_4)
	v_lshrrev_b32_e32 v45, v43, v41
	v_lshlrev_b32_e64 v47, v43, 0x100000
	v_add_nc_u32_e32 v43, v43, v165
	s_delay_alu instid0(VALU_DEP_4) | instskip(NEXT) | instid1(VALU_DEP_4)
	v_and_b32_e32 v41, v44, v41
	v_bfe_u32 v46, v45, 21, 1
	s_delay_alu instid0(VALU_DEP_2) | instskip(NEXT) | instid1(VALU_DEP_2)
	v_cmp_eq_u32_e64 s13, v41, v47
	v_add_nc_u32_e32 v44, -1, v46
	s_delay_alu instid0(VALU_DEP_1) | instskip(SKIP_2) | instid1(VALU_DEP_2)
	v_cndmask_b32_e64 v41, 0, v44, s13
	v_lshrrev_b32_e32 v44, 23, v45
	s_mov_b32 s13, exec_lo
	v_add_nc_u32_e32 v41, v41, v45
	s_delay_alu instid0(VALU_DEP_2) | instskip(NEXT) | instid1(VALU_DEP_2)
	v_xor_b32_e32 v44, 1, v44
	v_and_b32_e32 v165, 0x1fffff, v41
	s_delay_alu instid0(VALU_DEP_1) | instskip(NEXT) | instid1(VALU_DEP_3)
	v_add_nc_u32_e32 v41, v165, v45
                                        ; implicit-def: $vgpr165
	v_cmpx_ne_u32_e64 v43, v44
	s_xor_b32 s13, exec_lo, s13
; %bb.2661:                             ;   in Loop: Header=BB4_1985 Depth=4
	s_delay_alu instid0(VALU_DEP_2) | instskip(SKIP_2) | instid1(VALU_DEP_2)
	v_cmp_lt_u32_e32 vcc_lo, 0xffffff, v41
	v_sub_nc_u32_e32 v165, v43, v44
	v_cndmask_b32_e64 v43, 0, 1, vcc_lo
	v_add_co_ci_u32_e32 v165, vcc_lo, 0, v165, vcc_lo
	s_delay_alu instid0(VALU_DEP_2)
	v_lshrrev_b32_e32 v41, v43, v41
; %bb.2662:                             ;   in Loop: Header=BB4_1985 Depth=4
	s_and_not1_saveexec_b32 s13, s13
; %bb.2663:                             ;   in Loop: Header=BB4_1985 Depth=4
	s_delay_alu instid0(VALU_DEP_1)
	v_bfe_u32 v165, v41, 23, 1
; %bb.2664:                             ;   in Loop: Header=BB4_1985 Depth=4
	s_or_b32 exec_lo, exec_lo, s13
	v_lshrrev_b32_e32 v41, 21, v41
	s_delay_alu instid0(VALU_DEP_2) | instskip(SKIP_2) | instid1(VALU_DEP_4)
	v_cmp_gt_i32_e32 vcc_lo, 32, v165
	v_lshrrev_b32_e32 v181, 24, v181
	v_min_i32_e32 v43, 31, v165
	v_cndmask_b32_e32 v41, 3, v41, vcc_lo
	s_delay_alu instid0(VALU_DEP_3) | instskip(NEXT) | instid1(VALU_DEP_3)
	v_and_b32_e32 v181, 0x80, v181
	v_lshlrev_b32_e32 v43, 2, v43
	s_delay_alu instid0(VALU_DEP_3) | instskip(SKIP_1) | instid1(VALU_DEP_2)
	v_and_b32_e32 v44, 3, v41
	v_or_b32_e32 v165, v165, v41
	v_or3_b32 v181, v43, v181, v44
	s_delay_alu instid0(VALU_DEP_2) | instskip(NEXT) | instid1(VALU_DEP_2)
	v_cmp_ne_u32_e32 vcc_lo, 0, v165
	v_cndmask_b32_e32 v165, 0, v181, vcc_lo
.LBB4_2665:                             ;   in Loop: Header=BB4_1985 Depth=4
	s_or_b32 exec_lo, exec_lo, s35
.LBB4_2666:                             ;   in Loop: Header=BB4_1985 Depth=4
	s_delay_alu instid0(SALU_CYCLE_1) | instskip(SKIP_3) | instid1(VALU_DEP_1)
	s_or_b32 exec_lo, exec_lo, s34
	v_and_b32_e32 v41, 0xff, v164
	s_mov_b32 s13, 0
	s_mov_b32 s35, exec_lo
                                        ; implicit-def: $sgpr34
	v_cmpx_lt_i16_e32 0x7f, v41
	s_xor_b32 s35, exec_lo, s35
	s_cbranch_execnz .LBB4_3160
; %bb.2667:                             ;   in Loop: Header=BB4_1985 Depth=4
	s_or_saveexec_b32 s35, s35
	v_mov_b32_e32 v181, s34
	s_xor_b32 exec_lo, exec_lo, s35
	s_cbranch_execnz .LBB4_3163
.LBB4_2668:                             ;   in Loop: Header=BB4_1985 Depth=4
	s_or_b32 exec_lo, exec_lo, s35
	s_and_saveexec_b32 s34, s13
	s_cbranch_execz .LBB4_2670
.LBB4_2669:                             ;   in Loop: Header=BB4_1985 Depth=4
	v_and_b32_e32 v181, 3, v164
	v_bfe_u32 v44, v164, 2, 5
	s_delay_alu instid0(VALU_DEP_2) | instskip(NEXT) | instid1(VALU_DEP_2)
	v_clz_i32_u32_e32 v41, v181
	v_cmp_eq_u32_e32 vcc_lo, 0, v44
	s_delay_alu instid0(VALU_DEP_2) | instskip(NEXT) | instid1(VALU_DEP_1)
	v_min_u32_e32 v41, 32, v41
	v_subrev_nc_u32_e32 v43, 29, v41
	v_sub_nc_u32_e32 v41, 30, v41
	s_delay_alu instid0(VALU_DEP_2) | instskip(NEXT) | instid1(VALU_DEP_2)
	v_lshlrev_b32_e32 v43, v43, v164
	v_dual_cndmask_b32 v41, v44, v41 :: v_dual_lshlrev_b32 v164, 24, v164
	s_delay_alu instid0(VALU_DEP_2) | instskip(NEXT) | instid1(VALU_DEP_2)
	v_and_b32_e32 v43, 3, v43
	v_and_b32_e32 v164, 0x80000000, v164
	s_delay_alu instid0(VALU_DEP_3) | instskip(NEXT) | instid1(VALU_DEP_3)
	v_lshl_add_u32 v41, v41, 23, 0x37800000
	v_cndmask_b32_e32 v181, v181, v43, vcc_lo
	s_delay_alu instid0(VALU_DEP_1) | instskip(NEXT) | instid1(VALU_DEP_1)
	v_lshlrev_b32_e32 v181, 21, v181
	v_or3_b32 v181, v164, v41, v181
.LBB4_2670:                             ;   in Loop: Header=BB4_1985 Depth=4
	s_or_b32 exec_lo, exec_lo, s34
	v_lshrrev_b32_e32 v164, 16, v8
	s_mov_b32 s13, 0
	s_mov_b32 s35, exec_lo
                                        ; implicit-def: $sgpr34
	s_delay_alu instid0(VALU_DEP_1) | instskip(NEXT) | instid1(VALU_DEP_1)
	v_and_b32_e32 v43, 0xff, v164
	v_cmpx_lt_i16_e32 0x7f, v43
	s_xor_b32 s35, exec_lo, s35
	s_cbranch_execnz .LBB4_3164
; %bb.2671:                             ;   in Loop: Header=BB4_1985 Depth=4
	s_or_saveexec_b32 s35, s35
	v_mov_b32_e32 v41, s34
	s_xor_b32 exec_lo, exec_lo, s35
	s_cbranch_execnz .LBB4_3167
.LBB4_2672:                             ;   in Loop: Header=BB4_1985 Depth=4
	s_or_b32 exec_lo, exec_lo, s35
	s_and_saveexec_b32 s34, s13
	s_cbranch_execz .LBB4_2674
.LBB4_2673:                             ;   in Loop: Header=BB4_1985 Depth=4
	v_bfe_u32 v41, v8, 16, 2
	v_lshlrev_b32_e32 v45, 8, v8
	s_delay_alu instid0(VALU_DEP_2) | instskip(NEXT) | instid1(VALU_DEP_1)
	v_clz_i32_u32_e32 v43, v41
	v_min_u32_e32 v43, 32, v43
	s_delay_alu instid0(VALU_DEP_1) | instskip(SKIP_1) | instid1(VALU_DEP_2)
	v_subrev_nc_u32_e32 v44, 29, v43
	v_sub_nc_u32_e32 v43, 30, v43
	v_lshlrev_b32_e32 v164, v44, v164
	v_bfe_u32 v44, v8, 18, 5
	s_delay_alu instid0(VALU_DEP_1) | instskip(NEXT) | instid1(VALU_DEP_3)
	v_cmp_eq_u32_e32 vcc_lo, 0, v44
	v_dual_cndmask_b32 v43, v44, v43 :: v_dual_and_b32 v164, 3, v164
	s_delay_alu instid0(VALU_DEP_1) | instskip(NEXT) | instid1(VALU_DEP_2)
	v_dual_cndmask_b32 v164, v41, v164 :: v_dual_and_b32 v41, 0x80000000, v45
	v_lshl_add_u32 v43, v43, 23, 0x37800000
	s_delay_alu instid0(VALU_DEP_2) | instskip(NEXT) | instid1(VALU_DEP_1)
	v_lshlrev_b32_e32 v164, 21, v164
	v_or3_b32 v41, v41, v43, v164
.LBB4_2674:                             ;   in Loop: Header=BB4_1985 Depth=4
	s_or_b32 exec_lo, exec_lo, s34
	s_delay_alu instid0(VALU_DEP_1) | instskip(NEXT) | instid1(VALU_DEP_1)
	v_add_f32_e32 v181, v181, v41
	v_and_b32_e32 v164, 0x7f800000, v181
	s_delay_alu instid0(VALU_DEP_1)
	v_cmp_ne_u32_e32 vcc_lo, 0x7f800000, v164
	v_mov_b32_e32 v164, 0x80
	s_and_saveexec_b32 s34, vcc_lo
	s_cbranch_execz .LBB4_2682
; %bb.2675:                             ;   in Loop: Header=BB4_1985 Depth=4
	v_mov_b32_e32 v164, 0
	s_mov_b32 s35, exec_lo
	v_cmpx_ne_u32_e32 0, v181
	s_cbranch_execz .LBB4_2681
; %bb.2676:                             ;   in Loop: Header=BB4_1985 Depth=4
	v_bfe_u32 v164, v181, 23, 8
	v_and_b32_e32 v41, 0x7fffff, v181
	s_delay_alu instid0(VALU_DEP_2) | instskip(SKIP_1) | instid1(VALU_DEP_3)
	v_sub_nc_u32_e32 v43, 0x70, v164
	v_cmp_gt_u32_e32 vcc_lo, 0x71, v164
	v_or_b32_e32 v44, 0x800000, v41
	s_delay_alu instid0(VALU_DEP_3) | instskip(SKIP_2) | instid1(VALU_DEP_3)
	v_cndmask_b32_e32 v43, 0, v43, vcc_lo
	v_cmp_eq_u32_e32 vcc_lo, 0, v164
	v_add_nc_u32_e32 v164, 0xffffff91, v164
	v_cndmask_b32_e64 v43, v43, 0x6f, vcc_lo
	v_cndmask_b32_e32 v41, v44, v41, vcc_lo
	s_delay_alu instid0(VALU_DEP_3) | instskip(NEXT) | instid1(VALU_DEP_3)
	v_cndmask_b32_e64 v164, v164, 0xffffff92, vcc_lo
	v_lshl_add_u32 v44, 0x200000, v43, -1
	s_delay_alu instid0(VALU_DEP_3) | instskip(SKIP_1) | instid1(VALU_DEP_4)
	v_lshrrev_b32_e32 v45, v43, v41
	v_lshlrev_b32_e64 v47, v43, 0x100000
	v_add_nc_u32_e32 v43, v43, v164
	s_delay_alu instid0(VALU_DEP_4) | instskip(NEXT) | instid1(VALU_DEP_4)
	v_and_b32_e32 v41, v44, v41
	v_bfe_u32 v46, v45, 21, 1
	s_delay_alu instid0(VALU_DEP_2) | instskip(NEXT) | instid1(VALU_DEP_2)
	v_cmp_eq_u32_e64 s13, v41, v47
	v_add_nc_u32_e32 v44, -1, v46
	s_delay_alu instid0(VALU_DEP_1) | instskip(SKIP_2) | instid1(VALU_DEP_2)
	v_cndmask_b32_e64 v41, 0, v44, s13
	v_lshrrev_b32_e32 v44, 23, v45
	s_mov_b32 s13, exec_lo
	v_add_nc_u32_e32 v41, v41, v45
	s_delay_alu instid0(VALU_DEP_2) | instskip(NEXT) | instid1(VALU_DEP_2)
	v_xor_b32_e32 v44, 1, v44
	v_and_b32_e32 v164, 0x1fffff, v41
	s_delay_alu instid0(VALU_DEP_1) | instskip(NEXT) | instid1(VALU_DEP_3)
	v_add_nc_u32_e32 v41, v164, v45
                                        ; implicit-def: $vgpr164
	v_cmpx_ne_u32_e64 v43, v44
	s_xor_b32 s13, exec_lo, s13
; %bb.2677:                             ;   in Loop: Header=BB4_1985 Depth=4
	s_delay_alu instid0(VALU_DEP_2) | instskip(SKIP_2) | instid1(VALU_DEP_2)
	v_cmp_lt_u32_e32 vcc_lo, 0xffffff, v41
	v_sub_nc_u32_e32 v164, v43, v44
	v_cndmask_b32_e64 v43, 0, 1, vcc_lo
	v_add_co_ci_u32_e32 v164, vcc_lo, 0, v164, vcc_lo
	s_delay_alu instid0(VALU_DEP_2)
	v_lshrrev_b32_e32 v41, v43, v41
; %bb.2678:                             ;   in Loop: Header=BB4_1985 Depth=4
	s_and_not1_saveexec_b32 s13, s13
; %bb.2679:                             ;   in Loop: Header=BB4_1985 Depth=4
	s_delay_alu instid0(VALU_DEP_1)
	v_bfe_u32 v164, v41, 23, 1
; %bb.2680:                             ;   in Loop: Header=BB4_1985 Depth=4
	s_or_b32 exec_lo, exec_lo, s13
	v_lshrrev_b32_e32 v41, 21, v41
	s_delay_alu instid0(VALU_DEP_2) | instskip(SKIP_2) | instid1(VALU_DEP_4)
	v_cmp_gt_i32_e32 vcc_lo, 32, v164
	v_lshrrev_b32_e32 v181, 24, v181
	v_min_i32_e32 v43, 31, v164
	v_cndmask_b32_e32 v41, 3, v41, vcc_lo
	s_delay_alu instid0(VALU_DEP_3) | instskip(NEXT) | instid1(VALU_DEP_2)
	v_and_b32_e32 v181, 0x80, v181
	v_or_b32_e32 v164, v164, v41
	v_and_b32_e32 v44, 3, v41
	s_delay_alu instid0(VALU_DEP_2) | instskip(SKIP_1) | instid1(VALU_DEP_1)
	v_cmp_ne_u32_e32 vcc_lo, 0, v164
	v_lshlrev_b32_e32 v43, 2, v43
	v_or3_b32 v181, v43, v181, v44
	s_delay_alu instid0(VALU_DEP_1)
	v_cndmask_b32_e32 v164, 0, v181, vcc_lo
.LBB4_2681:                             ;   in Loop: Header=BB4_1985 Depth=4
	s_or_b32 exec_lo, exec_lo, s35
.LBB4_2682:                             ;   in Loop: Header=BB4_1985 Depth=4
	s_delay_alu instid0(SALU_CYCLE_1) | instskip(SKIP_3) | instid1(VALU_DEP_1)
	s_or_b32 exec_lo, exec_lo, s34
	v_and_b32_e32 v41, 0xff, v162
	s_mov_b32 s13, 0
	s_mov_b32 s35, exec_lo
                                        ; implicit-def: $sgpr34
	v_cmpx_lt_i16_e32 0x7f, v41
	s_xor_b32 s35, exec_lo, s35
	s_cbranch_execnz .LBB4_3168
; %bb.2683:                             ;   in Loop: Header=BB4_1985 Depth=4
	s_or_saveexec_b32 s35, s35
	v_mov_b32_e32 v181, s34
	s_xor_b32 exec_lo, exec_lo, s35
	s_cbranch_execnz .LBB4_3171
.LBB4_2684:                             ;   in Loop: Header=BB4_1985 Depth=4
	s_or_b32 exec_lo, exec_lo, s35
	s_and_saveexec_b32 s34, s13
	s_cbranch_execz .LBB4_2686
.LBB4_2685:                             ;   in Loop: Header=BB4_1985 Depth=4
	v_lshlrev_b32_e32 v162, 8, v162
	s_delay_alu instid0(VALU_DEP_1) | instskip(SKIP_1) | instid1(VALU_DEP_2)
	v_and_b32_e32 v181, 0xff00, v162
	v_bfe_u32 v162, v162, 10, 5
	v_bfe_u32 v43, v181, 8, 2
	s_delay_alu instid0(VALU_DEP_2) | instskip(NEXT) | instid1(VALU_DEP_2)
	v_cmp_eq_u32_e32 vcc_lo, 0, v162
	v_clz_i32_u32_e32 v44, v43
	s_delay_alu instid0(VALU_DEP_1) | instskip(NEXT) | instid1(VALU_DEP_1)
	v_min_u32_e32 v44, 32, v44
	v_subrev_nc_u32_e32 v45, 29, v44
	v_sub_nc_u32_e32 v44, 30, v44
	s_delay_alu instid0(VALU_DEP_1) | instskip(SKIP_1) | instid1(VALU_DEP_2)
	v_dual_cndmask_b32 v162, v162, v44 :: v_dual_lshlrev_b32 v41, v45, v41
	v_lshlrev_b32_e32 v181, 16, v181
	v_and_b32_e32 v41, 3, v41
	s_delay_alu instid0(VALU_DEP_3) | instskip(NEXT) | instid1(VALU_DEP_3)
	v_lshl_add_u32 v162, v162, 23, 0x37800000
	v_and_b32_e32 v181, 0x80000000, v181
	s_delay_alu instid0(VALU_DEP_3) | instskip(NEXT) | instid1(VALU_DEP_1)
	v_cndmask_b32_e32 v41, v43, v41, vcc_lo
	v_lshlrev_b32_e32 v41, 21, v41
	s_delay_alu instid0(VALU_DEP_1)
	v_or3_b32 v181, v181, v162, v41
.LBB4_2686:                             ;   in Loop: Header=BB4_1985 Depth=4
	s_or_b32 exec_lo, exec_lo, s34
	v_lshrrev_b32_e32 v162, 24, v8
	s_mov_b32 s13, 0
	s_mov_b32 s35, exec_lo
                                        ; implicit-def: $sgpr34
	s_delay_alu instid0(VALU_DEP_1)
	v_cmpx_lt_i16_e64 0x7f, v162
	s_xor_b32 s35, exec_lo, s35
	s_cbranch_execnz .LBB4_3172
; %bb.2687:                             ;   in Loop: Header=BB4_1985 Depth=4
	s_or_saveexec_b32 s35, s35
	v_mov_b32_e32 v41, s34
	s_xor_b32 exec_lo, exec_lo, s35
	s_cbranch_execnz .LBB4_3175
.LBB4_2688:                             ;   in Loop: Header=BB4_1985 Depth=4
	s_or_b32 exec_lo, exec_lo, s35
	s_and_saveexec_b32 s34, s13
	s_cbranch_execz .LBB4_2690
.LBB4_2689:                             ;   in Loop: Header=BB4_1985 Depth=4
	v_bfe_u32 v41, v8, 24, 2
	s_delay_alu instid0(VALU_DEP_1) | instskip(NEXT) | instid1(VALU_DEP_1)
	v_clz_i32_u32_e32 v43, v41
	v_min_u32_e32 v43, 32, v43
	s_delay_alu instid0(VALU_DEP_1) | instskip(SKIP_1) | instid1(VALU_DEP_2)
	v_subrev_nc_u32_e32 v44, 29, v43
	v_sub_nc_u32_e32 v43, 30, v43
	v_lshlrev_b32_e32 v162, v44, v162
	v_bfe_u32 v44, v8, 26, 5
	v_and_b32_e32 v8, 0x80000000, v8
	s_delay_alu instid0(VALU_DEP_2) | instskip(NEXT) | instid1(VALU_DEP_4)
	v_cmp_eq_u32_e32 vcc_lo, 0, v44
	v_dual_cndmask_b32 v43, v44, v43 :: v_dual_and_b32 v162, 3, v162
	s_delay_alu instid0(VALU_DEP_1) | instskip(NEXT) | instid1(VALU_DEP_2)
	v_cndmask_b32_e32 v162, v41, v162, vcc_lo
	v_lshl_add_u32 v41, v43, 23, 0x37800000
	s_delay_alu instid0(VALU_DEP_2) | instskip(NEXT) | instid1(VALU_DEP_1)
	v_lshlrev_b32_e32 v162, 21, v162
	v_or3_b32 v41, v8, v41, v162
.LBB4_2690:                             ;   in Loop: Header=BB4_1985 Depth=4
	s_or_b32 exec_lo, exec_lo, s34
	s_delay_alu instid0(VALU_DEP_1) | instskip(NEXT) | instid1(VALU_DEP_1)
	v_add_f32_e32 v162, v181, v41
	v_and_b32_e32 v8, 0x7f800000, v162
	s_delay_alu instid0(VALU_DEP_1)
	v_cmp_ne_u32_e32 vcc_lo, 0x7f800000, v8
	v_mov_b32_e32 v8, 0x80
	s_and_saveexec_b32 s34, vcc_lo
	s_cbranch_execz .LBB4_2698
; %bb.2691:                             ;   in Loop: Header=BB4_1985 Depth=4
	v_mov_b32_e32 v8, 0
	s_mov_b32 s35, exec_lo
	v_cmpx_ne_u32_e32 0, v162
	s_cbranch_execz .LBB4_2697
; %bb.2692:                             ;   in Loop: Header=BB4_1985 Depth=4
	v_bfe_u32 v8, v162, 23, 8
	v_and_b32_e32 v181, 0x7fffff, v162
	s_delay_alu instid0(VALU_DEP_2) | instskip(SKIP_1) | instid1(VALU_DEP_3)
	v_sub_nc_u32_e32 v41, 0x70, v8
	v_cmp_gt_u32_e32 vcc_lo, 0x71, v8
	v_or_b32_e32 v43, 0x800000, v181
	s_delay_alu instid0(VALU_DEP_3) | instskip(SKIP_2) | instid1(VALU_DEP_3)
	v_cndmask_b32_e32 v41, 0, v41, vcc_lo
	v_cmp_eq_u32_e32 vcc_lo, 0, v8
	v_add_nc_u32_e32 v8, 0xffffff91, v8
	v_cndmask_b32_e64 v41, v41, 0x6f, vcc_lo
	v_cndmask_b32_e32 v181, v43, v181, vcc_lo
	s_delay_alu instid0(VALU_DEP_3) | instskip(NEXT) | instid1(VALU_DEP_3)
	v_cndmask_b32_e64 v8, v8, 0xffffff92, vcc_lo
	v_lshl_add_u32 v43, 0x200000, v41, -1
	s_delay_alu instid0(VALU_DEP_3) | instskip(SKIP_1) | instid1(VALU_DEP_4)
	v_lshrrev_b32_e32 v44, v41, v181
	v_lshlrev_b32_e64 v46, v41, 0x100000
	v_add_nc_u32_e32 v41, v41, v8
	s_delay_alu instid0(VALU_DEP_4) | instskip(NEXT) | instid1(VALU_DEP_4)
	v_and_b32_e32 v181, v43, v181
	v_bfe_u32 v45, v44, 21, 1
	s_delay_alu instid0(VALU_DEP_2) | instskip(NEXT) | instid1(VALU_DEP_2)
	v_cmp_eq_u32_e64 s13, v181, v46
	v_add_nc_u32_e32 v43, -1, v45
	s_delay_alu instid0(VALU_DEP_1) | instskip(SKIP_2) | instid1(VALU_DEP_2)
	v_cndmask_b32_e64 v181, 0, v43, s13
	v_lshrrev_b32_e32 v43, 23, v44
	s_mov_b32 s13, exec_lo
	v_add_nc_u32_e32 v181, v181, v44
	s_delay_alu instid0(VALU_DEP_2) | instskip(NEXT) | instid1(VALU_DEP_2)
	v_xor_b32_e32 v43, 1, v43
	v_and_b32_e32 v8, 0x1fffff, v181
	s_delay_alu instid0(VALU_DEP_1) | instskip(NEXT) | instid1(VALU_DEP_3)
	v_add_nc_u32_e32 v181, v8, v44
                                        ; implicit-def: $vgpr8
	v_cmpx_ne_u32_e64 v41, v43
	s_xor_b32 s13, exec_lo, s13
; %bb.2693:                             ;   in Loop: Header=BB4_1985 Depth=4
	s_delay_alu instid0(VALU_DEP_2) | instskip(SKIP_2) | instid1(VALU_DEP_2)
	v_cmp_lt_u32_e32 vcc_lo, 0xffffff, v181
	v_sub_nc_u32_e32 v8, v41, v43
	v_cndmask_b32_e64 v41, 0, 1, vcc_lo
	v_add_co_ci_u32_e32 v8, vcc_lo, 0, v8, vcc_lo
	s_delay_alu instid0(VALU_DEP_2)
	v_lshrrev_b32_e32 v181, v41, v181
; %bb.2694:                             ;   in Loop: Header=BB4_1985 Depth=4
	s_and_not1_saveexec_b32 s13, s13
; %bb.2695:                             ;   in Loop: Header=BB4_1985 Depth=4
	s_delay_alu instid0(VALU_DEP_1)
	v_bfe_u32 v8, v181, 23, 1
; %bb.2696:                             ;   in Loop: Header=BB4_1985 Depth=4
	s_or_b32 exec_lo, exec_lo, s13
	v_lshrrev_b32_e32 v181, 21, v181
	s_delay_alu instid0(VALU_DEP_2) | instskip(SKIP_2) | instid1(VALU_DEP_2)
	v_cmp_gt_i32_e32 vcc_lo, 32, v8
	v_lshrrev_b32_e32 v162, 24, v162
	v_min_i32_e32 v41, 31, v8
	v_dual_cndmask_b32 v181, 3, v181 :: v_dual_and_b32 v162, 0x80, v162
	s_delay_alu instid0(VALU_DEP_2) | instskip(NEXT) | instid1(VALU_DEP_2)
	v_lshlrev_b32_e32 v41, 2, v41
	v_or_b32_e32 v8, v8, v181
	s_delay_alu instid0(VALU_DEP_1) | instskip(SKIP_1) | instid1(VALU_DEP_1)
	v_cmp_ne_u32_e32 vcc_lo, 0, v8
	v_and_b32_e32 v43, 3, v181
	v_or3_b32 v162, v41, v162, v43
	s_delay_alu instid0(VALU_DEP_1)
	v_cndmask_b32_e32 v8, 0, v162, vcc_lo
.LBB4_2697:                             ;   in Loop: Header=BB4_1985 Depth=4
	s_or_b32 exec_lo, exec_lo, s35
.LBB4_2698:                             ;   in Loop: Header=BB4_1985 Depth=4
	s_delay_alu instid0(SALU_CYCLE_1) | instskip(SKIP_3) | instid1(VALU_DEP_1)
	s_or_b32 exec_lo, exec_lo, s34
	v_or_b32_e32 v167, v167, v161
	s_mov_b32 s13, 0
	s_mov_b32 s35, exec_lo
                                        ; implicit-def: $sgpr34
	v_and_b32_e32 v162, 0xff, v167
	s_delay_alu instid0(VALU_DEP_1)
	v_cmpx_lt_i16_e64 0x7f, v162
	s_xor_b32 s35, exec_lo, s35
	s_cbranch_execnz .LBB4_3176
; %bb.2699:                             ;   in Loop: Header=BB4_1985 Depth=4
	s_or_saveexec_b32 s35, s35
	v_mov_b32_e32 v161, s34
	s_xor_b32 exec_lo, exec_lo, s35
	s_cbranch_execnz .LBB4_3179
.LBB4_2700:                             ;   in Loop: Header=BB4_1985 Depth=4
	s_or_b32 exec_lo, exec_lo, s35
	s_and_saveexec_b32 s34, s13
	s_cbranch_execz .LBB4_2702
.LBB4_2701:                             ;   in Loop: Header=BB4_1985 Depth=4
	v_bfe_u32 v41, v167, 2, 5
	v_lshlrev_b32_e32 v43, 24, v167
	s_delay_alu instid0(VALU_DEP_2) | instskip(SKIP_1) | instid1(VALU_DEP_1)
	v_cmp_eq_u32_e32 vcc_lo, 0, v41
	v_and_b32_e32 v161, 3, v167
	v_clz_i32_u32_e32 v162, v161
	s_delay_alu instid0(VALU_DEP_1) | instskip(NEXT) | instid1(VALU_DEP_1)
	v_min_u32_e32 v162, 32, v162
	v_subrev_nc_u32_e32 v181, 29, v162
	v_sub_nc_u32_e32 v162, 30, v162
	s_delay_alu instid0(VALU_DEP_2) | instskip(NEXT) | instid1(VALU_DEP_1)
	v_lshlrev_b32_e32 v181, v181, v167
	v_dual_cndmask_b32 v162, v41, v162 :: v_dual_and_b32 v181, 3, v181
	s_delay_alu instid0(VALU_DEP_1) | instskip(NEXT) | instid1(VALU_DEP_2)
	v_lshl_add_u32 v162, v162, 23, 0x37800000
	v_cndmask_b32_e32 v161, v161, v181, vcc_lo
	v_and_b32_e32 v181, 0x80000000, v43
	s_delay_alu instid0(VALU_DEP_2) | instskip(NEXT) | instid1(VALU_DEP_1)
	v_lshlrev_b32_e32 v161, 21, v161
	v_or3_b32 v161, v181, v162, v161
.LBB4_2702:                             ;   in Loop: Header=BB4_1985 Depth=4
	s_or_b32 exec_lo, exec_lo, s34
	v_and_b32_e32 v181, 0xff, v9
	s_mov_b32 s13, 0
	s_mov_b32 s35, exec_lo
                                        ; implicit-def: $sgpr34
	s_delay_alu instid0(VALU_DEP_1)
	v_cmpx_lt_i16_e64 0x7f, v181
	s_xor_b32 s35, exec_lo, s35
	s_cbranch_execnz .LBB4_3180
; %bb.2703:                             ;   in Loop: Header=BB4_1985 Depth=4
	s_or_saveexec_b32 s35, s35
	v_mov_b32_e32 v162, s34
	s_xor_b32 exec_lo, exec_lo, s35
	s_cbranch_execnz .LBB4_3183
.LBB4_2704:                             ;   in Loop: Header=BB4_1985 Depth=4
	s_or_b32 exec_lo, exec_lo, s35
	s_and_saveexec_b32 s34, s13
	s_cbranch_execz .LBB4_2706
.LBB4_2705:                             ;   in Loop: Header=BB4_1985 Depth=4
	v_and_b32_e32 v162, 3, v9
	v_bfe_u32 v43, v9, 2, 5
	v_lshlrev_b32_e32 v44, 24, v9
	s_delay_alu instid0(VALU_DEP_3) | instskip(NEXT) | instid1(VALU_DEP_3)
	v_clz_i32_u32_e32 v181, v162
	v_cmp_eq_u32_e32 vcc_lo, 0, v43
	s_delay_alu instid0(VALU_DEP_2) | instskip(NEXT) | instid1(VALU_DEP_1)
	v_min_u32_e32 v181, 32, v181
	v_subrev_nc_u32_e32 v41, 29, v181
	v_sub_nc_u32_e32 v181, 30, v181
	s_delay_alu instid0(VALU_DEP_2) | instskip(NEXT) | instid1(VALU_DEP_1)
	v_lshlrev_b32_e32 v41, v41, v9
	v_and_b32_e32 v41, 3, v41
	s_delay_alu instid0(VALU_DEP_1) | instskip(NEXT) | instid1(VALU_DEP_1)
	v_dual_cndmask_b32 v162, v162, v41 :: v_dual_and_b32 v41, 0x80000000, v44
	v_dual_cndmask_b32 v181, v43, v181 :: v_dual_lshlrev_b32 v162, 21, v162
	s_delay_alu instid0(VALU_DEP_1) | instskip(NEXT) | instid1(VALU_DEP_1)
	v_lshl_add_u32 v181, v181, 23, 0x37800000
	v_or3_b32 v162, v41, v181, v162
.LBB4_2706:                             ;   in Loop: Header=BB4_1985 Depth=4
	s_or_b32 exec_lo, exec_lo, s34
	s_delay_alu instid0(VALU_DEP_1) | instskip(NEXT) | instid1(VALU_DEP_1)
	v_add_f32_e32 v162, v161, v162
	v_and_b32_e32 v161, 0x7f800000, v162
	s_delay_alu instid0(VALU_DEP_1)
	v_cmp_ne_u32_e32 vcc_lo, 0x7f800000, v161
	v_mov_b32_e32 v161, 0x80
	s_and_saveexec_b32 s34, vcc_lo
	s_cbranch_execz .LBB4_2714
; %bb.2707:                             ;   in Loop: Header=BB4_1985 Depth=4
	v_mov_b32_e32 v161, 0
	s_mov_b32 s35, exec_lo
	v_cmpx_ne_u32_e32 0, v162
	s_cbranch_execz .LBB4_2713
; %bb.2708:                             ;   in Loop: Header=BB4_1985 Depth=4
	v_bfe_u32 v161, v162, 23, 8
	v_and_b32_e32 v181, 0x7fffff, v162
	s_delay_alu instid0(VALU_DEP_2) | instskip(SKIP_1) | instid1(VALU_DEP_3)
	v_sub_nc_u32_e32 v41, 0x70, v161
	v_cmp_gt_u32_e32 vcc_lo, 0x71, v161
	v_or_b32_e32 v43, 0x800000, v181
	s_delay_alu instid0(VALU_DEP_3) | instskip(SKIP_2) | instid1(VALU_DEP_3)
	v_cndmask_b32_e32 v41, 0, v41, vcc_lo
	v_cmp_eq_u32_e32 vcc_lo, 0, v161
	v_add_nc_u32_e32 v161, 0xffffff91, v161
	v_cndmask_b32_e64 v41, v41, 0x6f, vcc_lo
	v_cndmask_b32_e32 v181, v43, v181, vcc_lo
	s_delay_alu instid0(VALU_DEP_3) | instskip(NEXT) | instid1(VALU_DEP_3)
	v_cndmask_b32_e64 v161, v161, 0xffffff92, vcc_lo
	v_lshl_add_u32 v43, 0x200000, v41, -1
	s_delay_alu instid0(VALU_DEP_3) | instskip(SKIP_1) | instid1(VALU_DEP_4)
	v_lshrrev_b32_e32 v44, v41, v181
	v_lshlrev_b32_e64 v46, v41, 0x100000
	v_add_nc_u32_e32 v41, v41, v161
	s_delay_alu instid0(VALU_DEP_4) | instskip(NEXT) | instid1(VALU_DEP_4)
	v_and_b32_e32 v181, v43, v181
	v_bfe_u32 v45, v44, 21, 1
	s_delay_alu instid0(VALU_DEP_2) | instskip(NEXT) | instid1(VALU_DEP_2)
	v_cmp_eq_u32_e64 s13, v181, v46
	v_add_nc_u32_e32 v43, -1, v45
	s_delay_alu instid0(VALU_DEP_1) | instskip(SKIP_2) | instid1(VALU_DEP_2)
	v_cndmask_b32_e64 v181, 0, v43, s13
	v_lshrrev_b32_e32 v43, 23, v44
	s_mov_b32 s13, exec_lo
	v_add_nc_u32_e32 v181, v181, v44
	s_delay_alu instid0(VALU_DEP_2) | instskip(NEXT) | instid1(VALU_DEP_2)
	v_xor_b32_e32 v43, 1, v43
	v_and_b32_e32 v161, 0x1fffff, v181
	s_delay_alu instid0(VALU_DEP_1) | instskip(NEXT) | instid1(VALU_DEP_3)
	v_add_nc_u32_e32 v181, v161, v44
                                        ; implicit-def: $vgpr161
	v_cmpx_ne_u32_e64 v41, v43
	s_xor_b32 s13, exec_lo, s13
; %bb.2709:                             ;   in Loop: Header=BB4_1985 Depth=4
	s_delay_alu instid0(VALU_DEP_2) | instskip(SKIP_2) | instid1(VALU_DEP_2)
	v_cmp_lt_u32_e32 vcc_lo, 0xffffff, v181
	v_sub_nc_u32_e32 v161, v41, v43
	v_cndmask_b32_e64 v41, 0, 1, vcc_lo
	v_add_co_ci_u32_e32 v161, vcc_lo, 0, v161, vcc_lo
	s_delay_alu instid0(VALU_DEP_2)
	v_lshrrev_b32_e32 v181, v41, v181
; %bb.2710:                             ;   in Loop: Header=BB4_1985 Depth=4
	s_and_not1_saveexec_b32 s13, s13
; %bb.2711:                             ;   in Loop: Header=BB4_1985 Depth=4
	s_delay_alu instid0(VALU_DEP_1)
	v_bfe_u32 v161, v181, 23, 1
; %bb.2712:                             ;   in Loop: Header=BB4_1985 Depth=4
	s_or_b32 exec_lo, exec_lo, s13
	v_lshrrev_b32_e32 v181, 21, v181
	s_delay_alu instid0(VALU_DEP_2) | instskip(SKIP_2) | instid1(VALU_DEP_2)
	v_cmp_gt_i32_e32 vcc_lo, 32, v161
	v_lshrrev_b32_e32 v162, 24, v162
	v_min_i32_e32 v41, 31, v161
	v_dual_cndmask_b32 v181, 3, v181 :: v_dual_and_b32 v162, 0x80, v162
	s_delay_alu instid0(VALU_DEP_2) | instskip(NEXT) | instid1(VALU_DEP_2)
	v_lshlrev_b32_e32 v41, 2, v41
	v_and_b32_e32 v43, 3, v181
	v_or_b32_e32 v161, v161, v181
	s_delay_alu instid0(VALU_DEP_2) | instskip(NEXT) | instid1(VALU_DEP_2)
	v_or3_b32 v162, v41, v162, v43
	v_cmp_ne_u32_e32 vcc_lo, 0, v161
	s_delay_alu instid0(VALU_DEP_2)
	v_cndmask_b32_e32 v161, 0, v162, vcc_lo
.LBB4_2713:                             ;   in Loop: Header=BB4_1985 Depth=4
	s_or_b32 exec_lo, exec_lo, s35
.LBB4_2714:                             ;   in Loop: Header=BB4_1985 Depth=4
	s_delay_alu instid0(SALU_CYCLE_1) | instskip(SKIP_3) | instid1(VALU_DEP_1)
	s_or_b32 exec_lo, exec_lo, s34
	v_lshrrev_b16 v181, 8, v167
	s_mov_b32 s13, 0
	s_mov_b32 s35, exec_lo
                                        ; implicit-def: $sgpr34
	v_cmpx_lt_i16_e64 0x7f, v181
	s_xor_b32 s35, exec_lo, s35
	s_cbranch_execnz .LBB4_3184
; %bb.2715:                             ;   in Loop: Header=BB4_1985 Depth=4
	s_or_saveexec_b32 s35, s35
	v_mov_b32_e32 v162, s34
	s_xor_b32 exec_lo, exec_lo, s35
	s_cbranch_execnz .LBB4_3187
.LBB4_2716:                             ;   in Loop: Header=BB4_1985 Depth=4
	s_or_b32 exec_lo, exec_lo, s35
	s_and_saveexec_b32 s34, s13
	s_cbranch_execz .LBB4_2718
.LBB4_2717:                             ;   in Loop: Header=BB4_1985 Depth=4
	v_and_b32_e32 v162, 0xffff, v181
	v_lshlrev_b32_e32 v181, 24, v181
	s_delay_alu instid0(VALU_DEP_2) | instskip(NEXT) | instid1(VALU_DEP_2)
	v_and_b32_e32 v41, 3, v162
	v_and_b32_e32 v181, 0x80000000, v181
	s_delay_alu instid0(VALU_DEP_2) | instskip(NEXT) | instid1(VALU_DEP_1)
	v_clz_i32_u32_e32 v43, v41
	v_min_u32_e32 v43, 32, v43
	s_delay_alu instid0(VALU_DEP_1) | instskip(SKIP_1) | instid1(VALU_DEP_2)
	v_subrev_nc_u32_e32 v44, 29, v43
	v_sub_nc_u32_e32 v43, 30, v43
	v_lshlrev_b32_e32 v44, v44, v162
	v_bfe_u32 v162, v162, 2, 5
	s_delay_alu instid0(VALU_DEP_2) | instskip(NEXT) | instid1(VALU_DEP_2)
	v_and_b32_e32 v44, 3, v44
	v_cmp_eq_u32_e32 vcc_lo, 0, v162
	s_delay_alu instid0(VALU_DEP_2) | instskip(NEXT) | instid1(VALU_DEP_1)
	v_dual_cndmask_b32 v162, v162, v43 :: v_dual_cndmask_b32 v41, v41, v44
	v_lshl_add_u32 v162, v162, 23, 0x37800000
	s_delay_alu instid0(VALU_DEP_2) | instskip(NEXT) | instid1(VALU_DEP_1)
	v_lshlrev_b32_e32 v41, 21, v41
	v_or3_b32 v162, v181, v162, v41
.LBB4_2718:                             ;   in Loop: Header=BB4_1985 Depth=4
	s_or_b32 exec_lo, exec_lo, s34
	v_lshrrev_b16 v181, 8, v9
	s_mov_b32 s13, 0
	s_mov_b32 s35, exec_lo
                                        ; implicit-def: $sgpr34
	s_delay_alu instid0(VALU_DEP_1)
	v_cmpx_lt_i16_e64 0x7f, v181
	s_xor_b32 s35, exec_lo, s35
	s_cbranch_execnz .LBB4_3188
; %bb.2719:                             ;   in Loop: Header=BB4_1985 Depth=4
	s_or_saveexec_b32 s35, s35
	v_mov_b32_e32 v41, s34
	s_xor_b32 exec_lo, exec_lo, s35
	s_cbranch_execnz .LBB4_3191
.LBB4_2720:                             ;   in Loop: Header=BB4_1985 Depth=4
	s_or_b32 exec_lo, exec_lo, s35
	s_and_saveexec_b32 s34, s13
	s_cbranch_execz .LBB4_2722
.LBB4_2721:                             ;   in Loop: Header=BB4_1985 Depth=4
	v_and_b32_e32 v41, 0xffff, v181
	v_lshlrev_b32_e32 v181, 24, v181
	s_delay_alu instid0(VALU_DEP_2) | instskip(NEXT) | instid1(VALU_DEP_2)
	v_and_b32_e32 v43, 3, v41
	v_and_b32_e32 v181, 0x80000000, v181
	s_delay_alu instid0(VALU_DEP_2) | instskip(NEXT) | instid1(VALU_DEP_1)
	v_clz_i32_u32_e32 v44, v43
	v_min_u32_e32 v44, 32, v44
	s_delay_alu instid0(VALU_DEP_1) | instskip(SKIP_1) | instid1(VALU_DEP_2)
	v_subrev_nc_u32_e32 v45, 29, v44
	v_sub_nc_u32_e32 v44, 30, v44
	v_lshlrev_b32_e32 v45, v45, v41
	v_bfe_u32 v41, v41, 2, 5
	s_delay_alu instid0(VALU_DEP_2) | instskip(NEXT) | instid1(VALU_DEP_2)
	v_and_b32_e32 v45, 3, v45
	v_cmp_eq_u32_e32 vcc_lo, 0, v41
	v_cndmask_b32_e32 v41, v41, v44, vcc_lo
	s_delay_alu instid0(VALU_DEP_3) | instskip(NEXT) | instid1(VALU_DEP_2)
	v_cndmask_b32_e32 v43, v43, v45, vcc_lo
	v_lshl_add_u32 v41, v41, 23, 0x37800000
	s_delay_alu instid0(VALU_DEP_2) | instskip(NEXT) | instid1(VALU_DEP_1)
	v_lshlrev_b32_e32 v43, 21, v43
	v_or3_b32 v41, v181, v41, v43
.LBB4_2722:                             ;   in Loop: Header=BB4_1985 Depth=4
	s_or_b32 exec_lo, exec_lo, s34
	s_delay_alu instid0(VALU_DEP_1) | instskip(NEXT) | instid1(VALU_DEP_1)
	v_add_f32_e32 v181, v162, v41
	v_and_b32_e32 v162, 0x7f800000, v181
	s_delay_alu instid0(VALU_DEP_1)
	v_cmp_ne_u32_e32 vcc_lo, 0x7f800000, v162
	v_mov_b32_e32 v162, 0x8000
	s_and_saveexec_b32 s34, vcc_lo
	s_cbranch_execz .LBB4_2730
; %bb.2723:                             ;   in Loop: Header=BB4_1985 Depth=4
	v_mov_b32_e32 v162, 0
	s_mov_b32 s35, exec_lo
	v_cmpx_ne_u32_e32 0, v181
	s_cbranch_execz .LBB4_2729
; %bb.2724:                             ;   in Loop: Header=BB4_1985 Depth=4
	v_bfe_u32 v162, v181, 23, 8
	v_and_b32_e32 v41, 0x7fffff, v181
	s_delay_alu instid0(VALU_DEP_2) | instskip(SKIP_1) | instid1(VALU_DEP_3)
	v_sub_nc_u32_e32 v43, 0x70, v162
	v_cmp_gt_u32_e32 vcc_lo, 0x71, v162
	v_or_b32_e32 v44, 0x800000, v41
	s_delay_alu instid0(VALU_DEP_3) | instskip(SKIP_2) | instid1(VALU_DEP_3)
	v_cndmask_b32_e32 v43, 0, v43, vcc_lo
	v_cmp_eq_u32_e32 vcc_lo, 0, v162
	v_add_nc_u32_e32 v162, 0xffffff91, v162
	v_cndmask_b32_e64 v43, v43, 0x6f, vcc_lo
	v_cndmask_b32_e32 v41, v44, v41, vcc_lo
	s_delay_alu instid0(VALU_DEP_3) | instskip(NEXT) | instid1(VALU_DEP_3)
	v_cndmask_b32_e64 v162, v162, 0xffffff92, vcc_lo
	v_lshl_add_u32 v44, 0x200000, v43, -1
	s_delay_alu instid0(VALU_DEP_3) | instskip(SKIP_1) | instid1(VALU_DEP_4)
	v_lshrrev_b32_e32 v45, v43, v41
	v_lshlrev_b32_e64 v47, v43, 0x100000
	v_add_nc_u32_e32 v43, v43, v162
	s_delay_alu instid0(VALU_DEP_4) | instskip(NEXT) | instid1(VALU_DEP_4)
	v_and_b32_e32 v41, v44, v41
	v_bfe_u32 v46, v45, 21, 1
	s_delay_alu instid0(VALU_DEP_2) | instskip(NEXT) | instid1(VALU_DEP_2)
	v_cmp_eq_u32_e64 s13, v41, v47
	v_add_nc_u32_e32 v44, -1, v46
	s_delay_alu instid0(VALU_DEP_1) | instskip(SKIP_2) | instid1(VALU_DEP_2)
	v_cndmask_b32_e64 v41, 0, v44, s13
	v_lshrrev_b32_e32 v44, 23, v45
	s_mov_b32 s13, exec_lo
	v_add_nc_u32_e32 v41, v41, v45
	s_delay_alu instid0(VALU_DEP_2) | instskip(NEXT) | instid1(VALU_DEP_2)
	v_xor_b32_e32 v44, 1, v44
	v_and_b32_e32 v162, 0x1fffff, v41
	s_delay_alu instid0(VALU_DEP_1) | instskip(NEXT) | instid1(VALU_DEP_3)
	v_add_nc_u32_e32 v41, v162, v45
                                        ; implicit-def: $vgpr162
	v_cmpx_ne_u32_e64 v43, v44
	s_xor_b32 s13, exec_lo, s13
; %bb.2725:                             ;   in Loop: Header=BB4_1985 Depth=4
	s_delay_alu instid0(VALU_DEP_2) | instskip(SKIP_2) | instid1(VALU_DEP_2)
	v_cmp_lt_u32_e32 vcc_lo, 0xffffff, v41
	v_sub_nc_u32_e32 v162, v43, v44
	v_cndmask_b32_e64 v43, 0, 1, vcc_lo
	v_add_co_ci_u32_e32 v162, vcc_lo, 0, v162, vcc_lo
	s_delay_alu instid0(VALU_DEP_2)
	v_lshrrev_b32_e32 v41, v43, v41
; %bb.2726:                             ;   in Loop: Header=BB4_1985 Depth=4
	s_and_not1_saveexec_b32 s13, s13
; %bb.2727:                             ;   in Loop: Header=BB4_1985 Depth=4
	s_delay_alu instid0(VALU_DEP_1)
	v_bfe_u32 v162, v41, 23, 1
; %bb.2728:                             ;   in Loop: Header=BB4_1985 Depth=4
	s_or_b32 exec_lo, exec_lo, s13
	v_lshrrev_b32_e32 v41, 21, v41
	s_delay_alu instid0(VALU_DEP_2) | instskip(SKIP_2) | instid1(VALU_DEP_4)
	v_cmp_gt_i32_e32 vcc_lo, 32, v162
	v_min_i32_e32 v43, 31, v162
	v_lshrrev_b32_e32 v181, 24, v181
	v_cndmask_b32_e32 v41, 3, v41, vcc_lo
	s_delay_alu instid0(VALU_DEP_2) | instskip(NEXT) | instid1(VALU_DEP_2)
	v_and_b32_e32 v181, 0x80, v181
	v_or_b32_e32 v162, v162, v41
	v_and_b32_e32 v44, 3, v41
	s_delay_alu instid0(VALU_DEP_2) | instskip(SKIP_1) | instid1(VALU_DEP_1)
	v_cmp_ne_u32_e32 vcc_lo, 0, v162
	v_lshlrev_b32_e32 v43, 2, v43
	v_and_b32_e32 v43, 0xfc, v43
	s_delay_alu instid0(VALU_DEP_1) | instskip(NEXT) | instid1(VALU_DEP_1)
	v_or3_b32 v181, v181, v43, v44
	v_lshlrev_b32_e32 v181, 8, v181
	s_delay_alu instid0(VALU_DEP_1)
	v_cndmask_b32_e32 v162, 0, v181, vcc_lo
.LBB4_2729:                             ;   in Loop: Header=BB4_1985 Depth=4
	s_or_b32 exec_lo, exec_lo, s35
.LBB4_2730:                             ;   in Loop: Header=BB4_1985 Depth=4
	s_delay_alu instid0(SALU_CYCLE_1) | instskip(SKIP_3) | instid1(VALU_DEP_1)
	s_or_b32 exec_lo, exec_lo, s34
	v_or_b32_e32 v163, v163, v160
	s_mov_b32 s13, 0
	s_mov_b32 s35, exec_lo
                                        ; implicit-def: $sgpr34
	v_and_b32_e32 v181, 0xff, v163
	s_delay_alu instid0(VALU_DEP_1)
	v_cmpx_lt_i16_e64 0x7f, v181
	s_xor_b32 s35, exec_lo, s35
	s_cbranch_execnz .LBB4_3192
; %bb.2731:                             ;   in Loop: Header=BB4_1985 Depth=4
	s_or_saveexec_b32 s35, s35
	v_mov_b32_e32 v160, s34
	s_xor_b32 exec_lo, exec_lo, s35
	s_cbranch_execnz .LBB4_3195
.LBB4_2732:                             ;   in Loop: Header=BB4_1985 Depth=4
	s_or_b32 exec_lo, exec_lo, s35
	v_lshl_or_b32 v163, v163, 16, v167
	s_and_saveexec_b32 s34, s13
	s_cbranch_execz .LBB4_2734
.LBB4_2733:                             ;   in Loop: Header=BB4_1985 Depth=4
	s_delay_alu instid0(VALU_DEP_1) | instskip(SKIP_1) | instid1(VALU_DEP_2)
	v_bfe_u32 v160, v163, 16, 2
	v_lshrrev_b32_e32 v181, 16, v163
	v_clz_i32_u32_e32 v167, v160
	s_delay_alu instid0(VALU_DEP_1) | instskip(NEXT) | instid1(VALU_DEP_1)
	v_min_u32_e32 v167, 32, v167
	v_subrev_nc_u32_e32 v41, 29, v167
	v_sub_nc_u32_e32 v167, 30, v167
	s_delay_alu instid0(VALU_DEP_2) | instskip(SKIP_1) | instid1(VALU_DEP_2)
	v_lshlrev_b32_e32 v181, v41, v181
	v_bfe_u32 v41, v163, 18, 5
	v_and_b32_e32 v181, 3, v181
	s_delay_alu instid0(VALU_DEP_2) | instskip(NEXT) | instid1(VALU_DEP_2)
	v_cmp_eq_u32_e32 vcc_lo, 0, v41
	v_dual_cndmask_b32 v160, v160, v181 :: v_dual_lshlrev_b32 v43, 8, v163
	v_cndmask_b32_e32 v167, v41, v167, vcc_lo
	s_delay_alu instid0(VALU_DEP_2) | instskip(NEXT) | instid1(VALU_DEP_3)
	v_and_b32_e32 v181, 0x80000000, v43
	v_lshlrev_b32_e32 v160, 21, v160
	s_delay_alu instid0(VALU_DEP_3) | instskip(NEXT) | instid1(VALU_DEP_1)
	v_lshl_add_u32 v167, v167, 23, 0x37800000
	v_or3_b32 v160, v181, v167, v160
.LBB4_2734:                             ;   in Loop: Header=BB4_1985 Depth=4
	s_or_b32 exec_lo, exec_lo, s34
	v_lshrrev_b32_e32 v167, 16, v9
	s_mov_b32 s13, 0
	s_mov_b32 s35, exec_lo
                                        ; implicit-def: $sgpr34
	s_delay_alu instid0(VALU_DEP_1) | instskip(NEXT) | instid1(VALU_DEP_1)
	v_and_b32_e32 v41, 0xff, v167
	v_cmpx_lt_i16_e32 0x7f, v41
	s_xor_b32 s35, exec_lo, s35
	s_cbranch_execnz .LBB4_3196
; %bb.2735:                             ;   in Loop: Header=BB4_1985 Depth=4
	s_or_saveexec_b32 s35, s35
	v_mov_b32_e32 v181, s34
	s_xor_b32 exec_lo, exec_lo, s35
	s_cbranch_execnz .LBB4_3199
.LBB4_2736:                             ;   in Loop: Header=BB4_1985 Depth=4
	s_or_b32 exec_lo, exec_lo, s35
	s_and_saveexec_b32 s34, s13
	s_cbranch_execz .LBB4_2738
.LBB4_2737:                             ;   in Loop: Header=BB4_1985 Depth=4
	v_bfe_u32 v181, v9, 16, 2
	s_delay_alu instid0(VALU_DEP_1) | instskip(NEXT) | instid1(VALU_DEP_1)
	v_clz_i32_u32_e32 v41, v181
	v_min_u32_e32 v41, 32, v41
	s_delay_alu instid0(VALU_DEP_1) | instskip(SKIP_1) | instid1(VALU_DEP_2)
	v_subrev_nc_u32_e32 v43, 29, v41
	v_sub_nc_u32_e32 v41, 30, v41
	v_lshlrev_b32_e32 v167, v43, v167
	v_bfe_u32 v43, v9, 18, 5
	s_delay_alu instid0(VALU_DEP_2) | instskip(NEXT) | instid1(VALU_DEP_2)
	v_and_b32_e32 v167, 3, v167
	v_cmp_eq_u32_e32 vcc_lo, 0, v43
	s_delay_alu instid0(VALU_DEP_2) | instskip(SKIP_1) | instid1(VALU_DEP_2)
	v_dual_cndmask_b32 v167, v181, v167 :: v_dual_lshlrev_b32 v44, 8, v9
	v_cndmask_b32_e32 v41, v43, v41, vcc_lo
	v_and_b32_e32 v181, 0x80000000, v44
	s_delay_alu instid0(VALU_DEP_3) | instskip(NEXT) | instid1(VALU_DEP_3)
	v_lshlrev_b32_e32 v167, 21, v167
	v_lshl_add_u32 v41, v41, 23, 0x37800000
	s_delay_alu instid0(VALU_DEP_1)
	v_or3_b32 v181, v181, v41, v167
.LBB4_2738:                             ;   in Loop: Header=BB4_1985 Depth=4
	s_or_b32 exec_lo, exec_lo, s34
	s_delay_alu instid0(VALU_DEP_1) | instskip(NEXT) | instid1(VALU_DEP_1)
	v_add_f32_e32 v167, v160, v181
	v_and_b32_e32 v160, 0x7f800000, v167
	s_delay_alu instid0(VALU_DEP_1)
	v_cmp_ne_u32_e32 vcc_lo, 0x7f800000, v160
	v_mov_b32_e32 v160, 0x80
	s_and_saveexec_b32 s34, vcc_lo
	s_cbranch_execz .LBB4_2746
; %bb.2739:                             ;   in Loop: Header=BB4_1985 Depth=4
	v_mov_b32_e32 v160, 0
	s_mov_b32 s35, exec_lo
	v_cmpx_ne_u32_e32 0, v167
	s_cbranch_execz .LBB4_2745
; %bb.2740:                             ;   in Loop: Header=BB4_1985 Depth=4
	v_bfe_u32 v160, v167, 23, 8
	v_and_b32_e32 v181, 0x7fffff, v167
	s_delay_alu instid0(VALU_DEP_2) | instskip(SKIP_1) | instid1(VALU_DEP_3)
	v_sub_nc_u32_e32 v41, 0x70, v160
	v_cmp_gt_u32_e32 vcc_lo, 0x71, v160
	v_or_b32_e32 v43, 0x800000, v181
	s_delay_alu instid0(VALU_DEP_3) | instskip(SKIP_2) | instid1(VALU_DEP_3)
	v_cndmask_b32_e32 v41, 0, v41, vcc_lo
	v_cmp_eq_u32_e32 vcc_lo, 0, v160
	v_add_nc_u32_e32 v160, 0xffffff91, v160
	v_cndmask_b32_e64 v41, v41, 0x6f, vcc_lo
	v_cndmask_b32_e32 v181, v43, v181, vcc_lo
	s_delay_alu instid0(VALU_DEP_3) | instskip(NEXT) | instid1(VALU_DEP_3)
	v_cndmask_b32_e64 v160, v160, 0xffffff92, vcc_lo
	v_lshl_add_u32 v43, 0x200000, v41, -1
	s_delay_alu instid0(VALU_DEP_3) | instskip(SKIP_1) | instid1(VALU_DEP_4)
	v_lshrrev_b32_e32 v44, v41, v181
	v_lshlrev_b32_e64 v46, v41, 0x100000
	v_add_nc_u32_e32 v41, v41, v160
	s_delay_alu instid0(VALU_DEP_4) | instskip(NEXT) | instid1(VALU_DEP_4)
	v_and_b32_e32 v181, v43, v181
	v_bfe_u32 v45, v44, 21, 1
	s_delay_alu instid0(VALU_DEP_2) | instskip(NEXT) | instid1(VALU_DEP_2)
	v_cmp_eq_u32_e64 s13, v181, v46
	v_add_nc_u32_e32 v43, -1, v45
	s_delay_alu instid0(VALU_DEP_1) | instskip(SKIP_2) | instid1(VALU_DEP_2)
	v_cndmask_b32_e64 v181, 0, v43, s13
	v_lshrrev_b32_e32 v43, 23, v44
	s_mov_b32 s13, exec_lo
	v_add_nc_u32_e32 v181, v181, v44
	s_delay_alu instid0(VALU_DEP_2) | instskip(NEXT) | instid1(VALU_DEP_2)
	v_xor_b32_e32 v43, 1, v43
	v_and_b32_e32 v160, 0x1fffff, v181
	s_delay_alu instid0(VALU_DEP_1) | instskip(NEXT) | instid1(VALU_DEP_3)
	v_add_nc_u32_e32 v181, v160, v44
                                        ; implicit-def: $vgpr160
	v_cmpx_ne_u32_e64 v41, v43
	s_xor_b32 s13, exec_lo, s13
; %bb.2741:                             ;   in Loop: Header=BB4_1985 Depth=4
	s_delay_alu instid0(VALU_DEP_2) | instskip(SKIP_2) | instid1(VALU_DEP_2)
	v_cmp_lt_u32_e32 vcc_lo, 0xffffff, v181
	v_sub_nc_u32_e32 v160, v41, v43
	v_cndmask_b32_e64 v41, 0, 1, vcc_lo
	v_add_co_ci_u32_e32 v160, vcc_lo, 0, v160, vcc_lo
	s_delay_alu instid0(VALU_DEP_2)
	v_lshrrev_b32_e32 v181, v41, v181
; %bb.2742:                             ;   in Loop: Header=BB4_1985 Depth=4
	s_and_not1_saveexec_b32 s13, s13
; %bb.2743:                             ;   in Loop: Header=BB4_1985 Depth=4
	s_delay_alu instid0(VALU_DEP_1)
	v_bfe_u32 v160, v181, 23, 1
; %bb.2744:                             ;   in Loop: Header=BB4_1985 Depth=4
	s_or_b32 exec_lo, exec_lo, s13
	v_lshrrev_b32_e32 v181, 21, v181
	s_delay_alu instid0(VALU_DEP_2) | instskip(SKIP_2) | instid1(VALU_DEP_3)
	v_min_i32_e32 v41, 31, v160
	v_cmp_gt_i32_e32 vcc_lo, 32, v160
	v_lshrrev_b32_e32 v167, 24, v167
	v_lshlrev_b32_e32 v41, 2, v41
	v_cndmask_b32_e32 v181, 3, v181, vcc_lo
	s_delay_alu instid0(VALU_DEP_3) | instskip(NEXT) | instid1(VALU_DEP_3)
	v_and_b32_e32 v167, 0x80, v167
	v_and_b32_e32 v41, 0xfc, v41
	s_delay_alu instid0(VALU_DEP_3) | instskip(SKIP_1) | instid1(VALU_DEP_2)
	v_and_b32_e32 v43, 3, v181
	v_or_b32_e32 v160, v160, v181
	v_or3_b32 v167, v41, v167, v43
	s_delay_alu instid0(VALU_DEP_2) | instskip(NEXT) | instid1(VALU_DEP_2)
	v_cmp_ne_u32_e32 vcc_lo, 0, v160
	v_cndmask_b32_e32 v160, 0, v167, vcc_lo
.LBB4_2745:                             ;   in Loop: Header=BB4_1985 Depth=4
	s_or_b32 exec_lo, exec_lo, s35
.LBB4_2746:                             ;   in Loop: Header=BB4_1985 Depth=4
	s_delay_alu instid0(SALU_CYCLE_1) | instskip(SKIP_3) | instid1(VALU_DEP_1)
	s_or_b32 exec_lo, exec_lo, s34
	v_lshrrev_b32_e32 v181, 24, v163
	s_mov_b32 s13, 0
	s_mov_b32 s35, exec_lo
                                        ; implicit-def: $sgpr34
	v_cmpx_lt_i16_e64 0x7f, v181
	s_xor_b32 s35, exec_lo, s35
	s_cbranch_execnz .LBB4_3200
; %bb.2747:                             ;   in Loop: Header=BB4_1985 Depth=4
	s_or_saveexec_b32 s35, s35
	v_mov_b32_e32 v167, s34
	s_xor_b32 exec_lo, exec_lo, s35
	s_cbranch_execnz .LBB4_3203
.LBB4_2748:                             ;   in Loop: Header=BB4_1985 Depth=4
	s_or_b32 exec_lo, exec_lo, s35
	s_and_saveexec_b32 s34, s13
	s_cbranch_execz .LBB4_2750
.LBB4_2749:                             ;   in Loop: Header=BB4_1985 Depth=4
	v_bfe_u32 v167, v163, 24, 2
	s_delay_alu instid0(VALU_DEP_1) | instskip(NEXT) | instid1(VALU_DEP_1)
	v_clz_i32_u32_e32 v41, v167
	v_min_u32_e32 v41, 32, v41
	s_delay_alu instid0(VALU_DEP_1) | instskip(SKIP_1) | instid1(VALU_DEP_2)
	v_subrev_nc_u32_e32 v43, 29, v41
	v_sub_nc_u32_e32 v41, 30, v41
	v_lshlrev_b32_e32 v181, v43, v181
	v_bfe_u32 v43, v163, 26, 5
	v_and_b32_e32 v163, 0x80000000, v163
	s_delay_alu instid0(VALU_DEP_3) | instskip(NEXT) | instid1(VALU_DEP_3)
	v_and_b32_e32 v181, 3, v181
	v_cmp_eq_u32_e32 vcc_lo, 0, v43
	v_cndmask_b32_e32 v41, v43, v41, vcc_lo
	s_delay_alu instid0(VALU_DEP_3) | instskip(NEXT) | instid1(VALU_DEP_2)
	v_cndmask_b32_e32 v167, v167, v181, vcc_lo
	v_lshl_add_u32 v181, v41, 23, 0x37800000
	s_delay_alu instid0(VALU_DEP_2) | instskip(NEXT) | instid1(VALU_DEP_1)
	v_lshlrev_b32_e32 v167, 21, v167
	v_or3_b32 v167, v163, v181, v167
.LBB4_2750:                             ;   in Loop: Header=BB4_1985 Depth=4
	s_or_b32 exec_lo, exec_lo, s34
	v_lshrrev_b32_e32 v163, 24, v9
	s_mov_b32 s13, 0
	s_mov_b32 s35, exec_lo
                                        ; implicit-def: $sgpr34
	s_delay_alu instid0(VALU_DEP_1)
	v_cmpx_lt_i16_e64 0x7f, v163
	s_xor_b32 s35, exec_lo, s35
	s_cbranch_execnz .LBB4_3204
; %bb.2751:                             ;   in Loop: Header=BB4_1985 Depth=4
	s_or_saveexec_b32 s35, s35
	v_mov_b32_e32 v181, s34
	s_xor_b32 exec_lo, exec_lo, s35
	s_cbranch_execnz .LBB4_3207
.LBB4_2752:                             ;   in Loop: Header=BB4_1985 Depth=4
	s_or_b32 exec_lo, exec_lo, s35
	s_and_saveexec_b32 s34, s13
	s_cbranch_execz .LBB4_2754
.LBB4_2753:                             ;   in Loop: Header=BB4_1985 Depth=4
	v_bfe_u32 v181, v9, 24, 2
	s_delay_alu instid0(VALU_DEP_1) | instskip(NEXT) | instid1(VALU_DEP_1)
	v_clz_i32_u32_e32 v41, v181
	v_min_u32_e32 v41, 32, v41
	s_delay_alu instid0(VALU_DEP_1) | instskip(SKIP_1) | instid1(VALU_DEP_2)
	v_subrev_nc_u32_e32 v43, 29, v41
	v_sub_nc_u32_e32 v41, 30, v41
	v_lshlrev_b32_e32 v163, v43, v163
	v_bfe_u32 v43, v9, 26, 5
	v_and_b32_e32 v9, 0x80000000, v9
	s_delay_alu instid0(VALU_DEP_3) | instskip(NEXT) | instid1(VALU_DEP_3)
	v_and_b32_e32 v163, 3, v163
	v_cmp_eq_u32_e32 vcc_lo, 0, v43
	v_cndmask_b32_e32 v41, v43, v41, vcc_lo
	s_delay_alu instid0(VALU_DEP_3) | instskip(NEXT) | instid1(VALU_DEP_2)
	v_cndmask_b32_e32 v163, v181, v163, vcc_lo
	v_lshl_add_u32 v181, v41, 23, 0x37800000
	s_delay_alu instid0(VALU_DEP_2) | instskip(NEXT) | instid1(VALU_DEP_1)
	v_lshlrev_b32_e32 v163, 21, v163
	v_or3_b32 v181, v9, v181, v163
.LBB4_2754:                             ;   in Loop: Header=BB4_1985 Depth=4
	s_or_b32 exec_lo, exec_lo, s34
	s_delay_alu instid0(VALU_DEP_1) | instskip(NEXT) | instid1(VALU_DEP_1)
	v_add_f32_e32 v163, v167, v181
	v_and_b32_e32 v9, 0x7f800000, v163
	s_delay_alu instid0(VALU_DEP_1)
	v_cmp_ne_u32_e32 vcc_lo, 0x7f800000, v9
	v_mov_b32_e32 v9, 0x8000
	s_and_saveexec_b32 s34, vcc_lo
	s_cbranch_execz .LBB4_2762
; %bb.2755:                             ;   in Loop: Header=BB4_1985 Depth=4
	v_mov_b32_e32 v9, 0
	s_mov_b32 s35, exec_lo
	v_cmpx_ne_u32_e32 0, v163
	s_cbranch_execz .LBB4_2761
; %bb.2756:                             ;   in Loop: Header=BB4_1985 Depth=4
	v_bfe_u32 v9, v163, 23, 8
	v_and_b32_e32 v167, 0x7fffff, v163
	s_delay_alu instid0(VALU_DEP_2) | instskip(SKIP_1) | instid1(VALU_DEP_3)
	v_sub_nc_u32_e32 v181, 0x70, v9
	v_cmp_gt_u32_e32 vcc_lo, 0x71, v9
	v_or_b32_e32 v41, 0x800000, v167
	s_delay_alu instid0(VALU_DEP_3) | instskip(SKIP_2) | instid1(VALU_DEP_3)
	v_cndmask_b32_e32 v181, 0, v181, vcc_lo
	v_cmp_eq_u32_e32 vcc_lo, 0, v9
	v_add_nc_u32_e32 v9, 0xffffff91, v9
	v_cndmask_b32_e64 v181, v181, 0x6f, vcc_lo
	v_cndmask_b32_e32 v167, v41, v167, vcc_lo
	s_delay_alu instid0(VALU_DEP_3) | instskip(NEXT) | instid1(VALU_DEP_3)
	v_cndmask_b32_e64 v9, v9, 0xffffff92, vcc_lo
	v_lshl_add_u32 v41, 0x200000, v181, -1
	s_delay_alu instid0(VALU_DEP_3) | instskip(SKIP_1) | instid1(VALU_DEP_4)
	v_lshrrev_b32_e32 v43, v181, v167
	v_lshlrev_b32_e64 v45, v181, 0x100000
	v_add_nc_u32_e32 v181, v181, v9
	s_delay_alu instid0(VALU_DEP_4) | instskip(NEXT) | instid1(VALU_DEP_4)
	v_and_b32_e32 v167, v41, v167
	v_bfe_u32 v44, v43, 21, 1
	s_delay_alu instid0(VALU_DEP_2) | instskip(NEXT) | instid1(VALU_DEP_2)
	v_cmp_eq_u32_e64 s13, v167, v45
	v_add_nc_u32_e32 v41, -1, v44
	s_delay_alu instid0(VALU_DEP_1) | instskip(SKIP_2) | instid1(VALU_DEP_2)
	v_cndmask_b32_e64 v167, 0, v41, s13
	v_lshrrev_b32_e32 v41, 23, v43
	s_mov_b32 s13, exec_lo
	v_add_nc_u32_e32 v167, v167, v43
	s_delay_alu instid0(VALU_DEP_2) | instskip(NEXT) | instid1(VALU_DEP_2)
	v_xor_b32_e32 v41, 1, v41
	v_and_b32_e32 v9, 0x1fffff, v167
	s_delay_alu instid0(VALU_DEP_1) | instskip(NEXT) | instid1(VALU_DEP_3)
	v_add_nc_u32_e32 v167, v9, v43
                                        ; implicit-def: $vgpr9
	v_cmpx_ne_u32_e64 v181, v41
	s_xor_b32 s13, exec_lo, s13
; %bb.2757:                             ;   in Loop: Header=BB4_1985 Depth=4
	s_delay_alu instid0(VALU_DEP_2) | instskip(SKIP_2) | instid1(VALU_DEP_2)
	v_cmp_lt_u32_e32 vcc_lo, 0xffffff, v167
	v_sub_nc_u32_e32 v9, v181, v41
	v_cndmask_b32_e64 v181, 0, 1, vcc_lo
	v_add_co_ci_u32_e32 v9, vcc_lo, 0, v9, vcc_lo
	s_delay_alu instid0(VALU_DEP_2)
	v_lshrrev_b32_e32 v167, v181, v167
; %bb.2758:                             ;   in Loop: Header=BB4_1985 Depth=4
	s_and_not1_saveexec_b32 s13, s13
; %bb.2759:                             ;   in Loop: Header=BB4_1985 Depth=4
	s_delay_alu instid0(VALU_DEP_1)
	v_bfe_u32 v9, v167, 23, 1
; %bb.2760:                             ;   in Loop: Header=BB4_1985 Depth=4
	s_or_b32 exec_lo, exec_lo, s13
	v_lshrrev_b32_e32 v167, 21, v167
	s_delay_alu instid0(VALU_DEP_2) | instskip(SKIP_2) | instid1(VALU_DEP_3)
	v_min_i32_e32 v181, 31, v9
	v_cmp_gt_i32_e32 vcc_lo, 32, v9
	v_lshrrev_b32_e32 v163, 24, v163
	v_lshlrev_b32_e32 v181, 2, v181
	v_cndmask_b32_e32 v167, 3, v167, vcc_lo
	s_delay_alu instid0(VALU_DEP_3) | instskip(NEXT) | instid1(VALU_DEP_3)
	v_and_b32_e32 v163, 0x80, v163
	v_and_b32_e32 v181, 0xfc, v181
	s_delay_alu instid0(VALU_DEP_3) | instskip(SKIP_1) | instid1(VALU_DEP_2)
	v_and_b32_e32 v41, 3, v167
	v_or_b32_e32 v9, v9, v167
	v_or3_b32 v163, v163, v181, v41
	s_delay_alu instid0(VALU_DEP_2) | instskip(NEXT) | instid1(VALU_DEP_2)
	v_cmp_ne_u32_e32 vcc_lo, 0, v9
	v_lshlrev_b32_e32 v163, 8, v163
	s_delay_alu instid0(VALU_DEP_1)
	v_cndmask_b32_e32 v9, 0, v163, vcc_lo
.LBB4_2761:                             ;   in Loop: Header=BB4_1985 Depth=4
	s_or_b32 exec_lo, exec_lo, s35
.LBB4_2762:                             ;   in Loop: Header=BB4_1985 Depth=4
	s_delay_alu instid0(SALU_CYCLE_1) | instskip(SKIP_3) | instid1(VALU_DEP_1)
	s_or_b32 exec_lo, exec_lo, s34
	v_and_b32_e32 v167, 0xff, v150
	s_mov_b32 s13, 0
	s_mov_b32 s35, exec_lo
                                        ; implicit-def: $sgpr34
	v_cmpx_lt_i16_e64 0x7f, v167
	s_xor_b32 s35, exec_lo, s35
	s_cbranch_execnz .LBB4_3208
; %bb.2763:                             ;   in Loop: Header=BB4_1985 Depth=4
	s_or_saveexec_b32 s35, s35
	v_mov_b32_e32 v163, s34
	s_xor_b32 exec_lo, exec_lo, s35
	s_cbranch_execnz .LBB4_3211
.LBB4_2764:                             ;   in Loop: Header=BB4_1985 Depth=4
	s_or_b32 exec_lo, exec_lo, s35
	s_and_saveexec_b32 s34, s13
	s_cbranch_execz .LBB4_2766
.LBB4_2765:                             ;   in Loop: Header=BB4_1985 Depth=4
	v_and_b32_e32 v163, 3, v150
	v_bfe_u32 v41, v150, 2, 5
	s_delay_alu instid0(VALU_DEP_2) | instskip(NEXT) | instid1(VALU_DEP_2)
	v_clz_i32_u32_e32 v167, v163
	v_cmp_eq_u32_e32 vcc_lo, 0, v41
	s_delay_alu instid0(VALU_DEP_2) | instskip(NEXT) | instid1(VALU_DEP_1)
	v_min_u32_e32 v167, 32, v167
	v_subrev_nc_u32_e32 v181, 29, v167
	v_sub_nc_u32_e32 v167, 30, v167
	s_delay_alu instid0(VALU_DEP_2) | instskip(NEXT) | instid1(VALU_DEP_2)
	v_lshlrev_b32_e32 v181, v181, v150
	v_dual_cndmask_b32 v167, v41, v167 :: v_dual_lshlrev_b32 v150, 24, v150
	s_delay_alu instid0(VALU_DEP_2) | instskip(NEXT) | instid1(VALU_DEP_2)
	v_and_b32_e32 v181, 3, v181
	v_and_b32_e32 v150, 0x80000000, v150
	s_delay_alu instid0(VALU_DEP_3) | instskip(NEXT) | instid1(VALU_DEP_3)
	v_lshl_add_u32 v167, v167, 23, 0x37800000
	v_cndmask_b32_e32 v163, v163, v181, vcc_lo
	s_delay_alu instid0(VALU_DEP_1) | instskip(NEXT) | instid1(VALU_DEP_1)
	v_lshlrev_b32_e32 v163, 21, v163
	v_or3_b32 v163, v150, v167, v163
.LBB4_2766:                             ;   in Loop: Header=BB4_1985 Depth=4
	s_or_b32 exec_lo, exec_lo, s34
	v_and_b32_e32 v167, 0xff, v10
	s_mov_b32 s13, 0
	s_mov_b32 s35, exec_lo
                                        ; implicit-def: $sgpr34
	s_delay_alu instid0(VALU_DEP_1)
	v_cmpx_lt_i16_e64 0x7f, v167
	s_xor_b32 s35, exec_lo, s35
	s_cbranch_execnz .LBB4_3212
; %bb.2767:                             ;   in Loop: Header=BB4_1985 Depth=4
	s_or_saveexec_b32 s35, s35
	v_mov_b32_e32 v150, s34
	s_xor_b32 exec_lo, exec_lo, s35
	s_cbranch_execnz .LBB4_3215
.LBB4_2768:                             ;   in Loop: Header=BB4_1985 Depth=4
	s_or_b32 exec_lo, exec_lo, s35
	s_and_saveexec_b32 s34, s13
	s_cbranch_execz .LBB4_2770
.LBB4_2769:                             ;   in Loop: Header=BB4_1985 Depth=4
	v_bfe_u32 v41, v10, 2, 5
	s_delay_alu instid0(VALU_DEP_1) | instskip(SKIP_1) | instid1(VALU_DEP_1)
	v_cmp_eq_u32_e32 vcc_lo, 0, v41
	v_and_b32_e32 v150, 3, v10
	v_clz_i32_u32_e32 v167, v150
	s_delay_alu instid0(VALU_DEP_1) | instskip(NEXT) | instid1(VALU_DEP_1)
	v_min_u32_e32 v167, 32, v167
	v_subrev_nc_u32_e32 v181, 29, v167
	v_sub_nc_u32_e32 v167, 30, v167
	s_delay_alu instid0(VALU_DEP_2) | instskip(NEXT) | instid1(VALU_DEP_2)
	v_lshlrev_b32_e32 v181, v181, v10
	v_cndmask_b32_e32 v167, v41, v167, vcc_lo
	s_delay_alu instid0(VALU_DEP_2) | instskip(SKIP_1) | instid1(VALU_DEP_3)
	v_and_b32_e32 v181, 3, v181
	v_lshlrev_b32_e32 v43, 24, v10
	v_lshl_add_u32 v167, v167, 23, 0x37800000
	s_delay_alu instid0(VALU_DEP_2) | instskip(NEXT) | instid1(VALU_DEP_1)
	v_dual_cndmask_b32 v150, v150, v181 :: v_dual_and_b32 v181, 0x80000000, v43
	v_lshlrev_b32_e32 v150, 21, v150
	s_delay_alu instid0(VALU_DEP_1)
	v_or3_b32 v150, v181, v167, v150
.LBB4_2770:                             ;   in Loop: Header=BB4_1985 Depth=4
	s_or_b32 exec_lo, exec_lo, s34
	s_delay_alu instid0(VALU_DEP_1) | instskip(NEXT) | instid1(VALU_DEP_1)
	v_add_f32_e32 v163, v163, v150
	v_and_b32_e32 v150, 0x7f800000, v163
	s_delay_alu instid0(VALU_DEP_1)
	v_cmp_ne_u32_e32 vcc_lo, 0x7f800000, v150
	v_mov_b32_e32 v150, 0x80
	s_and_saveexec_b32 s34, vcc_lo
	s_cbranch_execz .LBB4_2778
; %bb.2771:                             ;   in Loop: Header=BB4_1985 Depth=4
	v_mov_b32_e32 v150, 0
	s_mov_b32 s35, exec_lo
	v_cmpx_ne_u32_e32 0, v163
	s_cbranch_execz .LBB4_2777
; %bb.2772:                             ;   in Loop: Header=BB4_1985 Depth=4
	v_bfe_u32 v150, v163, 23, 8
	v_and_b32_e32 v167, 0x7fffff, v163
	s_delay_alu instid0(VALU_DEP_2) | instskip(SKIP_1) | instid1(VALU_DEP_3)
	v_sub_nc_u32_e32 v181, 0x70, v150
	v_cmp_gt_u32_e32 vcc_lo, 0x71, v150
	v_or_b32_e32 v41, 0x800000, v167
	s_delay_alu instid0(VALU_DEP_3) | instskip(SKIP_2) | instid1(VALU_DEP_3)
	v_cndmask_b32_e32 v181, 0, v181, vcc_lo
	v_cmp_eq_u32_e32 vcc_lo, 0, v150
	v_add_nc_u32_e32 v150, 0xffffff91, v150
	v_cndmask_b32_e64 v181, v181, 0x6f, vcc_lo
	v_cndmask_b32_e32 v167, v41, v167, vcc_lo
	s_delay_alu instid0(VALU_DEP_3) | instskip(NEXT) | instid1(VALU_DEP_3)
	v_cndmask_b32_e64 v150, v150, 0xffffff92, vcc_lo
	v_lshl_add_u32 v41, 0x200000, v181, -1
	s_delay_alu instid0(VALU_DEP_3) | instskip(SKIP_1) | instid1(VALU_DEP_4)
	v_lshrrev_b32_e32 v43, v181, v167
	v_lshlrev_b32_e64 v45, v181, 0x100000
	v_add_nc_u32_e32 v181, v181, v150
	s_delay_alu instid0(VALU_DEP_4) | instskip(NEXT) | instid1(VALU_DEP_4)
	v_and_b32_e32 v167, v41, v167
	v_bfe_u32 v44, v43, 21, 1
	s_delay_alu instid0(VALU_DEP_2) | instskip(NEXT) | instid1(VALU_DEP_2)
	v_cmp_eq_u32_e64 s13, v167, v45
	v_add_nc_u32_e32 v41, -1, v44
	s_delay_alu instid0(VALU_DEP_1) | instskip(SKIP_2) | instid1(VALU_DEP_2)
	v_cndmask_b32_e64 v167, 0, v41, s13
	v_lshrrev_b32_e32 v41, 23, v43
	s_mov_b32 s13, exec_lo
	v_add_nc_u32_e32 v167, v167, v43
	s_delay_alu instid0(VALU_DEP_2) | instskip(NEXT) | instid1(VALU_DEP_2)
	v_xor_b32_e32 v41, 1, v41
	v_and_b32_e32 v150, 0x1fffff, v167
	s_delay_alu instid0(VALU_DEP_1) | instskip(NEXT) | instid1(VALU_DEP_3)
	v_add_nc_u32_e32 v167, v150, v43
                                        ; implicit-def: $vgpr150
	v_cmpx_ne_u32_e64 v181, v41
	s_xor_b32 s13, exec_lo, s13
; %bb.2773:                             ;   in Loop: Header=BB4_1985 Depth=4
	s_delay_alu instid0(VALU_DEP_2) | instskip(SKIP_2) | instid1(VALU_DEP_2)
	v_cmp_lt_u32_e32 vcc_lo, 0xffffff, v167
	v_sub_nc_u32_e32 v150, v181, v41
	v_cndmask_b32_e64 v181, 0, 1, vcc_lo
	v_add_co_ci_u32_e32 v150, vcc_lo, 0, v150, vcc_lo
	s_delay_alu instid0(VALU_DEP_2)
	v_lshrrev_b32_e32 v167, v181, v167
; %bb.2774:                             ;   in Loop: Header=BB4_1985 Depth=4
	s_and_not1_saveexec_b32 s13, s13
; %bb.2775:                             ;   in Loop: Header=BB4_1985 Depth=4
	s_delay_alu instid0(VALU_DEP_1)
	v_bfe_u32 v150, v167, 23, 1
; %bb.2776:                             ;   in Loop: Header=BB4_1985 Depth=4
	s_or_b32 exec_lo, exec_lo, s13
	v_lshrrev_b32_e32 v167, 21, v167
	s_delay_alu instid0(VALU_DEP_2) | instskip(SKIP_2) | instid1(VALU_DEP_4)
	v_cmp_gt_i32_e32 vcc_lo, 32, v150
	v_lshrrev_b32_e32 v163, 24, v163
	v_min_i32_e32 v181, 31, v150
	v_cndmask_b32_e32 v167, 3, v167, vcc_lo
	s_delay_alu instid0(VALU_DEP_3) | instskip(NEXT) | instid1(VALU_DEP_2)
	v_and_b32_e32 v163, 0x80, v163
	v_or_b32_e32 v150, v150, v167
	v_and_b32_e32 v41, 3, v167
	s_delay_alu instid0(VALU_DEP_2) | instskip(SKIP_1) | instid1(VALU_DEP_1)
	v_cmp_ne_u32_e32 vcc_lo, 0, v150
	v_lshlrev_b32_e32 v181, 2, v181
	v_or3_b32 v163, v181, v163, v41
	s_delay_alu instid0(VALU_DEP_1)
	v_cndmask_b32_e32 v150, 0, v163, vcc_lo
.LBB4_2777:                             ;   in Loop: Header=BB4_1985 Depth=4
	s_or_b32 exec_lo, exec_lo, s35
.LBB4_2778:                             ;   in Loop: Header=BB4_1985 Depth=4
	s_delay_alu instid0(SALU_CYCLE_1) | instskip(SKIP_3) | instid1(VALU_DEP_1)
	s_or_b32 exec_lo, exec_lo, s34
	v_and_b32_e32 v167, 0xff, v148
	s_mov_b32 s13, 0
	s_mov_b32 s35, exec_lo
                                        ; implicit-def: $sgpr34
	v_cmpx_lt_i16_e64 0x7f, v167
	s_xor_b32 s35, exec_lo, s35
	s_cbranch_execnz .LBB4_3216
; %bb.2779:                             ;   in Loop: Header=BB4_1985 Depth=4
	s_or_saveexec_b32 s35, s35
	v_mov_b32_e32 v163, s34
	s_xor_b32 exec_lo, exec_lo, s35
	s_cbranch_execnz .LBB4_3219
.LBB4_2780:                             ;   in Loop: Header=BB4_1985 Depth=4
	s_or_b32 exec_lo, exec_lo, s35
	s_and_saveexec_b32 s34, s13
	s_cbranch_execz .LBB4_2782
.LBB4_2781:                             ;   in Loop: Header=BB4_1985 Depth=4
	v_and_b32_e32 v163, 3, v148
	v_bfe_u32 v41, v148, 2, 5
	s_delay_alu instid0(VALU_DEP_2) | instskip(NEXT) | instid1(VALU_DEP_2)
	v_clz_i32_u32_e32 v167, v163
	v_cmp_eq_u32_e32 vcc_lo, 0, v41
	s_delay_alu instid0(VALU_DEP_2) | instskip(NEXT) | instid1(VALU_DEP_1)
	v_min_u32_e32 v167, 32, v167
	v_subrev_nc_u32_e32 v181, 29, v167
	v_sub_nc_u32_e32 v167, 30, v167
	s_delay_alu instid0(VALU_DEP_2) | instskip(NEXT) | instid1(VALU_DEP_2)
	v_lshlrev_b32_e32 v181, v181, v148
	v_dual_cndmask_b32 v167, v41, v167 :: v_dual_lshlrev_b32 v148, 24, v148
	s_delay_alu instid0(VALU_DEP_2) | instskip(NEXT) | instid1(VALU_DEP_2)
	v_and_b32_e32 v181, 3, v181
	v_and_b32_e32 v148, 0x80000000, v148
	s_delay_alu instid0(VALU_DEP_3) | instskip(NEXT) | instid1(VALU_DEP_3)
	v_lshl_add_u32 v167, v167, 23, 0x37800000
	v_cndmask_b32_e32 v163, v163, v181, vcc_lo
	s_delay_alu instid0(VALU_DEP_1) | instskip(NEXT) | instid1(VALU_DEP_1)
	v_lshlrev_b32_e32 v163, 21, v163
	v_or3_b32 v163, v148, v167, v163
.LBB4_2782:                             ;   in Loop: Header=BB4_1985 Depth=4
	s_or_b32 exec_lo, exec_lo, s34
	v_lshrrev_b16 v148, 8, v10
	s_mov_b32 s13, 0
	s_mov_b32 s35, exec_lo
                                        ; implicit-def: $sgpr34
	s_delay_alu instid0(VALU_DEP_1)
	v_cmpx_lt_i16_e64 0x7f, v148
	s_xor_b32 s35, exec_lo, s35
	s_cbranch_execnz .LBB4_3220
; %bb.2783:                             ;   in Loop: Header=BB4_1985 Depth=4
	s_or_saveexec_b32 s35, s35
	v_mov_b32_e32 v167, s34
	s_xor_b32 exec_lo, exec_lo, s35
	s_cbranch_execnz .LBB4_3223
.LBB4_2784:                             ;   in Loop: Header=BB4_1985 Depth=4
	s_or_b32 exec_lo, exec_lo, s35
	s_and_saveexec_b32 s34, s13
	s_cbranch_execz .LBB4_2786
.LBB4_2785:                             ;   in Loop: Header=BB4_1985 Depth=4
	v_and_b32_e32 v167, 0xffff, v148
	s_delay_alu instid0(VALU_DEP_1) | instskip(NEXT) | instid1(VALU_DEP_1)
	v_and_b32_e32 v181, 3, v167
	v_clz_i32_u32_e32 v41, v181
	s_delay_alu instid0(VALU_DEP_1) | instskip(NEXT) | instid1(VALU_DEP_1)
	v_min_u32_e32 v41, 32, v41
	v_subrev_nc_u32_e32 v43, 29, v41
	v_sub_nc_u32_e32 v41, 30, v41
	s_delay_alu instid0(VALU_DEP_2) | instskip(SKIP_1) | instid1(VALU_DEP_2)
	v_lshlrev_b32_e32 v43, v43, v167
	v_bfe_u32 v167, v167, 2, 5
	v_and_b32_e32 v43, 3, v43
	s_delay_alu instid0(VALU_DEP_2) | instskip(SKIP_1) | instid1(VALU_DEP_1)
	v_cmp_eq_u32_e32 vcc_lo, 0, v167
	v_dual_cndmask_b32 v167, v167, v41 :: v_dual_lshlrev_b32 v148, 24, v148
	v_dual_cndmask_b32 v181, v181, v43 :: v_dual_and_b32 v148, 0x80000000, v148
	s_delay_alu instid0(VALU_DEP_2) | instskip(NEXT) | instid1(VALU_DEP_2)
	v_lshl_add_u32 v167, v167, 23, 0x37800000
	v_lshlrev_b32_e32 v181, 21, v181
	s_delay_alu instid0(VALU_DEP_1)
	v_or3_b32 v167, v148, v167, v181
.LBB4_2786:                             ;   in Loop: Header=BB4_1985 Depth=4
	s_or_b32 exec_lo, exec_lo, s34
	s_delay_alu instid0(VALU_DEP_1) | instskip(NEXT) | instid1(VALU_DEP_1)
	v_add_f32_e32 v163, v163, v167
	v_and_b32_e32 v148, 0x7f800000, v163
	s_delay_alu instid0(VALU_DEP_1)
	v_cmp_ne_u32_e32 vcc_lo, 0x7f800000, v148
	v_mov_b32_e32 v148, 0x80
	s_and_saveexec_b32 s34, vcc_lo
	s_cbranch_execz .LBB4_2794
; %bb.2787:                             ;   in Loop: Header=BB4_1985 Depth=4
	v_mov_b32_e32 v148, 0
	s_mov_b32 s35, exec_lo
	v_cmpx_ne_u32_e32 0, v163
	s_cbranch_execz .LBB4_2793
; %bb.2788:                             ;   in Loop: Header=BB4_1985 Depth=4
	v_bfe_u32 v148, v163, 23, 8
	v_and_b32_e32 v167, 0x7fffff, v163
	s_delay_alu instid0(VALU_DEP_2) | instskip(SKIP_1) | instid1(VALU_DEP_3)
	v_sub_nc_u32_e32 v181, 0x70, v148
	v_cmp_gt_u32_e32 vcc_lo, 0x71, v148
	v_or_b32_e32 v41, 0x800000, v167
	s_delay_alu instid0(VALU_DEP_3) | instskip(SKIP_2) | instid1(VALU_DEP_3)
	v_cndmask_b32_e32 v181, 0, v181, vcc_lo
	v_cmp_eq_u32_e32 vcc_lo, 0, v148
	v_add_nc_u32_e32 v148, 0xffffff91, v148
	v_cndmask_b32_e64 v181, v181, 0x6f, vcc_lo
	v_cndmask_b32_e32 v167, v41, v167, vcc_lo
	s_delay_alu instid0(VALU_DEP_3) | instskip(NEXT) | instid1(VALU_DEP_3)
	v_cndmask_b32_e64 v148, v148, 0xffffff92, vcc_lo
	v_lshl_add_u32 v41, 0x200000, v181, -1
	s_delay_alu instid0(VALU_DEP_3) | instskip(SKIP_1) | instid1(VALU_DEP_4)
	v_lshrrev_b32_e32 v43, v181, v167
	v_lshlrev_b32_e64 v45, v181, 0x100000
	v_add_nc_u32_e32 v181, v181, v148
	s_delay_alu instid0(VALU_DEP_4) | instskip(NEXT) | instid1(VALU_DEP_4)
	v_and_b32_e32 v167, v41, v167
	v_bfe_u32 v44, v43, 21, 1
	s_delay_alu instid0(VALU_DEP_2) | instskip(NEXT) | instid1(VALU_DEP_2)
	v_cmp_eq_u32_e64 s13, v167, v45
	v_add_nc_u32_e32 v41, -1, v44
	s_delay_alu instid0(VALU_DEP_1) | instskip(SKIP_2) | instid1(VALU_DEP_2)
	v_cndmask_b32_e64 v167, 0, v41, s13
	v_lshrrev_b32_e32 v41, 23, v43
	s_mov_b32 s13, exec_lo
	v_add_nc_u32_e32 v167, v167, v43
	s_delay_alu instid0(VALU_DEP_2) | instskip(NEXT) | instid1(VALU_DEP_2)
	v_xor_b32_e32 v41, 1, v41
	v_and_b32_e32 v148, 0x1fffff, v167
	s_delay_alu instid0(VALU_DEP_1) | instskip(NEXT) | instid1(VALU_DEP_3)
	v_add_nc_u32_e32 v167, v148, v43
                                        ; implicit-def: $vgpr148
	v_cmpx_ne_u32_e64 v181, v41
	s_xor_b32 s13, exec_lo, s13
; %bb.2789:                             ;   in Loop: Header=BB4_1985 Depth=4
	s_delay_alu instid0(VALU_DEP_2) | instskip(SKIP_2) | instid1(VALU_DEP_2)
	v_cmp_lt_u32_e32 vcc_lo, 0xffffff, v167
	v_sub_nc_u32_e32 v148, v181, v41
	v_cndmask_b32_e64 v181, 0, 1, vcc_lo
	v_add_co_ci_u32_e32 v148, vcc_lo, 0, v148, vcc_lo
	s_delay_alu instid0(VALU_DEP_2)
	v_lshrrev_b32_e32 v167, v181, v167
; %bb.2790:                             ;   in Loop: Header=BB4_1985 Depth=4
	s_and_not1_saveexec_b32 s13, s13
; %bb.2791:                             ;   in Loop: Header=BB4_1985 Depth=4
	s_delay_alu instid0(VALU_DEP_1)
	v_bfe_u32 v148, v167, 23, 1
; %bb.2792:                             ;   in Loop: Header=BB4_1985 Depth=4
	s_or_b32 exec_lo, exec_lo, s13
	v_lshrrev_b32_e32 v167, 21, v167
	s_delay_alu instid0(VALU_DEP_2) | instskip(SKIP_2) | instid1(VALU_DEP_4)
	v_cmp_gt_i32_e32 vcc_lo, 32, v148
	v_lshrrev_b32_e32 v163, 24, v163
	v_min_i32_e32 v181, 31, v148
	v_cndmask_b32_e32 v167, 3, v167, vcc_lo
	s_delay_alu instid0(VALU_DEP_3) | instskip(NEXT) | instid1(VALU_DEP_2)
	v_and_b32_e32 v163, 0x80, v163
	v_or_b32_e32 v148, v148, v167
	v_and_b32_e32 v41, 3, v167
	s_delay_alu instid0(VALU_DEP_2) | instskip(SKIP_1) | instid1(VALU_DEP_1)
	v_cmp_ne_u32_e32 vcc_lo, 0, v148
	v_lshlrev_b32_e32 v181, 2, v181
	v_or3_b32 v163, v181, v163, v41
	s_delay_alu instid0(VALU_DEP_1)
	v_cndmask_b32_e32 v148, 0, v163, vcc_lo
.LBB4_2793:                             ;   in Loop: Header=BB4_1985 Depth=4
	s_or_b32 exec_lo, exec_lo, s35
.LBB4_2794:                             ;   in Loop: Header=BB4_1985 Depth=4
	s_delay_alu instid0(SALU_CYCLE_1) | instskip(SKIP_3) | instid1(VALU_DEP_1)
	s_or_b32 exec_lo, exec_lo, s34
	v_and_b32_e32 v167, 0xff, v147
	s_mov_b32 s13, 0
	s_mov_b32 s35, exec_lo
                                        ; implicit-def: $sgpr34
	v_cmpx_lt_i16_e64 0x7f, v167
	s_xor_b32 s35, exec_lo, s35
	s_cbranch_execnz .LBB4_3224
; %bb.2795:                             ;   in Loop: Header=BB4_1985 Depth=4
	s_or_saveexec_b32 s35, s35
	v_mov_b32_e32 v163, s34
	s_xor_b32 exec_lo, exec_lo, s35
	s_cbranch_execnz .LBB4_3227
.LBB4_2796:                             ;   in Loop: Header=BB4_1985 Depth=4
	s_or_b32 exec_lo, exec_lo, s35
	s_and_saveexec_b32 s34, s13
	s_cbranch_execz .LBB4_2798
.LBB4_2797:                             ;   in Loop: Header=BB4_1985 Depth=4
	v_and_b32_e32 v163, 3, v147
	v_bfe_u32 v41, v147, 2, 5
	s_delay_alu instid0(VALU_DEP_2) | instskip(NEXT) | instid1(VALU_DEP_2)
	v_clz_i32_u32_e32 v167, v163
	v_cmp_eq_u32_e32 vcc_lo, 0, v41
	s_delay_alu instid0(VALU_DEP_2) | instskip(NEXT) | instid1(VALU_DEP_1)
	v_min_u32_e32 v167, 32, v167
	v_subrev_nc_u32_e32 v181, 29, v167
	v_sub_nc_u32_e32 v167, 30, v167
	s_delay_alu instid0(VALU_DEP_2) | instskip(SKIP_1) | instid1(VALU_DEP_3)
	v_lshlrev_b32_e32 v181, v181, v147
	v_lshlrev_b32_e32 v147, 24, v147
	v_cndmask_b32_e32 v167, v41, v167, vcc_lo
	s_delay_alu instid0(VALU_DEP_3) | instskip(NEXT) | instid1(VALU_DEP_3)
	v_and_b32_e32 v181, 3, v181
	v_and_b32_e32 v147, 0x80000000, v147
	s_delay_alu instid0(VALU_DEP_3) | instskip(NEXT) | instid1(VALU_DEP_3)
	v_lshl_add_u32 v167, v167, 23, 0x37800000
	v_cndmask_b32_e32 v163, v163, v181, vcc_lo
	s_delay_alu instid0(VALU_DEP_1) | instskip(NEXT) | instid1(VALU_DEP_1)
	v_lshlrev_b32_e32 v163, 21, v163
	v_or3_b32 v163, v147, v167, v163
.LBB4_2798:                             ;   in Loop: Header=BB4_1985 Depth=4
	s_or_b32 exec_lo, exec_lo, s34
	v_lshrrev_b32_e32 v147, 16, v10
	s_mov_b32 s13, 0
	s_mov_b32 s35, exec_lo
                                        ; implicit-def: $sgpr34
	s_delay_alu instid0(VALU_DEP_1) | instskip(NEXT) | instid1(VALU_DEP_1)
	v_and_b32_e32 v181, 0xff, v147
	v_cmpx_lt_i16_e64 0x7f, v181
	s_xor_b32 s35, exec_lo, s35
	s_cbranch_execnz .LBB4_3228
; %bb.2799:                             ;   in Loop: Header=BB4_1985 Depth=4
	s_or_saveexec_b32 s35, s35
	v_mov_b32_e32 v167, s34
	s_xor_b32 exec_lo, exec_lo, s35
	s_cbranch_execnz .LBB4_3231
.LBB4_2800:                             ;   in Loop: Header=BB4_1985 Depth=4
	s_or_b32 exec_lo, exec_lo, s35
	s_and_saveexec_b32 s34, s13
	s_cbranch_execz .LBB4_2802
.LBB4_2801:                             ;   in Loop: Header=BB4_1985 Depth=4
	v_bfe_u32 v167, v10, 16, 2
	v_lshlrev_b32_e32 v43, 8, v10
	s_delay_alu instid0(VALU_DEP_2) | instskip(NEXT) | instid1(VALU_DEP_1)
	v_clz_i32_u32_e32 v181, v167
	v_min_u32_e32 v181, 32, v181
	s_delay_alu instid0(VALU_DEP_1) | instskip(SKIP_1) | instid1(VALU_DEP_2)
	v_subrev_nc_u32_e32 v41, 29, v181
	v_sub_nc_u32_e32 v181, 30, v181
	v_lshlrev_b32_e32 v147, v41, v147
	v_bfe_u32 v41, v10, 18, 5
	s_delay_alu instid0(VALU_DEP_2) | instskip(NEXT) | instid1(VALU_DEP_2)
	v_and_b32_e32 v147, 3, v147
	v_cmp_eq_u32_e32 vcc_lo, 0, v41
	v_cndmask_b32_e32 v181, v41, v181, vcc_lo
	s_delay_alu instid0(VALU_DEP_3) | instskip(SKIP_1) | instid1(VALU_DEP_3)
	v_cndmask_b32_e32 v147, v167, v147, vcc_lo
	v_and_b32_e32 v167, 0x80000000, v43
	v_lshl_add_u32 v181, v181, 23, 0x37800000
	s_delay_alu instid0(VALU_DEP_3) | instskip(NEXT) | instid1(VALU_DEP_1)
	v_lshlrev_b32_e32 v147, 21, v147
	v_or3_b32 v167, v167, v181, v147
.LBB4_2802:                             ;   in Loop: Header=BB4_1985 Depth=4
	s_or_b32 exec_lo, exec_lo, s34
	s_delay_alu instid0(VALU_DEP_1) | instskip(NEXT) | instid1(VALU_DEP_1)
	v_add_f32_e32 v163, v163, v167
	v_and_b32_e32 v147, 0x7f800000, v163
	s_delay_alu instid0(VALU_DEP_1)
	v_cmp_ne_u32_e32 vcc_lo, 0x7f800000, v147
	v_mov_b32_e32 v147, 0x80
	s_and_saveexec_b32 s34, vcc_lo
	s_cbranch_execz .LBB4_2810
; %bb.2803:                             ;   in Loop: Header=BB4_1985 Depth=4
	v_mov_b32_e32 v147, 0
	s_mov_b32 s35, exec_lo
	v_cmpx_ne_u32_e32 0, v163
	s_cbranch_execz .LBB4_2809
; %bb.2804:                             ;   in Loop: Header=BB4_1985 Depth=4
	v_bfe_u32 v147, v163, 23, 8
	v_and_b32_e32 v167, 0x7fffff, v163
	s_delay_alu instid0(VALU_DEP_2) | instskip(SKIP_1) | instid1(VALU_DEP_3)
	v_sub_nc_u32_e32 v181, 0x70, v147
	v_cmp_gt_u32_e32 vcc_lo, 0x71, v147
	v_or_b32_e32 v41, 0x800000, v167
	s_delay_alu instid0(VALU_DEP_3) | instskip(SKIP_2) | instid1(VALU_DEP_3)
	v_cndmask_b32_e32 v181, 0, v181, vcc_lo
	v_cmp_eq_u32_e32 vcc_lo, 0, v147
	v_add_nc_u32_e32 v147, 0xffffff91, v147
	v_cndmask_b32_e64 v181, v181, 0x6f, vcc_lo
	v_cndmask_b32_e32 v167, v41, v167, vcc_lo
	s_delay_alu instid0(VALU_DEP_3) | instskip(NEXT) | instid1(VALU_DEP_3)
	v_cndmask_b32_e64 v147, v147, 0xffffff92, vcc_lo
	v_lshl_add_u32 v41, 0x200000, v181, -1
	s_delay_alu instid0(VALU_DEP_3) | instskip(SKIP_1) | instid1(VALU_DEP_4)
	v_lshrrev_b32_e32 v43, v181, v167
	v_lshlrev_b32_e64 v45, v181, 0x100000
	v_add_nc_u32_e32 v181, v181, v147
	s_delay_alu instid0(VALU_DEP_4) | instskip(NEXT) | instid1(VALU_DEP_4)
	v_and_b32_e32 v167, v41, v167
	v_bfe_u32 v44, v43, 21, 1
	s_delay_alu instid0(VALU_DEP_2) | instskip(NEXT) | instid1(VALU_DEP_2)
	v_cmp_eq_u32_e64 s13, v167, v45
	v_add_nc_u32_e32 v41, -1, v44
	s_delay_alu instid0(VALU_DEP_1) | instskip(SKIP_2) | instid1(VALU_DEP_2)
	v_cndmask_b32_e64 v167, 0, v41, s13
	v_lshrrev_b32_e32 v41, 23, v43
	s_mov_b32 s13, exec_lo
	v_add_nc_u32_e32 v167, v167, v43
	s_delay_alu instid0(VALU_DEP_2) | instskip(NEXT) | instid1(VALU_DEP_2)
	v_xor_b32_e32 v41, 1, v41
	v_and_b32_e32 v147, 0x1fffff, v167
	s_delay_alu instid0(VALU_DEP_1) | instskip(NEXT) | instid1(VALU_DEP_3)
	v_add_nc_u32_e32 v167, v147, v43
                                        ; implicit-def: $vgpr147
	v_cmpx_ne_u32_e64 v181, v41
	s_xor_b32 s13, exec_lo, s13
; %bb.2805:                             ;   in Loop: Header=BB4_1985 Depth=4
	s_delay_alu instid0(VALU_DEP_2) | instskip(SKIP_2) | instid1(VALU_DEP_2)
	v_cmp_lt_u32_e32 vcc_lo, 0xffffff, v167
	v_sub_nc_u32_e32 v147, v181, v41
	v_cndmask_b32_e64 v181, 0, 1, vcc_lo
	v_add_co_ci_u32_e32 v147, vcc_lo, 0, v147, vcc_lo
	s_delay_alu instid0(VALU_DEP_2)
	v_lshrrev_b32_e32 v167, v181, v167
; %bb.2806:                             ;   in Loop: Header=BB4_1985 Depth=4
	s_and_not1_saveexec_b32 s13, s13
; %bb.2807:                             ;   in Loop: Header=BB4_1985 Depth=4
	s_delay_alu instid0(VALU_DEP_1)
	v_bfe_u32 v147, v167, 23, 1
; %bb.2808:                             ;   in Loop: Header=BB4_1985 Depth=4
	s_or_b32 exec_lo, exec_lo, s13
	v_lshrrev_b32_e32 v167, 21, v167
	s_delay_alu instid0(VALU_DEP_2) | instskip(SKIP_2) | instid1(VALU_DEP_4)
	v_cmp_gt_i32_e32 vcc_lo, 32, v147
	v_lshrrev_b32_e32 v163, 24, v163
	v_min_i32_e32 v181, 31, v147
	v_cndmask_b32_e32 v167, 3, v167, vcc_lo
	s_delay_alu instid0(VALU_DEP_3) | instskip(NEXT) | instid1(VALU_DEP_3)
	v_and_b32_e32 v163, 0x80, v163
	v_lshlrev_b32_e32 v181, 2, v181
	s_delay_alu instid0(VALU_DEP_3) | instskip(SKIP_1) | instid1(VALU_DEP_2)
	v_and_b32_e32 v41, 3, v167
	v_or_b32_e32 v147, v147, v167
	v_or3_b32 v163, v181, v163, v41
	s_delay_alu instid0(VALU_DEP_2) | instskip(NEXT) | instid1(VALU_DEP_2)
	v_cmp_ne_u32_e32 vcc_lo, 0, v147
	v_cndmask_b32_e32 v147, 0, v163, vcc_lo
.LBB4_2809:                             ;   in Loop: Header=BB4_1985 Depth=4
	s_or_b32 exec_lo, exec_lo, s35
.LBB4_2810:                             ;   in Loop: Header=BB4_1985 Depth=4
	s_delay_alu instid0(SALU_CYCLE_1) | instskip(SKIP_3) | instid1(VALU_DEP_1)
	s_or_b32 exec_lo, exec_lo, s34
	v_and_b32_e32 v167, 0xff, v144
	s_mov_b32 s13, 0
	s_mov_b32 s35, exec_lo
                                        ; implicit-def: $sgpr34
	v_cmpx_lt_i16_e64 0x7f, v167
	s_xor_b32 s35, exec_lo, s35
	s_cbranch_execnz .LBB4_3232
; %bb.2811:                             ;   in Loop: Header=BB4_1985 Depth=4
	s_or_saveexec_b32 s35, s35
	v_mov_b32_e32 v163, s34
	s_xor_b32 exec_lo, exec_lo, s35
	s_cbranch_execnz .LBB4_3235
.LBB4_2812:                             ;   in Loop: Header=BB4_1985 Depth=4
	s_or_b32 exec_lo, exec_lo, s35
	s_and_saveexec_b32 s34, s13
	s_cbranch_execz .LBB4_2814
.LBB4_2813:                             ;   in Loop: Header=BB4_1985 Depth=4
	v_lshlrev_b32_e32 v144, 8, v144
	s_delay_alu instid0(VALU_DEP_1) | instskip(SKIP_1) | instid1(VALU_DEP_2)
	v_and_b32_e32 v163, 0xff00, v144
	v_bfe_u32 v144, v144, 10, 5
	v_bfe_u32 v181, v163, 8, 2
	s_delay_alu instid0(VALU_DEP_2) | instskip(NEXT) | instid1(VALU_DEP_2)
	v_cmp_eq_u32_e32 vcc_lo, 0, v144
	v_clz_i32_u32_e32 v41, v181
	s_delay_alu instid0(VALU_DEP_1) | instskip(NEXT) | instid1(VALU_DEP_1)
	v_min_u32_e32 v41, 32, v41
	v_subrev_nc_u32_e32 v43, 29, v41
	v_sub_nc_u32_e32 v41, 30, v41
	s_delay_alu instid0(VALU_DEP_1) | instskip(SKIP_1) | instid1(VALU_DEP_2)
	v_dual_cndmask_b32 v144, v144, v41 :: v_dual_lshlrev_b32 v167, v43, v167
	v_lshlrev_b32_e32 v163, 16, v163
	v_and_b32_e32 v167, 3, v167
	s_delay_alu instid0(VALU_DEP_3) | instskip(NEXT) | instid1(VALU_DEP_3)
	v_lshl_add_u32 v144, v144, 23, 0x37800000
	v_and_b32_e32 v163, 0x80000000, v163
	s_delay_alu instid0(VALU_DEP_3) | instskip(NEXT) | instid1(VALU_DEP_1)
	v_cndmask_b32_e32 v167, v181, v167, vcc_lo
	v_lshlrev_b32_e32 v167, 21, v167
	s_delay_alu instid0(VALU_DEP_1)
	v_or3_b32 v163, v163, v144, v167
.LBB4_2814:                             ;   in Loop: Header=BB4_1985 Depth=4
	s_or_b32 exec_lo, exec_lo, s34
	v_lshrrev_b32_e32 v144, 24, v10
	s_mov_b32 s13, 0
	s_mov_b32 s35, exec_lo
                                        ; implicit-def: $sgpr34
	s_delay_alu instid0(VALU_DEP_1)
	v_cmpx_lt_i16_e64 0x7f, v144
	s_xor_b32 s35, exec_lo, s35
	s_cbranch_execnz .LBB4_3236
; %bb.2815:                             ;   in Loop: Header=BB4_1985 Depth=4
	s_or_saveexec_b32 s35, s35
	v_mov_b32_e32 v167, s34
	s_xor_b32 exec_lo, exec_lo, s35
	s_cbranch_execnz .LBB4_3239
.LBB4_2816:                             ;   in Loop: Header=BB4_1985 Depth=4
	s_or_b32 exec_lo, exec_lo, s35
	s_and_saveexec_b32 s34, s13
	s_cbranch_execz .LBB4_2818
.LBB4_2817:                             ;   in Loop: Header=BB4_1985 Depth=4
	v_bfe_u32 v167, v10, 24, 2
	s_delay_alu instid0(VALU_DEP_1) | instskip(NEXT) | instid1(VALU_DEP_1)
	v_clz_i32_u32_e32 v181, v167
	v_min_u32_e32 v181, 32, v181
	s_delay_alu instid0(VALU_DEP_1) | instskip(SKIP_1) | instid1(VALU_DEP_2)
	v_subrev_nc_u32_e32 v41, 29, v181
	v_sub_nc_u32_e32 v181, 30, v181
	v_lshlrev_b32_e32 v144, v41, v144
	v_bfe_u32 v41, v10, 26, 5
	v_and_b32_e32 v10, 0x80000000, v10
	s_delay_alu instid0(VALU_DEP_2) | instskip(NEXT) | instid1(VALU_DEP_4)
	v_cmp_eq_u32_e32 vcc_lo, 0, v41
	v_dual_cndmask_b32 v181, v41, v181 :: v_dual_and_b32 v144, 3, v144
	s_delay_alu instid0(VALU_DEP_1) | instskip(NEXT) | instid1(VALU_DEP_2)
	v_cndmask_b32_e32 v144, v167, v144, vcc_lo
	v_lshl_add_u32 v167, v181, 23, 0x37800000
	s_delay_alu instid0(VALU_DEP_2) | instskip(NEXT) | instid1(VALU_DEP_1)
	v_lshlrev_b32_e32 v144, 21, v144
	v_or3_b32 v167, v10, v167, v144
.LBB4_2818:                             ;   in Loop: Header=BB4_1985 Depth=4
	s_or_b32 exec_lo, exec_lo, s34
	s_delay_alu instid0(VALU_DEP_1) | instskip(NEXT) | instid1(VALU_DEP_1)
	v_add_f32_e32 v144, v163, v167
	v_and_b32_e32 v10, 0x7f800000, v144
	s_delay_alu instid0(VALU_DEP_1)
	v_cmp_ne_u32_e32 vcc_lo, 0x7f800000, v10
	v_mov_b32_e32 v10, 0x80
	s_and_saveexec_b32 s34, vcc_lo
	s_cbranch_execz .LBB4_2826
; %bb.2819:                             ;   in Loop: Header=BB4_1985 Depth=4
	v_mov_b32_e32 v10, 0
	s_mov_b32 s35, exec_lo
	v_cmpx_ne_u32_e32 0, v144
	s_cbranch_execz .LBB4_2825
; %bb.2820:                             ;   in Loop: Header=BB4_1985 Depth=4
	v_bfe_u32 v10, v144, 23, 8
	v_and_b32_e32 v163, 0x7fffff, v144
	s_delay_alu instid0(VALU_DEP_2) | instskip(SKIP_1) | instid1(VALU_DEP_3)
	v_sub_nc_u32_e32 v167, 0x70, v10
	v_cmp_gt_u32_e32 vcc_lo, 0x71, v10
	v_or_b32_e32 v181, 0x800000, v163
	s_delay_alu instid0(VALU_DEP_3) | instskip(SKIP_2) | instid1(VALU_DEP_3)
	v_cndmask_b32_e32 v167, 0, v167, vcc_lo
	v_cmp_eq_u32_e32 vcc_lo, 0, v10
	v_add_nc_u32_e32 v10, 0xffffff91, v10
	v_cndmask_b32_e64 v167, v167, 0x6f, vcc_lo
	v_cndmask_b32_e32 v163, v181, v163, vcc_lo
	s_delay_alu instid0(VALU_DEP_3) | instskip(NEXT) | instid1(VALU_DEP_3)
	v_cndmask_b32_e64 v10, v10, 0xffffff92, vcc_lo
	v_lshl_add_u32 v181, 0x200000, v167, -1
	s_delay_alu instid0(VALU_DEP_3) | instskip(SKIP_1) | instid1(VALU_DEP_4)
	v_lshrrev_b32_e32 v41, v167, v163
	v_lshlrev_b32_e64 v44, v167, 0x100000
	v_add_nc_u32_e32 v167, v167, v10
	s_delay_alu instid0(VALU_DEP_4) | instskip(NEXT) | instid1(VALU_DEP_4)
	v_and_b32_e32 v163, v181, v163
	v_bfe_u32 v43, v41, 21, 1
	s_delay_alu instid0(VALU_DEP_2) | instskip(NEXT) | instid1(VALU_DEP_2)
	v_cmp_eq_u32_e64 s13, v163, v44
	v_add_nc_u32_e32 v181, -1, v43
	s_delay_alu instid0(VALU_DEP_1) | instskip(SKIP_2) | instid1(VALU_DEP_2)
	v_cndmask_b32_e64 v163, 0, v181, s13
	v_lshrrev_b32_e32 v181, 23, v41
	s_mov_b32 s13, exec_lo
	v_add_nc_u32_e32 v163, v163, v41
	s_delay_alu instid0(VALU_DEP_2) | instskip(NEXT) | instid1(VALU_DEP_2)
	v_xor_b32_e32 v181, 1, v181
	v_and_b32_e32 v10, 0x1fffff, v163
	s_delay_alu instid0(VALU_DEP_1) | instskip(NEXT) | instid1(VALU_DEP_3)
	v_add_nc_u32_e32 v163, v10, v41
                                        ; implicit-def: $vgpr10
	v_cmpx_ne_u32_e64 v167, v181
	s_xor_b32 s13, exec_lo, s13
; %bb.2821:                             ;   in Loop: Header=BB4_1985 Depth=4
	s_delay_alu instid0(VALU_DEP_2) | instskip(SKIP_2) | instid1(VALU_DEP_2)
	v_cmp_lt_u32_e32 vcc_lo, 0xffffff, v163
	v_sub_nc_u32_e32 v10, v167, v181
	v_cndmask_b32_e64 v167, 0, 1, vcc_lo
	v_add_co_ci_u32_e32 v10, vcc_lo, 0, v10, vcc_lo
	s_delay_alu instid0(VALU_DEP_2)
	v_lshrrev_b32_e32 v163, v167, v163
; %bb.2822:                             ;   in Loop: Header=BB4_1985 Depth=4
	s_and_not1_saveexec_b32 s13, s13
; %bb.2823:                             ;   in Loop: Header=BB4_1985 Depth=4
	s_delay_alu instid0(VALU_DEP_1)
	v_bfe_u32 v10, v163, 23, 1
; %bb.2824:                             ;   in Loop: Header=BB4_1985 Depth=4
	s_or_b32 exec_lo, exec_lo, s13
	v_lshrrev_b32_e32 v163, 21, v163
	s_delay_alu instid0(VALU_DEP_2) | instskip(SKIP_2) | instid1(VALU_DEP_2)
	v_cmp_gt_i32_e32 vcc_lo, 32, v10
	v_lshrrev_b32_e32 v144, 24, v144
	v_min_i32_e32 v167, 31, v10
	v_dual_cndmask_b32 v163, 3, v163 :: v_dual_and_b32 v144, 0x80, v144
	s_delay_alu instid0(VALU_DEP_2) | instskip(NEXT) | instid1(VALU_DEP_2)
	v_lshlrev_b32_e32 v167, 2, v167
	v_or_b32_e32 v10, v10, v163
	s_delay_alu instid0(VALU_DEP_1) | instskip(SKIP_1) | instid1(VALU_DEP_1)
	v_cmp_ne_u32_e32 vcc_lo, 0, v10
	v_and_b32_e32 v181, 3, v163
	v_or3_b32 v144, v167, v144, v181
	s_delay_alu instid0(VALU_DEP_1)
	v_cndmask_b32_e32 v10, 0, v144, vcc_lo
.LBB4_2825:                             ;   in Loop: Header=BB4_1985 Depth=4
	s_or_b32 exec_lo, exec_lo, s35
.LBB4_2826:                             ;   in Loop: Header=BB4_1985 Depth=4
	s_delay_alu instid0(SALU_CYCLE_1) | instskip(SKIP_3) | instid1(VALU_DEP_1)
	s_or_b32 exec_lo, exec_lo, s34
	v_or_b32_e32 v149, v149, v135
	s_mov_b32 s13, 0
	s_mov_b32 s35, exec_lo
                                        ; implicit-def: $sgpr34
	v_and_b32_e32 v144, 0xff, v149
	s_delay_alu instid0(VALU_DEP_1)
	v_cmpx_lt_i16_e64 0x7f, v144
	s_xor_b32 s35, exec_lo, s35
	s_cbranch_execnz .LBB4_3240
; %bb.2827:                             ;   in Loop: Header=BB4_1985 Depth=4
	s_or_saveexec_b32 s35, s35
	v_mov_b32_e32 v135, s34
	s_xor_b32 exec_lo, exec_lo, s35
	s_cbranch_execnz .LBB4_3243
.LBB4_2828:                             ;   in Loop: Header=BB4_1985 Depth=4
	s_or_b32 exec_lo, exec_lo, s35
	s_and_saveexec_b32 s34, s13
	s_cbranch_execz .LBB4_2830
.LBB4_2829:                             ;   in Loop: Header=BB4_1985 Depth=4
	v_bfe_u32 v167, v149, 2, 5
	v_lshlrev_b32_e32 v181, 24, v149
	s_delay_alu instid0(VALU_DEP_2) | instskip(SKIP_1) | instid1(VALU_DEP_1)
	v_cmp_eq_u32_e32 vcc_lo, 0, v167
	v_and_b32_e32 v135, 3, v149
	v_clz_i32_u32_e32 v144, v135
	s_delay_alu instid0(VALU_DEP_1) | instskip(NEXT) | instid1(VALU_DEP_1)
	v_min_u32_e32 v144, 32, v144
	v_subrev_nc_u32_e32 v163, 29, v144
	v_sub_nc_u32_e32 v144, 30, v144
	s_delay_alu instid0(VALU_DEP_2) | instskip(NEXT) | instid1(VALU_DEP_1)
	v_lshlrev_b32_e32 v163, v163, v149
	v_dual_cndmask_b32 v144, v167, v144 :: v_dual_and_b32 v163, 3, v163
	s_delay_alu instid0(VALU_DEP_1) | instskip(NEXT) | instid1(VALU_DEP_2)
	v_lshl_add_u32 v144, v144, 23, 0x37800000
	v_cndmask_b32_e32 v135, v135, v163, vcc_lo
	v_and_b32_e32 v163, 0x80000000, v181
	s_delay_alu instid0(VALU_DEP_2) | instskip(NEXT) | instid1(VALU_DEP_1)
	v_lshlrev_b32_e32 v135, 21, v135
	v_or3_b32 v135, v163, v144, v135
.LBB4_2830:                             ;   in Loop: Header=BB4_1985 Depth=4
	s_or_b32 exec_lo, exec_lo, s34
	v_and_b32_e32 v163, 0xff, v11
	s_mov_b32 s13, 0
	s_mov_b32 s35, exec_lo
                                        ; implicit-def: $sgpr34
	s_delay_alu instid0(VALU_DEP_1)
	v_cmpx_lt_i16_e64 0x7f, v163
	s_xor_b32 s35, exec_lo, s35
	s_cbranch_execnz .LBB4_3244
; %bb.2831:                             ;   in Loop: Header=BB4_1985 Depth=4
	s_or_saveexec_b32 s35, s35
	v_mov_b32_e32 v144, s34
	s_xor_b32 exec_lo, exec_lo, s35
	s_cbranch_execnz .LBB4_3247
.LBB4_2832:                             ;   in Loop: Header=BB4_1985 Depth=4
	s_or_b32 exec_lo, exec_lo, s35
	s_and_saveexec_b32 s34, s13
	s_cbranch_execz .LBB4_2834
.LBB4_2833:                             ;   in Loop: Header=BB4_1985 Depth=4
	v_and_b32_e32 v144, 3, v11
	v_bfe_u32 v181, v11, 2, 5
	v_lshlrev_b32_e32 v41, 24, v11
	s_delay_alu instid0(VALU_DEP_3) | instskip(NEXT) | instid1(VALU_DEP_3)
	v_clz_i32_u32_e32 v163, v144
	v_cmp_eq_u32_e32 vcc_lo, 0, v181
	s_delay_alu instid0(VALU_DEP_2) | instskip(NEXT) | instid1(VALU_DEP_1)
	v_min_u32_e32 v163, 32, v163
	v_subrev_nc_u32_e32 v167, 29, v163
	v_sub_nc_u32_e32 v163, 30, v163
	s_delay_alu instid0(VALU_DEP_2) | instskip(NEXT) | instid1(VALU_DEP_1)
	v_lshlrev_b32_e32 v167, v167, v11
	v_and_b32_e32 v167, 3, v167
	s_delay_alu instid0(VALU_DEP_1) | instskip(NEXT) | instid1(VALU_DEP_1)
	v_dual_cndmask_b32 v144, v144, v167 :: v_dual_and_b32 v167, 0x80000000, v41
	v_dual_cndmask_b32 v163, v181, v163 :: v_dual_lshlrev_b32 v144, 21, v144
	s_delay_alu instid0(VALU_DEP_1) | instskip(NEXT) | instid1(VALU_DEP_1)
	v_lshl_add_u32 v163, v163, 23, 0x37800000
	v_or3_b32 v144, v167, v163, v144
.LBB4_2834:                             ;   in Loop: Header=BB4_1985 Depth=4
	s_or_b32 exec_lo, exec_lo, s34
	s_delay_alu instid0(VALU_DEP_1) | instskip(NEXT) | instid1(VALU_DEP_1)
	v_add_f32_e32 v144, v135, v144
	v_and_b32_e32 v135, 0x7f800000, v144
	s_delay_alu instid0(VALU_DEP_1)
	v_cmp_ne_u32_e32 vcc_lo, 0x7f800000, v135
	v_mov_b32_e32 v135, 0x80
	s_and_saveexec_b32 s34, vcc_lo
	s_cbranch_execz .LBB4_2842
; %bb.2835:                             ;   in Loop: Header=BB4_1985 Depth=4
	v_mov_b32_e32 v135, 0
	s_mov_b32 s35, exec_lo
	v_cmpx_ne_u32_e32 0, v144
	s_cbranch_execz .LBB4_2841
; %bb.2836:                             ;   in Loop: Header=BB4_1985 Depth=4
	v_bfe_u32 v135, v144, 23, 8
	v_and_b32_e32 v163, 0x7fffff, v144
	s_delay_alu instid0(VALU_DEP_2) | instskip(SKIP_1) | instid1(VALU_DEP_3)
	v_sub_nc_u32_e32 v167, 0x70, v135
	v_cmp_gt_u32_e32 vcc_lo, 0x71, v135
	v_or_b32_e32 v181, 0x800000, v163
	s_delay_alu instid0(VALU_DEP_3) | instskip(SKIP_2) | instid1(VALU_DEP_3)
	v_cndmask_b32_e32 v167, 0, v167, vcc_lo
	v_cmp_eq_u32_e32 vcc_lo, 0, v135
	v_add_nc_u32_e32 v135, 0xffffff91, v135
	v_cndmask_b32_e64 v167, v167, 0x6f, vcc_lo
	v_cndmask_b32_e32 v163, v181, v163, vcc_lo
	s_delay_alu instid0(VALU_DEP_3) | instskip(NEXT) | instid1(VALU_DEP_3)
	v_cndmask_b32_e64 v135, v135, 0xffffff92, vcc_lo
	v_lshl_add_u32 v181, 0x200000, v167, -1
	s_delay_alu instid0(VALU_DEP_3) | instskip(SKIP_1) | instid1(VALU_DEP_4)
	v_lshrrev_b32_e32 v41, v167, v163
	v_lshlrev_b32_e64 v44, v167, 0x100000
	v_add_nc_u32_e32 v167, v167, v135
	s_delay_alu instid0(VALU_DEP_4) | instskip(NEXT) | instid1(VALU_DEP_4)
	v_and_b32_e32 v163, v181, v163
	v_bfe_u32 v43, v41, 21, 1
	s_delay_alu instid0(VALU_DEP_2) | instskip(NEXT) | instid1(VALU_DEP_2)
	v_cmp_eq_u32_e64 s13, v163, v44
	v_add_nc_u32_e32 v181, -1, v43
	s_delay_alu instid0(VALU_DEP_1) | instskip(SKIP_2) | instid1(VALU_DEP_2)
	v_cndmask_b32_e64 v163, 0, v181, s13
	v_lshrrev_b32_e32 v181, 23, v41
	s_mov_b32 s13, exec_lo
	v_add_nc_u32_e32 v163, v163, v41
	s_delay_alu instid0(VALU_DEP_2) | instskip(NEXT) | instid1(VALU_DEP_2)
	v_xor_b32_e32 v181, 1, v181
	v_and_b32_e32 v135, 0x1fffff, v163
	s_delay_alu instid0(VALU_DEP_1) | instskip(NEXT) | instid1(VALU_DEP_3)
	v_add_nc_u32_e32 v163, v135, v41
                                        ; implicit-def: $vgpr135
	v_cmpx_ne_u32_e64 v167, v181
	s_xor_b32 s13, exec_lo, s13
; %bb.2837:                             ;   in Loop: Header=BB4_1985 Depth=4
	s_delay_alu instid0(VALU_DEP_2) | instskip(SKIP_2) | instid1(VALU_DEP_2)
	v_cmp_lt_u32_e32 vcc_lo, 0xffffff, v163
	v_sub_nc_u32_e32 v135, v167, v181
	v_cndmask_b32_e64 v167, 0, 1, vcc_lo
	v_add_co_ci_u32_e32 v135, vcc_lo, 0, v135, vcc_lo
	s_delay_alu instid0(VALU_DEP_2)
	v_lshrrev_b32_e32 v163, v167, v163
; %bb.2838:                             ;   in Loop: Header=BB4_1985 Depth=4
	s_and_not1_saveexec_b32 s13, s13
; %bb.2839:                             ;   in Loop: Header=BB4_1985 Depth=4
	s_delay_alu instid0(VALU_DEP_1)
	v_bfe_u32 v135, v163, 23, 1
; %bb.2840:                             ;   in Loop: Header=BB4_1985 Depth=4
	s_or_b32 exec_lo, exec_lo, s13
	v_lshrrev_b32_e32 v163, 21, v163
	s_delay_alu instid0(VALU_DEP_2) | instskip(SKIP_2) | instid1(VALU_DEP_2)
	v_cmp_gt_i32_e32 vcc_lo, 32, v135
	v_lshrrev_b32_e32 v144, 24, v144
	v_min_i32_e32 v167, 31, v135
	v_dual_cndmask_b32 v163, 3, v163 :: v_dual_and_b32 v144, 0x80, v144
	s_delay_alu instid0(VALU_DEP_2) | instskip(NEXT) | instid1(VALU_DEP_2)
	v_lshlrev_b32_e32 v167, 2, v167
	v_and_b32_e32 v181, 3, v163
	v_or_b32_e32 v135, v135, v163
	s_delay_alu instid0(VALU_DEP_2) | instskip(NEXT) | instid1(VALU_DEP_2)
	v_or3_b32 v144, v167, v144, v181
	v_cmp_ne_u32_e32 vcc_lo, 0, v135
	s_delay_alu instid0(VALU_DEP_2)
	v_cndmask_b32_e32 v135, 0, v144, vcc_lo
.LBB4_2841:                             ;   in Loop: Header=BB4_1985 Depth=4
	s_or_b32 exec_lo, exec_lo, s35
.LBB4_2842:                             ;   in Loop: Header=BB4_1985 Depth=4
	s_delay_alu instid0(SALU_CYCLE_1) | instskip(SKIP_3) | instid1(VALU_DEP_1)
	s_or_b32 exec_lo, exec_lo, s34
	v_lshrrev_b16 v163, 8, v149
	s_mov_b32 s13, 0
	s_mov_b32 s35, exec_lo
                                        ; implicit-def: $sgpr34
	v_cmpx_lt_i16_e64 0x7f, v163
	s_xor_b32 s35, exec_lo, s35
	s_cbranch_execnz .LBB4_3248
; %bb.2843:                             ;   in Loop: Header=BB4_1985 Depth=4
	s_or_saveexec_b32 s35, s35
	v_mov_b32_e32 v144, s34
	s_xor_b32 exec_lo, exec_lo, s35
	s_cbranch_execnz .LBB4_3251
.LBB4_2844:                             ;   in Loop: Header=BB4_1985 Depth=4
	s_or_b32 exec_lo, exec_lo, s35
	s_and_saveexec_b32 s34, s13
	s_cbranch_execz .LBB4_2846
.LBB4_2845:                             ;   in Loop: Header=BB4_1985 Depth=4
	v_and_b32_e32 v144, 0xffff, v163
	v_lshlrev_b32_e32 v163, 24, v163
	s_delay_alu instid0(VALU_DEP_2) | instskip(NEXT) | instid1(VALU_DEP_2)
	v_and_b32_e32 v167, 3, v144
	v_and_b32_e32 v163, 0x80000000, v163
	s_delay_alu instid0(VALU_DEP_2) | instskip(NEXT) | instid1(VALU_DEP_1)
	v_clz_i32_u32_e32 v181, v167
	v_min_u32_e32 v181, 32, v181
	s_delay_alu instid0(VALU_DEP_1) | instskip(SKIP_1) | instid1(VALU_DEP_2)
	v_subrev_nc_u32_e32 v41, 29, v181
	v_sub_nc_u32_e32 v181, 30, v181
	v_lshlrev_b32_e32 v41, v41, v144
	v_bfe_u32 v144, v144, 2, 5
	s_delay_alu instid0(VALU_DEP_2) | instskip(NEXT) | instid1(VALU_DEP_2)
	v_and_b32_e32 v41, 3, v41
	v_cmp_eq_u32_e32 vcc_lo, 0, v144
	v_cndmask_b32_e32 v144, v144, v181, vcc_lo
	s_delay_alu instid0(VALU_DEP_3) | instskip(NEXT) | instid1(VALU_DEP_2)
	v_cndmask_b32_e32 v167, v167, v41, vcc_lo
	v_lshl_add_u32 v144, v144, 23, 0x37800000
	s_delay_alu instid0(VALU_DEP_2) | instskip(NEXT) | instid1(VALU_DEP_1)
	v_lshlrev_b32_e32 v167, 21, v167
	v_or3_b32 v144, v163, v144, v167
.LBB4_2846:                             ;   in Loop: Header=BB4_1985 Depth=4
	s_or_b32 exec_lo, exec_lo, s34
	v_lshrrev_b16 v163, 8, v11
	s_mov_b32 s13, 0
	s_mov_b32 s35, exec_lo
                                        ; implicit-def: $sgpr34
	s_delay_alu instid0(VALU_DEP_1)
	v_cmpx_lt_i16_e64 0x7f, v163
	s_xor_b32 s35, exec_lo, s35
	s_cbranch_execnz .LBB4_3252
; %bb.2847:                             ;   in Loop: Header=BB4_1985 Depth=4
	s_or_saveexec_b32 s35, s35
	v_mov_b32_e32 v167, s34
	s_xor_b32 exec_lo, exec_lo, s35
	s_cbranch_execnz .LBB4_3255
.LBB4_2848:                             ;   in Loop: Header=BB4_1985 Depth=4
	s_or_b32 exec_lo, exec_lo, s35
	s_and_saveexec_b32 s34, s13
	s_cbranch_execz .LBB4_2850
.LBB4_2849:                             ;   in Loop: Header=BB4_1985 Depth=4
	v_and_b32_e32 v167, 0xffff, v163
	v_lshlrev_b32_e32 v163, 24, v163
	s_delay_alu instid0(VALU_DEP_2) | instskip(NEXT) | instid1(VALU_DEP_2)
	v_and_b32_e32 v181, 3, v167
	v_and_b32_e32 v163, 0x80000000, v163
	s_delay_alu instid0(VALU_DEP_2) | instskip(NEXT) | instid1(VALU_DEP_1)
	v_clz_i32_u32_e32 v41, v181
	v_min_u32_e32 v41, 32, v41
	s_delay_alu instid0(VALU_DEP_1) | instskip(SKIP_1) | instid1(VALU_DEP_2)
	v_subrev_nc_u32_e32 v43, 29, v41
	v_sub_nc_u32_e32 v41, 30, v41
	v_lshlrev_b32_e32 v43, v43, v167
	v_bfe_u32 v167, v167, 2, 5
	s_delay_alu instid0(VALU_DEP_2) | instskip(NEXT) | instid1(VALU_DEP_2)
	v_and_b32_e32 v43, 3, v43
	v_cmp_eq_u32_e32 vcc_lo, 0, v167
	v_cndmask_b32_e32 v167, v167, v41, vcc_lo
	s_delay_alu instid0(VALU_DEP_3) | instskip(NEXT) | instid1(VALU_DEP_2)
	v_cndmask_b32_e32 v181, v181, v43, vcc_lo
	v_lshl_add_u32 v167, v167, 23, 0x37800000
	s_delay_alu instid0(VALU_DEP_2) | instskip(NEXT) | instid1(VALU_DEP_1)
	v_lshlrev_b32_e32 v181, 21, v181
	v_or3_b32 v167, v163, v167, v181
.LBB4_2850:                             ;   in Loop: Header=BB4_1985 Depth=4
	s_or_b32 exec_lo, exec_lo, s34
	s_delay_alu instid0(VALU_DEP_1) | instskip(NEXT) | instid1(VALU_DEP_1)
	v_add_f32_e32 v163, v144, v167
	v_and_b32_e32 v144, 0x7f800000, v163
	s_delay_alu instid0(VALU_DEP_1)
	v_cmp_ne_u32_e32 vcc_lo, 0x7f800000, v144
	v_mov_b32_e32 v144, 0x8000
	s_and_saveexec_b32 s34, vcc_lo
	s_cbranch_execz .LBB4_2858
; %bb.2851:                             ;   in Loop: Header=BB4_1985 Depth=4
	v_mov_b32_e32 v144, 0
	s_mov_b32 s35, exec_lo
	v_cmpx_ne_u32_e32 0, v163
	s_cbranch_execz .LBB4_2857
; %bb.2852:                             ;   in Loop: Header=BB4_1985 Depth=4
	v_bfe_u32 v144, v163, 23, 8
	v_and_b32_e32 v167, 0x7fffff, v163
	s_delay_alu instid0(VALU_DEP_2) | instskip(SKIP_1) | instid1(VALU_DEP_3)
	v_sub_nc_u32_e32 v181, 0x70, v144
	v_cmp_gt_u32_e32 vcc_lo, 0x71, v144
	v_or_b32_e32 v41, 0x800000, v167
	s_delay_alu instid0(VALU_DEP_3) | instskip(SKIP_2) | instid1(VALU_DEP_3)
	v_cndmask_b32_e32 v181, 0, v181, vcc_lo
	v_cmp_eq_u32_e32 vcc_lo, 0, v144
	v_add_nc_u32_e32 v144, 0xffffff91, v144
	v_cndmask_b32_e64 v181, v181, 0x6f, vcc_lo
	v_cndmask_b32_e32 v167, v41, v167, vcc_lo
	s_delay_alu instid0(VALU_DEP_3) | instskip(NEXT) | instid1(VALU_DEP_3)
	v_cndmask_b32_e64 v144, v144, 0xffffff92, vcc_lo
	v_lshl_add_u32 v41, 0x200000, v181, -1
	s_delay_alu instid0(VALU_DEP_3) | instskip(SKIP_1) | instid1(VALU_DEP_4)
	v_lshrrev_b32_e32 v43, v181, v167
	v_lshlrev_b32_e64 v45, v181, 0x100000
	v_add_nc_u32_e32 v181, v181, v144
	s_delay_alu instid0(VALU_DEP_4) | instskip(NEXT) | instid1(VALU_DEP_4)
	v_and_b32_e32 v167, v41, v167
	v_bfe_u32 v44, v43, 21, 1
	s_delay_alu instid0(VALU_DEP_2) | instskip(NEXT) | instid1(VALU_DEP_2)
	v_cmp_eq_u32_e64 s13, v167, v45
	v_add_nc_u32_e32 v41, -1, v44
	s_delay_alu instid0(VALU_DEP_1) | instskip(SKIP_2) | instid1(VALU_DEP_2)
	v_cndmask_b32_e64 v167, 0, v41, s13
	v_lshrrev_b32_e32 v41, 23, v43
	s_mov_b32 s13, exec_lo
	v_add_nc_u32_e32 v167, v167, v43
	s_delay_alu instid0(VALU_DEP_2) | instskip(NEXT) | instid1(VALU_DEP_2)
	v_xor_b32_e32 v41, 1, v41
	v_and_b32_e32 v144, 0x1fffff, v167
	s_delay_alu instid0(VALU_DEP_1) | instskip(NEXT) | instid1(VALU_DEP_3)
	v_add_nc_u32_e32 v167, v144, v43
                                        ; implicit-def: $vgpr144
	v_cmpx_ne_u32_e64 v181, v41
	s_xor_b32 s13, exec_lo, s13
; %bb.2853:                             ;   in Loop: Header=BB4_1985 Depth=4
	s_delay_alu instid0(VALU_DEP_2) | instskip(SKIP_2) | instid1(VALU_DEP_2)
	v_cmp_lt_u32_e32 vcc_lo, 0xffffff, v167
	v_sub_nc_u32_e32 v144, v181, v41
	v_cndmask_b32_e64 v181, 0, 1, vcc_lo
	v_add_co_ci_u32_e32 v144, vcc_lo, 0, v144, vcc_lo
	s_delay_alu instid0(VALU_DEP_2)
	v_lshrrev_b32_e32 v167, v181, v167
; %bb.2854:                             ;   in Loop: Header=BB4_1985 Depth=4
	s_and_not1_saveexec_b32 s13, s13
; %bb.2855:                             ;   in Loop: Header=BB4_1985 Depth=4
	s_delay_alu instid0(VALU_DEP_1)
	v_bfe_u32 v144, v167, 23, 1
; %bb.2856:                             ;   in Loop: Header=BB4_1985 Depth=4
	s_or_b32 exec_lo, exec_lo, s13
	v_lshrrev_b32_e32 v167, 21, v167
	s_delay_alu instid0(VALU_DEP_2) | instskip(SKIP_2) | instid1(VALU_DEP_4)
	v_cmp_gt_i32_e32 vcc_lo, 32, v144
	v_min_i32_e32 v181, 31, v144
	v_lshrrev_b32_e32 v163, 24, v163
	v_cndmask_b32_e32 v167, 3, v167, vcc_lo
	s_delay_alu instid0(VALU_DEP_2) | instskip(NEXT) | instid1(VALU_DEP_2)
	v_and_b32_e32 v163, 0x80, v163
	v_or_b32_e32 v144, v144, v167
	v_and_b32_e32 v41, 3, v167
	s_delay_alu instid0(VALU_DEP_2) | instskip(SKIP_1) | instid1(VALU_DEP_1)
	v_cmp_ne_u32_e32 vcc_lo, 0, v144
	v_lshlrev_b32_e32 v181, 2, v181
	v_and_b32_e32 v181, 0xfc, v181
	s_delay_alu instid0(VALU_DEP_1) | instskip(NEXT) | instid1(VALU_DEP_1)
	v_or3_b32 v163, v163, v181, v41
	v_lshlrev_b32_e32 v163, 8, v163
	s_delay_alu instid0(VALU_DEP_1)
	v_cndmask_b32_e32 v144, 0, v163, vcc_lo
.LBB4_2857:                             ;   in Loop: Header=BB4_1985 Depth=4
	s_or_b32 exec_lo, exec_lo, s35
.LBB4_2858:                             ;   in Loop: Header=BB4_1985 Depth=4
	s_delay_alu instid0(SALU_CYCLE_1) | instskip(SKIP_3) | instid1(VALU_DEP_1)
	s_or_b32 exec_lo, exec_lo, s34
	v_or_b32_e32 v146, v146, v134
	s_mov_b32 s13, 0
	s_mov_b32 s35, exec_lo
                                        ; implicit-def: $sgpr34
	v_and_b32_e32 v163, 0xff, v146
	s_delay_alu instid0(VALU_DEP_1)
	v_cmpx_lt_i16_e64 0x7f, v163
	s_xor_b32 s35, exec_lo, s35
	s_cbranch_execnz .LBB4_3256
; %bb.2859:                             ;   in Loop: Header=BB4_1985 Depth=4
	s_or_saveexec_b32 s35, s35
	v_mov_b32_e32 v134, s34
	s_xor_b32 exec_lo, exec_lo, s35
	s_cbranch_execnz .LBB4_3259
.LBB4_2860:                             ;   in Loop: Header=BB4_1985 Depth=4
	s_or_b32 exec_lo, exec_lo, s35
	v_lshl_or_b32 v146, v146, 16, v149
	s_and_saveexec_b32 s34, s13
	s_cbranch_execz .LBB4_2862
.LBB4_2861:                             ;   in Loop: Header=BB4_1985 Depth=4
	s_delay_alu instid0(VALU_DEP_1) | instskip(SKIP_1) | instid1(VALU_DEP_2)
	v_bfe_u32 v134, v146, 16, 2
	v_lshrrev_b32_e32 v163, 16, v146
	v_clz_i32_u32_e32 v149, v134
	s_delay_alu instid0(VALU_DEP_1) | instskip(NEXT) | instid1(VALU_DEP_1)
	v_min_u32_e32 v149, 32, v149
	v_subrev_nc_u32_e32 v167, 29, v149
	v_sub_nc_u32_e32 v149, 30, v149
	s_delay_alu instid0(VALU_DEP_2) | instskip(SKIP_1) | instid1(VALU_DEP_2)
	v_lshlrev_b32_e32 v163, v167, v163
	v_bfe_u32 v167, v146, 18, 5
	v_and_b32_e32 v163, 3, v163
	s_delay_alu instid0(VALU_DEP_2) | instskip(NEXT) | instid1(VALU_DEP_2)
	v_cmp_eq_u32_e32 vcc_lo, 0, v167
	v_dual_cndmask_b32 v134, v134, v163 :: v_dual_lshlrev_b32 v181, 8, v146
	v_cndmask_b32_e32 v149, v167, v149, vcc_lo
	s_delay_alu instid0(VALU_DEP_2) | instskip(NEXT) | instid1(VALU_DEP_3)
	v_and_b32_e32 v163, 0x80000000, v181
	v_lshlrev_b32_e32 v134, 21, v134
	s_delay_alu instid0(VALU_DEP_3) | instskip(NEXT) | instid1(VALU_DEP_1)
	v_lshl_add_u32 v149, v149, 23, 0x37800000
	v_or3_b32 v134, v163, v149, v134
.LBB4_2862:                             ;   in Loop: Header=BB4_1985 Depth=4
	s_or_b32 exec_lo, exec_lo, s34
	v_lshrrev_b32_e32 v149, 16, v11
	s_mov_b32 s13, 0
	s_mov_b32 s35, exec_lo
                                        ; implicit-def: $sgpr34
	s_delay_alu instid0(VALU_DEP_1) | instskip(NEXT) | instid1(VALU_DEP_1)
	v_and_b32_e32 v167, 0xff, v149
	v_cmpx_lt_i16_e64 0x7f, v167
	s_xor_b32 s35, exec_lo, s35
	s_cbranch_execnz .LBB4_3260
; %bb.2863:                             ;   in Loop: Header=BB4_1985 Depth=4
	s_or_saveexec_b32 s35, s35
	v_mov_b32_e32 v163, s34
	s_xor_b32 exec_lo, exec_lo, s35
	s_cbranch_execnz .LBB4_3263
.LBB4_2864:                             ;   in Loop: Header=BB4_1985 Depth=4
	s_or_b32 exec_lo, exec_lo, s35
	s_and_saveexec_b32 s34, s13
	s_cbranch_execz .LBB4_2866
.LBB4_2865:                             ;   in Loop: Header=BB4_1985 Depth=4
	v_bfe_u32 v163, v11, 16, 2
	v_lshlrev_b32_e32 v41, 8, v11
	s_delay_alu instid0(VALU_DEP_2) | instskip(NEXT) | instid1(VALU_DEP_1)
	v_clz_i32_u32_e32 v167, v163
	v_min_u32_e32 v167, 32, v167
	s_delay_alu instid0(VALU_DEP_1) | instskip(SKIP_1) | instid1(VALU_DEP_2)
	v_subrev_nc_u32_e32 v181, 29, v167
	v_sub_nc_u32_e32 v167, 30, v167
	v_lshlrev_b32_e32 v149, v181, v149
	v_bfe_u32 v181, v11, 18, 5
	s_delay_alu instid0(VALU_DEP_2) | instskip(NEXT) | instid1(VALU_DEP_2)
	v_and_b32_e32 v149, 3, v149
	v_cmp_eq_u32_e32 vcc_lo, 0, v181
	v_cndmask_b32_e32 v167, v181, v167, vcc_lo
	s_delay_alu instid0(VALU_DEP_3) | instskip(SKIP_1) | instid1(VALU_DEP_3)
	v_cndmask_b32_e32 v149, v163, v149, vcc_lo
	v_and_b32_e32 v163, 0x80000000, v41
	v_lshl_add_u32 v167, v167, 23, 0x37800000
	s_delay_alu instid0(VALU_DEP_3) | instskip(NEXT) | instid1(VALU_DEP_1)
	v_lshlrev_b32_e32 v149, 21, v149
	v_or3_b32 v163, v163, v167, v149
.LBB4_2866:                             ;   in Loop: Header=BB4_1985 Depth=4
	s_or_b32 exec_lo, exec_lo, s34
	s_delay_alu instid0(VALU_DEP_1) | instskip(NEXT) | instid1(VALU_DEP_1)
	v_add_f32_e32 v149, v134, v163
	v_and_b32_e32 v134, 0x7f800000, v149
	s_delay_alu instid0(VALU_DEP_1)
	v_cmp_ne_u32_e32 vcc_lo, 0x7f800000, v134
	v_mov_b32_e32 v134, 0x80
	s_and_saveexec_b32 s34, vcc_lo
	s_cbranch_execz .LBB4_2874
; %bb.2867:                             ;   in Loop: Header=BB4_1985 Depth=4
	v_mov_b32_e32 v134, 0
	s_mov_b32 s35, exec_lo
	v_cmpx_ne_u32_e32 0, v149
	s_cbranch_execz .LBB4_2873
; %bb.2868:                             ;   in Loop: Header=BB4_1985 Depth=4
	v_bfe_u32 v134, v149, 23, 8
	v_and_b32_e32 v163, 0x7fffff, v149
	s_delay_alu instid0(VALU_DEP_2) | instskip(SKIP_1) | instid1(VALU_DEP_3)
	v_sub_nc_u32_e32 v167, 0x70, v134
	v_cmp_gt_u32_e32 vcc_lo, 0x71, v134
	v_or_b32_e32 v181, 0x800000, v163
	s_delay_alu instid0(VALU_DEP_3) | instskip(SKIP_2) | instid1(VALU_DEP_3)
	v_cndmask_b32_e32 v167, 0, v167, vcc_lo
	v_cmp_eq_u32_e32 vcc_lo, 0, v134
	v_add_nc_u32_e32 v134, 0xffffff91, v134
	v_cndmask_b32_e64 v167, v167, 0x6f, vcc_lo
	v_cndmask_b32_e32 v163, v181, v163, vcc_lo
	s_delay_alu instid0(VALU_DEP_3) | instskip(NEXT) | instid1(VALU_DEP_3)
	v_cndmask_b32_e64 v134, v134, 0xffffff92, vcc_lo
	v_lshl_add_u32 v181, 0x200000, v167, -1
	s_delay_alu instid0(VALU_DEP_3) | instskip(SKIP_1) | instid1(VALU_DEP_4)
	v_lshrrev_b32_e32 v41, v167, v163
	v_lshlrev_b32_e64 v44, v167, 0x100000
	v_add_nc_u32_e32 v167, v167, v134
	s_delay_alu instid0(VALU_DEP_4) | instskip(NEXT) | instid1(VALU_DEP_4)
	v_and_b32_e32 v163, v181, v163
	v_bfe_u32 v43, v41, 21, 1
	s_delay_alu instid0(VALU_DEP_2) | instskip(NEXT) | instid1(VALU_DEP_2)
	v_cmp_eq_u32_e64 s13, v163, v44
	v_add_nc_u32_e32 v181, -1, v43
	s_delay_alu instid0(VALU_DEP_1) | instskip(SKIP_2) | instid1(VALU_DEP_2)
	v_cndmask_b32_e64 v163, 0, v181, s13
	v_lshrrev_b32_e32 v181, 23, v41
	s_mov_b32 s13, exec_lo
	v_add_nc_u32_e32 v163, v163, v41
	s_delay_alu instid0(VALU_DEP_2) | instskip(NEXT) | instid1(VALU_DEP_2)
	v_xor_b32_e32 v181, 1, v181
	v_and_b32_e32 v134, 0x1fffff, v163
	s_delay_alu instid0(VALU_DEP_1) | instskip(NEXT) | instid1(VALU_DEP_3)
	v_add_nc_u32_e32 v163, v134, v41
                                        ; implicit-def: $vgpr134
	v_cmpx_ne_u32_e64 v167, v181
	s_xor_b32 s13, exec_lo, s13
; %bb.2869:                             ;   in Loop: Header=BB4_1985 Depth=4
	s_delay_alu instid0(VALU_DEP_2) | instskip(SKIP_2) | instid1(VALU_DEP_2)
	v_cmp_lt_u32_e32 vcc_lo, 0xffffff, v163
	v_sub_nc_u32_e32 v134, v167, v181
	v_cndmask_b32_e64 v167, 0, 1, vcc_lo
	v_add_co_ci_u32_e32 v134, vcc_lo, 0, v134, vcc_lo
	s_delay_alu instid0(VALU_DEP_2)
	v_lshrrev_b32_e32 v163, v167, v163
; %bb.2870:                             ;   in Loop: Header=BB4_1985 Depth=4
	s_and_not1_saveexec_b32 s13, s13
; %bb.2871:                             ;   in Loop: Header=BB4_1985 Depth=4
	s_delay_alu instid0(VALU_DEP_1)
	v_bfe_u32 v134, v163, 23, 1
; %bb.2872:                             ;   in Loop: Header=BB4_1985 Depth=4
	s_or_b32 exec_lo, exec_lo, s13
	v_lshrrev_b32_e32 v163, 21, v163
	s_delay_alu instid0(VALU_DEP_2) | instskip(SKIP_2) | instid1(VALU_DEP_3)
	v_min_i32_e32 v167, 31, v134
	v_cmp_gt_i32_e32 vcc_lo, 32, v134
	v_lshrrev_b32_e32 v149, 24, v149
	v_lshlrev_b32_e32 v167, 2, v167
	v_cndmask_b32_e32 v163, 3, v163, vcc_lo
	s_delay_alu instid0(VALU_DEP_3) | instskip(NEXT) | instid1(VALU_DEP_3)
	v_and_b32_e32 v149, 0x80, v149
	v_and_b32_e32 v167, 0xfc, v167
	s_delay_alu instid0(VALU_DEP_3) | instskip(SKIP_1) | instid1(VALU_DEP_2)
	v_and_b32_e32 v181, 3, v163
	v_or_b32_e32 v134, v134, v163
	v_or3_b32 v149, v167, v149, v181
	s_delay_alu instid0(VALU_DEP_2) | instskip(NEXT) | instid1(VALU_DEP_2)
	v_cmp_ne_u32_e32 vcc_lo, 0, v134
	v_cndmask_b32_e32 v134, 0, v149, vcc_lo
.LBB4_2873:                             ;   in Loop: Header=BB4_1985 Depth=4
	s_or_b32 exec_lo, exec_lo, s35
.LBB4_2874:                             ;   in Loop: Header=BB4_1985 Depth=4
	s_delay_alu instid0(SALU_CYCLE_1) | instskip(SKIP_3) | instid1(VALU_DEP_1)
	s_or_b32 exec_lo, exec_lo, s34
	v_lshrrev_b32_e32 v163, 24, v146
	s_mov_b32 s13, 0
	s_mov_b32 s35, exec_lo
                                        ; implicit-def: $sgpr34
	v_cmpx_lt_i16_e64 0x7f, v163
	s_xor_b32 s35, exec_lo, s35
	s_cbranch_execnz .LBB4_3264
; %bb.2875:                             ;   in Loop: Header=BB4_1985 Depth=4
	s_or_saveexec_b32 s35, s35
	v_mov_b32_e32 v149, s34
	s_xor_b32 exec_lo, exec_lo, s35
	s_cbranch_execnz .LBB4_3267
.LBB4_2876:                             ;   in Loop: Header=BB4_1985 Depth=4
	s_or_b32 exec_lo, exec_lo, s35
	s_and_saveexec_b32 s34, s13
	s_cbranch_execz .LBB4_2878
.LBB4_2877:                             ;   in Loop: Header=BB4_1985 Depth=4
	v_bfe_u32 v149, v146, 24, 2
	s_delay_alu instid0(VALU_DEP_1) | instskip(NEXT) | instid1(VALU_DEP_1)
	v_clz_i32_u32_e32 v167, v149
	v_min_u32_e32 v167, 32, v167
	s_delay_alu instid0(VALU_DEP_1) | instskip(SKIP_1) | instid1(VALU_DEP_2)
	v_subrev_nc_u32_e32 v181, 29, v167
	v_sub_nc_u32_e32 v167, 30, v167
	v_lshlrev_b32_e32 v163, v181, v163
	v_bfe_u32 v181, v146, 26, 5
	v_and_b32_e32 v146, 0x80000000, v146
	s_delay_alu instid0(VALU_DEP_3) | instskip(NEXT) | instid1(VALU_DEP_3)
	v_and_b32_e32 v163, 3, v163
	v_cmp_eq_u32_e32 vcc_lo, 0, v181
	v_cndmask_b32_e32 v167, v181, v167, vcc_lo
	s_delay_alu instid0(VALU_DEP_3) | instskip(NEXT) | instid1(VALU_DEP_2)
	v_cndmask_b32_e32 v149, v149, v163, vcc_lo
	v_lshl_add_u32 v163, v167, 23, 0x37800000
	s_delay_alu instid0(VALU_DEP_2) | instskip(NEXT) | instid1(VALU_DEP_1)
	v_lshlrev_b32_e32 v149, 21, v149
	v_or3_b32 v149, v146, v163, v149
.LBB4_2878:                             ;   in Loop: Header=BB4_1985 Depth=4
	s_or_b32 exec_lo, exec_lo, s34
	v_lshrrev_b32_e32 v146, 24, v11
	s_mov_b32 s13, 0
	s_mov_b32 s35, exec_lo
                                        ; implicit-def: $sgpr34
	s_delay_alu instid0(VALU_DEP_1)
	v_cmpx_lt_i16_e64 0x7f, v146
	s_xor_b32 s35, exec_lo, s35
	s_cbranch_execnz .LBB4_3268
; %bb.2879:                             ;   in Loop: Header=BB4_1985 Depth=4
	s_or_saveexec_b32 s35, s35
	v_mov_b32_e32 v163, s34
	s_xor_b32 exec_lo, exec_lo, s35
	s_cbranch_execnz .LBB4_3271
.LBB4_2880:                             ;   in Loop: Header=BB4_1985 Depth=4
	s_or_b32 exec_lo, exec_lo, s35
	s_and_saveexec_b32 s34, s13
	s_cbranch_execz .LBB4_2882
.LBB4_2881:                             ;   in Loop: Header=BB4_1985 Depth=4
	v_bfe_u32 v163, v11, 24, 2
	s_delay_alu instid0(VALU_DEP_1) | instskip(NEXT) | instid1(VALU_DEP_1)
	v_clz_i32_u32_e32 v167, v163
	v_min_u32_e32 v167, 32, v167
	s_delay_alu instid0(VALU_DEP_1) | instskip(SKIP_1) | instid1(VALU_DEP_2)
	v_subrev_nc_u32_e32 v181, 29, v167
	v_sub_nc_u32_e32 v167, 30, v167
	v_lshlrev_b32_e32 v146, v181, v146
	v_bfe_u32 v181, v11, 26, 5
	v_and_b32_e32 v11, 0x80000000, v11
	s_delay_alu instid0(VALU_DEP_2) | instskip(NEXT) | instid1(VALU_DEP_4)
	v_cmp_eq_u32_e32 vcc_lo, 0, v181
	v_dual_cndmask_b32 v167, v181, v167 :: v_dual_and_b32 v146, 3, v146
	s_delay_alu instid0(VALU_DEP_1) | instskip(NEXT) | instid1(VALU_DEP_2)
	v_cndmask_b32_e32 v146, v163, v146, vcc_lo
	v_lshl_add_u32 v163, v167, 23, 0x37800000
	s_delay_alu instid0(VALU_DEP_2) | instskip(NEXT) | instid1(VALU_DEP_1)
	v_lshlrev_b32_e32 v146, 21, v146
	v_or3_b32 v163, v11, v163, v146
.LBB4_2882:                             ;   in Loop: Header=BB4_1985 Depth=4
	s_or_b32 exec_lo, exec_lo, s34
	s_delay_alu instid0(VALU_DEP_1) | instskip(NEXT) | instid1(VALU_DEP_1)
	v_add_f32_e32 v11, v149, v163
	v_and_b32_e32 v146, 0x7f800000, v11
	s_delay_alu instid0(VALU_DEP_1)
	v_cmp_ne_u32_e32 vcc_lo, 0x7f800000, v146
	v_mov_b32_e32 v146, 0x8000
	s_and_saveexec_b32 s34, vcc_lo
	s_cbranch_execz .LBB4_1984
; %bb.2883:                             ;   in Loop: Header=BB4_1985 Depth=4
	v_mov_b32_e32 v146, 0
	s_mov_b32 s35, exec_lo
	v_cmpx_ne_u32_e32 0, v11
	s_cbranch_execz .LBB4_1983
; %bb.2884:                             ;   in Loop: Header=BB4_1985 Depth=4
	v_bfe_u32 v146, v11, 23, 8
	v_and_b32_e32 v149, 0x7fffff, v11
	s_delay_alu instid0(VALU_DEP_2) | instskip(SKIP_1) | instid1(VALU_DEP_3)
	v_sub_nc_u32_e32 v163, 0x70, v146
	v_cmp_gt_u32_e32 vcc_lo, 0x71, v146
	v_or_b32_e32 v167, 0x800000, v149
	s_delay_alu instid0(VALU_DEP_3) | instskip(SKIP_2) | instid1(VALU_DEP_3)
	v_cndmask_b32_e32 v163, 0, v163, vcc_lo
	v_cmp_eq_u32_e32 vcc_lo, 0, v146
	v_add_nc_u32_e32 v146, 0xffffff91, v146
	v_cndmask_b32_e64 v163, v163, 0x6f, vcc_lo
	v_cndmask_b32_e32 v149, v167, v149, vcc_lo
	s_delay_alu instid0(VALU_DEP_3) | instskip(NEXT) | instid1(VALU_DEP_3)
	v_cndmask_b32_e64 v146, v146, 0xffffff92, vcc_lo
	v_lshl_add_u32 v167, 0x200000, v163, -1
	s_delay_alu instid0(VALU_DEP_3) | instskip(SKIP_1) | instid1(VALU_DEP_4)
	v_lshrrev_b32_e32 v181, v163, v149
	v_lshlrev_b32_e64 v43, v163, 0x100000
	v_add_nc_u32_e32 v163, v163, v146
	s_delay_alu instid0(VALU_DEP_4) | instskip(NEXT) | instid1(VALU_DEP_4)
	v_and_b32_e32 v149, v167, v149
	v_bfe_u32 v41, v181, 21, 1
	s_delay_alu instid0(VALU_DEP_2) | instskip(NEXT) | instid1(VALU_DEP_2)
	v_cmp_eq_u32_e64 s13, v149, v43
	v_add_nc_u32_e32 v167, -1, v41
	s_delay_alu instid0(VALU_DEP_1) | instskip(SKIP_2) | instid1(VALU_DEP_2)
	v_cndmask_b32_e64 v149, 0, v167, s13
	v_lshrrev_b32_e32 v167, 23, v181
	s_mov_b32 s13, exec_lo
	v_add_nc_u32_e32 v149, v149, v181
	s_delay_alu instid0(VALU_DEP_2) | instskip(NEXT) | instid1(VALU_DEP_2)
	v_xor_b32_e32 v167, 1, v167
	v_and_b32_e32 v146, 0x1fffff, v149
	s_delay_alu instid0(VALU_DEP_1) | instskip(NEXT) | instid1(VALU_DEP_3)
	v_add_nc_u32_e32 v149, v146, v181
                                        ; implicit-def: $vgpr146
	v_cmpx_ne_u32_e64 v163, v167
	s_xor_b32 s13, exec_lo, s13
; %bb.2885:                             ;   in Loop: Header=BB4_1985 Depth=4
	s_delay_alu instid0(VALU_DEP_2) | instskip(SKIP_2) | instid1(VALU_DEP_2)
	v_cmp_lt_u32_e32 vcc_lo, 0xffffff, v149
	v_sub_nc_u32_e32 v146, v163, v167
	v_cndmask_b32_e64 v163, 0, 1, vcc_lo
	v_add_co_ci_u32_e32 v146, vcc_lo, 0, v146, vcc_lo
	s_delay_alu instid0(VALU_DEP_2)
	v_lshrrev_b32_e32 v149, v163, v149
; %bb.2886:                             ;   in Loop: Header=BB4_1985 Depth=4
	s_and_not1_saveexec_b32 s13, s13
	s_cbranch_execz .LBB4_1982
; %bb.2887:                             ;   in Loop: Header=BB4_1985 Depth=4
	s_delay_alu instid0(VALU_DEP_1)
	v_bfe_u32 v146, v149, 23, 1
	s_branch .LBB4_1982
.LBB4_2888:                             ;   in Loop: Header=BB4_1985 Depth=4
	s_mov_b32 s13, -1
	s_mov_b32 s37, exec_lo
                                        ; implicit-def: $sgpr35
	v_cmpx_eq_u16_e32 0x80, v13
; %bb.2889:                             ;   in Loop: Header=BB4_1985 Depth=4
	s_mov_b32 s35, 0x7f800001
	s_xor_b32 s13, exec_lo, -1
; %bb.2890:                             ;   in Loop: Header=BB4_1985 Depth=4
	s_or_b32 exec_lo, exec_lo, s37
	s_delay_alu instid0(SALU_CYCLE_1)
	s_and_b32 s13, s13, exec_lo
                                        ; implicit-def: $vgpr13
	s_or_saveexec_b32 s36, s36
	v_mov_b32_e32 v12, s35
	s_xor_b32 exec_lo, exec_lo, s36
	s_cbranch_execz .LBB4_1996
.LBB4_2891:                             ;   in Loop: Header=BB4_1985 Depth=4
	v_cmp_ne_u16_e32 vcc_lo, 0, v13
	v_mov_b32_e32 v12, 0
	s_and_not1_b32 s13, s13, exec_lo
	s_and_b32 vcc_lo, vcc_lo, exec_lo
	s_delay_alu instid0(SALU_CYCLE_1)
	s_or_b32 s13, s13, vcc_lo
	s_or_b32 exec_lo, exec_lo, s36
	s_and_saveexec_b32 s35, s13
	s_cbranch_execnz .LBB4_1997
	s_branch .LBB4_1998
.LBB4_2892:                             ;   in Loop: Header=BB4_1985 Depth=4
	s_mov_b32 s13, -1
	s_mov_b32 s37, exec_lo
                                        ; implicit-def: $sgpr35
	v_cmpx_eq_u16_e32 0x80, v12
; %bb.2893:                             ;   in Loop: Header=BB4_1985 Depth=4
	s_mov_b32 s35, 0x7f800001
	s_xor_b32 s13, exec_lo, -1
; %bb.2894:                             ;   in Loop: Header=BB4_1985 Depth=4
	s_or_b32 exec_lo, exec_lo, s37
	s_delay_alu instid0(SALU_CYCLE_1)
	s_and_b32 s13, s13, exec_lo
	s_or_saveexec_b32 s36, s36
	v_mov_b32_e32 v13, s35
	s_xor_b32 exec_lo, exec_lo, s36
	s_cbranch_execz .LBB4_2008
.LBB4_2895:                             ;   in Loop: Header=BB4_1985 Depth=4
	v_cmp_ne_u16_e32 vcc_lo, 0, v12
	v_mov_b32_e32 v13, 0
	s_and_not1_b32 s13, s13, exec_lo
	s_and_b32 vcc_lo, vcc_lo, exec_lo
	s_delay_alu instid0(SALU_CYCLE_1)
	s_or_b32 s13, s13, vcc_lo
	s_or_b32 exec_lo, exec_lo, s36
	s_and_saveexec_b32 s35, s13
	s_cbranch_execnz .LBB4_2009
	s_branch .LBB4_2010
.LBB4_2896:                             ;   in Loop: Header=BB4_1985 Depth=4
	s_mov_b32 s13, -1
	s_mov_b32 s37, exec_lo
                                        ; implicit-def: $sgpr35
	v_cmpx_eq_u16_e32 0x80, v14
; %bb.2897:                             ;   in Loop: Header=BB4_1985 Depth=4
	s_mov_b32 s35, 0x7f800001
	s_xor_b32 s13, exec_lo, -1
; %bb.2898:                             ;   in Loop: Header=BB4_1985 Depth=4
	s_or_b32 exec_lo, exec_lo, s37
	s_delay_alu instid0(SALU_CYCLE_1)
	s_and_b32 s13, s13, exec_lo
                                        ; implicit-def: $vgpr14
	s_or_saveexec_b32 s36, s36
	v_mov_b32_e32 v13, s35
	s_xor_b32 exec_lo, exec_lo, s36
	s_cbranch_execz .LBB4_2020
.LBB4_2899:                             ;   in Loop: Header=BB4_1985 Depth=4
	v_cmp_ne_u16_e32 vcc_lo, 0, v14
	v_mov_b32_e32 v13, 0
	s_and_not1_b32 s13, s13, exec_lo
	s_and_b32 vcc_lo, vcc_lo, exec_lo
	s_delay_alu instid0(SALU_CYCLE_1)
	s_or_b32 s13, s13, vcc_lo
	s_or_b32 exec_lo, exec_lo, s36
	s_and_saveexec_b32 s35, s13
	s_cbranch_execnz .LBB4_2021
	s_branch .LBB4_2022
.LBB4_2900:                             ;   in Loop: Header=BB4_1985 Depth=4
	s_mov_b32 s13, -1
	s_mov_b32 s37, exec_lo
                                        ; implicit-def: $sgpr35
	v_cmpx_eq_u16_e32 0x80, v12
; %bb.2901:                             ;   in Loop: Header=BB4_1985 Depth=4
	s_mov_b32 s35, 0x7f800001
	s_xor_b32 s13, exec_lo, -1
; %bb.2902:                             ;   in Loop: Header=BB4_1985 Depth=4
	s_or_b32 exec_lo, exec_lo, s37
	s_delay_alu instid0(SALU_CYCLE_1)
	s_and_b32 s13, s13, exec_lo
	s_or_saveexec_b32 s36, s36
	v_mov_b32_e32 v13, s35
	s_xor_b32 exec_lo, exec_lo, s36
	s_cbranch_execz .LBB4_2032
.LBB4_2903:                             ;   in Loop: Header=BB4_1985 Depth=4
	v_cmp_ne_u16_e32 vcc_lo, 0, v12
	v_mov_b32_e32 v13, 0
	s_and_not1_b32 s13, s13, exec_lo
	s_and_b32 vcc_lo, vcc_lo, exec_lo
	s_delay_alu instid0(SALU_CYCLE_1)
	s_or_b32 s13, s13, vcc_lo
	s_or_b32 exec_lo, exec_lo, s36
	s_and_saveexec_b32 s35, s13
	s_cbranch_execnz .LBB4_2033
	s_branch .LBB4_2034
.LBB4_2904:                             ;   in Loop: Header=BB4_1985 Depth=4
	s_mov_b32 s13, -1
	s_mov_b32 s37, exec_lo
                                        ; implicit-def: $sgpr35
	v_cmpx_eq_u16_e32 0x80, v12
; %bb.2905:                             ;   in Loop: Header=BB4_1985 Depth=4
	s_mov_b32 s35, 0x7f800001
	s_xor_b32 s13, exec_lo, -1
; %bb.2906:                             ;   in Loop: Header=BB4_1985 Depth=4
	s_or_b32 exec_lo, exec_lo, s37
	s_delay_alu instid0(SALU_CYCLE_1)
	s_and_b32 s13, s13, exec_lo
                                        ; implicit-def: $vgpr12
	s_or_saveexec_b32 s36, s36
	v_mov_b32_e32 v8, s35
	s_xor_b32 exec_lo, exec_lo, s36
	s_cbranch_execz .LBB4_2044
.LBB4_2907:                             ;   in Loop: Header=BB4_1985 Depth=4
	v_cmp_ne_u16_e32 vcc_lo, 0, v12
	v_mov_b32_e32 v8, 0
	s_and_not1_b32 s13, s13, exec_lo
	s_and_b32 vcc_lo, vcc_lo, exec_lo
	s_delay_alu instid0(SALU_CYCLE_1)
	s_or_b32 s13, s13, vcc_lo
	s_or_b32 exec_lo, exec_lo, s36
	s_and_saveexec_b32 s35, s13
	s_cbranch_execnz .LBB4_2045
	s_branch .LBB4_2046
.LBB4_2908:                             ;   in Loop: Header=BB4_1985 Depth=4
	s_mov_b32 s13, -1
	s_mov_b32 s37, exec_lo
                                        ; implicit-def: $sgpr35
	v_cmpx_eq_u16_e32 0x80, v8
; %bb.2909:                             ;   in Loop: Header=BB4_1985 Depth=4
	s_mov_b32 s35, 0x7f800001
	s_xor_b32 s13, exec_lo, -1
; %bb.2910:                             ;   in Loop: Header=BB4_1985 Depth=4
	s_or_b32 exec_lo, exec_lo, s37
	s_delay_alu instid0(SALU_CYCLE_1)
	s_and_b32 s13, s13, exec_lo
	s_or_saveexec_b32 s36, s36
	v_mov_b32_e32 v12, s35
	s_xor_b32 exec_lo, exec_lo, s36
	s_cbranch_execz .LBB4_2056
.LBB4_2911:                             ;   in Loop: Header=BB4_1985 Depth=4
	v_cmp_ne_u16_e32 vcc_lo, 0, v8
	v_mov_b32_e32 v12, 0
	s_and_not1_b32 s13, s13, exec_lo
	s_and_b32 vcc_lo, vcc_lo, exec_lo
	s_delay_alu instid0(SALU_CYCLE_1)
	s_or_b32 s13, s13, vcc_lo
	s_or_b32 exec_lo, exec_lo, s36
	s_and_saveexec_b32 s35, s13
	s_cbranch_execnz .LBB4_2057
	s_branch .LBB4_2058
.LBB4_2912:                             ;   in Loop: Header=BB4_1985 Depth=4
	s_mov_b32 s13, -1
	s_mov_b32 s37, exec_lo
                                        ; implicit-def: $sgpr35
	v_cmpx_eq_u16_e32 0x80, v13
; %bb.2913:                             ;   in Loop: Header=BB4_1985 Depth=4
	s_mov_b32 s35, 0x7f800001
	s_xor_b32 s13, exec_lo, -1
; %bb.2914:                             ;   in Loop: Header=BB4_1985 Depth=4
	s_or_b32 exec_lo, exec_lo, s37
	s_delay_alu instid0(SALU_CYCLE_1)
	s_and_b32 s13, s13, exec_lo
                                        ; implicit-def: $vgpr13
	s_or_saveexec_b32 s36, s36
	v_mov_b32_e32 v12, s35
	s_xor_b32 exec_lo, exec_lo, s36
	s_cbranch_execz .LBB4_2068
.LBB4_2915:                             ;   in Loop: Header=BB4_1985 Depth=4
	v_cmp_ne_u16_e32 vcc_lo, 0, v13
	v_mov_b32_e32 v12, 0
	s_and_not1_b32 s13, s13, exec_lo
	s_and_b32 vcc_lo, vcc_lo, exec_lo
	s_delay_alu instid0(SALU_CYCLE_1)
	s_or_b32 s13, s13, vcc_lo
	s_or_b32 exec_lo, exec_lo, s36
	s_and_saveexec_b32 s35, s13
	s_cbranch_execnz .LBB4_2069
	s_branch .LBB4_2070
.LBB4_2916:                             ;   in Loop: Header=BB4_1985 Depth=4
	s_mov_b32 s13, -1
	s_mov_b32 s37, exec_lo
                                        ; implicit-def: $sgpr35
	v_cmpx_eq_u16_e32 0x80, v8
; %bb.2917:                             ;   in Loop: Header=BB4_1985 Depth=4
	s_mov_b32 s35, 0x7f800001
	s_xor_b32 s13, exec_lo, -1
; %bb.2918:                             ;   in Loop: Header=BB4_1985 Depth=4
	s_or_b32 exec_lo, exec_lo, s37
	s_delay_alu instid0(SALU_CYCLE_1)
	s_and_b32 s13, s13, exec_lo
	s_or_saveexec_b32 s36, s36
	v_mov_b32_e32 v12, s35
	s_xor_b32 exec_lo, exec_lo, s36
	s_cbranch_execz .LBB4_2080
.LBB4_2919:                             ;   in Loop: Header=BB4_1985 Depth=4
	v_cmp_ne_u16_e32 vcc_lo, 0, v8
	v_mov_b32_e32 v12, 0
	s_and_not1_b32 s13, s13, exec_lo
	s_and_b32 vcc_lo, vcc_lo, exec_lo
	s_delay_alu instid0(SALU_CYCLE_1)
	s_or_b32 s13, s13, vcc_lo
	s_or_b32 exec_lo, exec_lo, s36
	s_and_saveexec_b32 s35, s13
	s_cbranch_execnz .LBB4_2081
	s_branch .LBB4_2082
.LBB4_2920:                             ;   in Loop: Header=BB4_1985 Depth=4
	s_mov_b32 s13, -1
	s_mov_b32 s37, exec_lo
                                        ; implicit-def: $sgpr35
	v_cmpx_eq_u16_e32 0x80, v9
; %bb.2921:                             ;   in Loop: Header=BB4_1985 Depth=4
	s_mov_b32 s35, 0x7f800001
	s_xor_b32 s13, exec_lo, -1
; %bb.2922:                             ;   in Loop: Header=BB4_1985 Depth=4
	s_or_b32 exec_lo, exec_lo, s37
	s_delay_alu instid0(SALU_CYCLE_1)
	s_and_b32 s13, s13, exec_lo
                                        ; implicit-def: $vgpr9
	s_or_saveexec_b32 s36, s36
	v_mov_b32_e32 v8, s35
	s_xor_b32 exec_lo, exec_lo, s36
	s_cbranch_execz .LBB4_2092
.LBB4_2923:                             ;   in Loop: Header=BB4_1985 Depth=4
	v_cmp_ne_u16_e32 vcc_lo, 0, v9
	v_mov_b32_e32 v8, 0
	s_and_not1_b32 s13, s13, exec_lo
	s_and_b32 vcc_lo, vcc_lo, exec_lo
	s_delay_alu instid0(SALU_CYCLE_1)
	s_or_b32 s13, s13, vcc_lo
	s_or_b32 exec_lo, exec_lo, s36
	s_and_saveexec_b32 s35, s13
	s_cbranch_execnz .LBB4_2093
	s_branch .LBB4_2094
.LBB4_2924:                             ;   in Loop: Header=BB4_1985 Depth=4
	s_mov_b32 s13, -1
	s_mov_b32 s37, exec_lo
                                        ; implicit-def: $sgpr35
	v_cmpx_eq_u16_e32 0x80, v8
; %bb.2925:                             ;   in Loop: Header=BB4_1985 Depth=4
	s_mov_b32 s35, 0x7f800001
	s_xor_b32 s13, exec_lo, -1
; %bb.2926:                             ;   in Loop: Header=BB4_1985 Depth=4
	s_or_b32 exec_lo, exec_lo, s37
	s_delay_alu instid0(SALU_CYCLE_1)
	s_and_b32 s13, s13, exec_lo
	s_or_saveexec_b32 s36, s36
	v_mov_b32_e32 v9, s35
	s_xor_b32 exec_lo, exec_lo, s36
	s_cbranch_execz .LBB4_2104
.LBB4_2927:                             ;   in Loop: Header=BB4_1985 Depth=4
	v_cmp_ne_u16_e32 vcc_lo, 0, v8
	v_mov_b32_e32 v9, 0
	s_and_not1_b32 s13, s13, exec_lo
	s_and_b32 vcc_lo, vcc_lo, exec_lo
	s_delay_alu instid0(SALU_CYCLE_1)
	s_or_b32 s13, s13, vcc_lo
	s_or_b32 exec_lo, exec_lo, s36
	s_and_saveexec_b32 s35, s13
	s_cbranch_execnz .LBB4_2105
	s_branch .LBB4_2106
.LBB4_2928:                             ;   in Loop: Header=BB4_1985 Depth=4
	s_mov_b32 s13, -1
	s_mov_b32 s37, exec_lo
                                        ; implicit-def: $sgpr35
	v_cmpx_eq_u16_e32 0x80, v12
; %bb.2929:                             ;   in Loop: Header=BB4_1985 Depth=4
	s_mov_b32 s35, 0x7f800001
	s_xor_b32 s13, exec_lo, -1
; %bb.2930:                             ;   in Loop: Header=BB4_1985 Depth=4
	s_or_b32 exec_lo, exec_lo, s37
	s_delay_alu instid0(SALU_CYCLE_1)
	s_and_b32 s13, s13, exec_lo
                                        ; implicit-def: $vgpr12
	s_or_saveexec_b32 s36, s36
	v_mov_b32_e32 v9, s35
	s_xor_b32 exec_lo, exec_lo, s36
	s_cbranch_execz .LBB4_2116
.LBB4_2931:                             ;   in Loop: Header=BB4_1985 Depth=4
	v_cmp_ne_u16_e32 vcc_lo, 0, v12
	v_mov_b32_e32 v9, 0
	s_and_not1_b32 s13, s13, exec_lo
	s_and_b32 vcc_lo, vcc_lo, exec_lo
	s_delay_alu instid0(SALU_CYCLE_1)
	s_or_b32 s13, s13, vcc_lo
	s_or_b32 exec_lo, exec_lo, s36
	s_and_saveexec_b32 s35, s13
	s_cbranch_execnz .LBB4_2117
	s_branch .LBB4_2118
.LBB4_2932:                             ;   in Loop: Header=BB4_1985 Depth=4
	s_mov_b32 s13, -1
	s_mov_b32 s37, exec_lo
                                        ; implicit-def: $sgpr35
	v_cmpx_eq_u16_e32 0x80, v8
; %bb.2933:                             ;   in Loop: Header=BB4_1985 Depth=4
	s_mov_b32 s35, 0x7f800001
	s_xor_b32 s13, exec_lo, -1
; %bb.2934:                             ;   in Loop: Header=BB4_1985 Depth=4
	s_or_b32 exec_lo, exec_lo, s37
	s_delay_alu instid0(SALU_CYCLE_1)
	s_and_b32 s13, s13, exec_lo
	s_or_saveexec_b32 s36, s36
	v_mov_b32_e32 v9, s35
	s_xor_b32 exec_lo, exec_lo, s36
	s_cbranch_execz .LBB4_2128
.LBB4_2935:                             ;   in Loop: Header=BB4_1985 Depth=4
	v_cmp_ne_u16_e32 vcc_lo, 0, v8
	v_mov_b32_e32 v9, 0
	s_and_not1_b32 s13, s13, exec_lo
	s_and_b32 vcc_lo, vcc_lo, exec_lo
	s_delay_alu instid0(SALU_CYCLE_1)
	s_or_b32 s13, s13, vcc_lo
	s_or_b32 exec_lo, exec_lo, s36
	s_and_saveexec_b32 s35, s13
	s_cbranch_execnz .LBB4_2129
	s_branch .LBB4_2130
.LBB4_2936:                             ;   in Loop: Header=BB4_1985 Depth=4
	s_mov_b32 s13, -1
	s_mov_b32 s37, exec_lo
                                        ; implicit-def: $sgpr35
	v_cmpx_eq_u16_e32 0x80, v9
; %bb.2937:                             ;   in Loop: Header=BB4_1985 Depth=4
	s_mov_b32 s35, 0x7f800001
	s_xor_b32 s13, exec_lo, -1
; %bb.2938:                             ;   in Loop: Header=BB4_1985 Depth=4
	s_or_b32 exec_lo, exec_lo, s37
	s_delay_alu instid0(SALU_CYCLE_1)
	s_and_b32 s13, s13, exec_lo
                                        ; implicit-def: $vgpr9
	s_or_saveexec_b32 s36, s36
	v_mov_b32_e32 v8, s35
	s_xor_b32 exec_lo, exec_lo, s36
	s_cbranch_execz .LBB4_2140
.LBB4_2939:                             ;   in Loop: Header=BB4_1985 Depth=4
	v_cmp_ne_u16_e32 vcc_lo, 0, v9
	v_mov_b32_e32 v8, 0
	s_and_not1_b32 s13, s13, exec_lo
	s_and_b32 vcc_lo, vcc_lo, exec_lo
	s_delay_alu instid0(SALU_CYCLE_1)
	s_or_b32 s13, s13, vcc_lo
	s_or_b32 exec_lo, exec_lo, s36
	s_and_saveexec_b32 s35, s13
	s_cbranch_execnz .LBB4_2141
	s_branch .LBB4_2142
.LBB4_2940:                             ;   in Loop: Header=BB4_1985 Depth=4
	s_mov_b32 s13, -1
	s_mov_b32 s37, exec_lo
                                        ; implicit-def: $sgpr35
	v_cmpx_eq_u16_e32 0x80, v8
; %bb.2941:                             ;   in Loop: Header=BB4_1985 Depth=4
	s_mov_b32 s35, 0x7f800001
	s_xor_b32 s13, exec_lo, -1
; %bb.2942:                             ;   in Loop: Header=BB4_1985 Depth=4
	s_or_b32 exec_lo, exec_lo, s37
	s_delay_alu instid0(SALU_CYCLE_1)
	s_and_b32 s13, s13, exec_lo
	s_or_saveexec_b32 s36, s36
	v_mov_b32_e32 v9, s35
	s_xor_b32 exec_lo, exec_lo, s36
	s_cbranch_execz .LBB4_2152
.LBB4_2943:                             ;   in Loop: Header=BB4_1985 Depth=4
	v_cmp_ne_u16_e32 vcc_lo, 0, v8
	v_mov_b32_e32 v9, 0
	s_and_not1_b32 s13, s13, exec_lo
	s_and_b32 vcc_lo, vcc_lo, exec_lo
	s_delay_alu instid0(SALU_CYCLE_1)
	s_or_b32 s13, s13, vcc_lo
	s_or_b32 exec_lo, exec_lo, s36
	s_and_saveexec_b32 s35, s13
	s_cbranch_execnz .LBB4_2153
	s_branch .LBB4_2154
.LBB4_2944:                             ;   in Loop: Header=BB4_1985 Depth=4
	s_mov_b32 s13, -1
	s_mov_b32 s37, exec_lo
                                        ; implicit-def: $sgpr35
	v_cmpx_eq_u16_e32 0x80, v10
; %bb.2945:                             ;   in Loop: Header=BB4_1985 Depth=4
	s_mov_b32 s35, 0x7f800001
	s_xor_b32 s13, exec_lo, -1
; %bb.2946:                             ;   in Loop: Header=BB4_1985 Depth=4
	s_or_b32 exec_lo, exec_lo, s37
	s_delay_alu instid0(SALU_CYCLE_1)
	s_and_b32 s13, s13, exec_lo
                                        ; implicit-def: $vgpr10
	s_or_saveexec_b32 s36, s36
	v_mov_b32_e32 v9, s35
	s_xor_b32 exec_lo, exec_lo, s36
	s_cbranch_execz .LBB4_2164
.LBB4_2947:                             ;   in Loop: Header=BB4_1985 Depth=4
	v_cmp_ne_u16_e32 vcc_lo, 0, v10
	v_mov_b32_e32 v9, 0
	s_and_not1_b32 s13, s13, exec_lo
	s_and_b32 vcc_lo, vcc_lo, exec_lo
	s_delay_alu instid0(SALU_CYCLE_1)
	s_or_b32 s13, s13, vcc_lo
	s_or_b32 exec_lo, exec_lo, s36
	s_and_saveexec_b32 s35, s13
	s_cbranch_execnz .LBB4_2165
	s_branch .LBB4_2166
.LBB4_2948:                             ;   in Loop: Header=BB4_1985 Depth=4
	s_mov_b32 s13, -1
	s_mov_b32 s37, exec_lo
                                        ; implicit-def: $sgpr35
	v_cmpx_eq_u16_e32 0x80, v8
; %bb.2949:                             ;   in Loop: Header=BB4_1985 Depth=4
	s_mov_b32 s35, 0x7f800001
	s_xor_b32 s13, exec_lo, -1
; %bb.2950:                             ;   in Loop: Header=BB4_1985 Depth=4
	s_or_b32 exec_lo, exec_lo, s37
	s_delay_alu instid0(SALU_CYCLE_1)
	s_and_b32 s13, s13, exec_lo
	s_or_saveexec_b32 s36, s36
	v_mov_b32_e32 v9, s35
	s_xor_b32 exec_lo, exec_lo, s36
	s_cbranch_execz .LBB4_2176
.LBB4_2951:                             ;   in Loop: Header=BB4_1985 Depth=4
	v_cmp_ne_u16_e32 vcc_lo, 0, v8
	v_mov_b32_e32 v9, 0
	s_and_not1_b32 s13, s13, exec_lo
	s_and_b32 vcc_lo, vcc_lo, exec_lo
	s_delay_alu instid0(SALU_CYCLE_1)
	s_or_b32 s13, s13, vcc_lo
	s_or_b32 exec_lo, exec_lo, s36
	s_and_saveexec_b32 s35, s13
	s_cbranch_execnz .LBB4_2177
	s_branch .LBB4_2178
.LBB4_2952:                             ;   in Loop: Header=BB4_1985 Depth=4
	s_mov_b32 s13, -1
	s_mov_b32 s37, exec_lo
                                        ; implicit-def: $sgpr35
	v_cmpx_eq_u16_e32 0x80, v13
; %bb.2953:                             ;   in Loop: Header=BB4_1985 Depth=4
	s_mov_b32 s35, 0x7f800001
	s_xor_b32 s13, exec_lo, -1
; %bb.2954:                             ;   in Loop: Header=BB4_1985 Depth=4
	s_or_b32 exec_lo, exec_lo, s37
	s_delay_alu instid0(SALU_CYCLE_1)
	s_and_b32 s13, s13, exec_lo
                                        ; implicit-def: $vgpr13
	s_or_saveexec_b32 s36, s36
	v_mov_b32_e32 v12, s35
	s_xor_b32 exec_lo, exec_lo, s36
	s_cbranch_execz .LBB4_2188
.LBB4_2955:                             ;   in Loop: Header=BB4_1985 Depth=4
	v_cmp_ne_u16_e32 vcc_lo, 0, v13
	v_mov_b32_e32 v12, 0
	s_and_not1_b32 s13, s13, exec_lo
	s_and_b32 vcc_lo, vcc_lo, exec_lo
	s_delay_alu instid0(SALU_CYCLE_1)
	s_or_b32 s13, s13, vcc_lo
	s_or_b32 exec_lo, exec_lo, s36
	s_and_saveexec_b32 s35, s13
	s_cbranch_execnz .LBB4_2189
	s_branch .LBB4_2190
.LBB4_2956:                             ;   in Loop: Header=BB4_1985 Depth=4
	s_mov_b32 s13, -1
	s_mov_b32 s37, exec_lo
                                        ; implicit-def: $sgpr35
	v_cmpx_eq_u16_e32 0x80, v12
; %bb.2957:                             ;   in Loop: Header=BB4_1985 Depth=4
	s_mov_b32 s35, 0x7f800001
	s_xor_b32 s13, exec_lo, -1
; %bb.2958:                             ;   in Loop: Header=BB4_1985 Depth=4
	s_or_b32 exec_lo, exec_lo, s37
	s_delay_alu instid0(SALU_CYCLE_1)
	s_and_b32 s13, s13, exec_lo
	s_or_saveexec_b32 s36, s36
	v_mov_b32_e32 v13, s35
	s_xor_b32 exec_lo, exec_lo, s36
	s_cbranch_execz .LBB4_2200
.LBB4_2959:                             ;   in Loop: Header=BB4_1985 Depth=4
	v_cmp_ne_u16_e32 vcc_lo, 0, v12
	v_mov_b32_e32 v13, 0
	s_and_not1_b32 s13, s13, exec_lo
	s_and_b32 vcc_lo, vcc_lo, exec_lo
	s_delay_alu instid0(SALU_CYCLE_1)
	s_or_b32 s13, s13, vcc_lo
	s_or_b32 exec_lo, exec_lo, s36
	s_and_saveexec_b32 s35, s13
	s_cbranch_execnz .LBB4_2201
	s_branch .LBB4_2202
.LBB4_2960:                             ;   in Loop: Header=BB4_1985 Depth=4
	s_mov_b32 s13, -1
	s_mov_b32 s37, exec_lo
                                        ; implicit-def: $sgpr35
	v_cmpx_eq_u16_e32 0x80, v14
; %bb.2961:                             ;   in Loop: Header=BB4_1985 Depth=4
	s_mov_b32 s35, 0x7f800001
	s_xor_b32 s13, exec_lo, -1
; %bb.2962:                             ;   in Loop: Header=BB4_1985 Depth=4
	s_or_b32 exec_lo, exec_lo, s37
	s_delay_alu instid0(SALU_CYCLE_1)
	s_and_b32 s13, s13, exec_lo
                                        ; implicit-def: $vgpr14
	s_or_saveexec_b32 s36, s36
	v_mov_b32_e32 v13, s35
	s_xor_b32 exec_lo, exec_lo, s36
	s_cbranch_execz .LBB4_2212
.LBB4_2963:                             ;   in Loop: Header=BB4_1985 Depth=4
	v_cmp_ne_u16_e32 vcc_lo, 0, v14
	v_mov_b32_e32 v13, 0
	s_and_not1_b32 s13, s13, exec_lo
	s_and_b32 vcc_lo, vcc_lo, exec_lo
	s_delay_alu instid0(SALU_CYCLE_1)
	s_or_b32 s13, s13, vcc_lo
	s_or_b32 exec_lo, exec_lo, s36
	s_and_saveexec_b32 s35, s13
	s_cbranch_execnz .LBB4_2213
	s_branch .LBB4_2214
.LBB4_2964:                             ;   in Loop: Header=BB4_1985 Depth=4
	s_mov_b32 s13, -1
	s_mov_b32 s37, exec_lo
                                        ; implicit-def: $sgpr35
	v_cmpx_eq_u16_e32 0x80, v12
; %bb.2965:                             ;   in Loop: Header=BB4_1985 Depth=4
	s_mov_b32 s35, 0x7f800001
	s_xor_b32 s13, exec_lo, -1
; %bb.2966:                             ;   in Loop: Header=BB4_1985 Depth=4
	s_or_b32 exec_lo, exec_lo, s37
	s_delay_alu instid0(SALU_CYCLE_1)
	s_and_b32 s13, s13, exec_lo
	s_or_saveexec_b32 s36, s36
	v_mov_b32_e32 v13, s35
	s_xor_b32 exec_lo, exec_lo, s36
	s_cbranch_execz .LBB4_2224
.LBB4_2967:                             ;   in Loop: Header=BB4_1985 Depth=4
	v_cmp_ne_u16_e32 vcc_lo, 0, v12
	v_mov_b32_e32 v13, 0
	s_and_not1_b32 s13, s13, exec_lo
	s_and_b32 vcc_lo, vcc_lo, exec_lo
	s_delay_alu instid0(SALU_CYCLE_1)
	s_or_b32 s13, s13, vcc_lo
	s_or_b32 exec_lo, exec_lo, s36
	s_and_saveexec_b32 s35, s13
	s_cbranch_execnz .LBB4_2225
	s_branch .LBB4_2226
.LBB4_2968:                             ;   in Loop: Header=BB4_1985 Depth=4
	s_mov_b32 s13, -1
	s_mov_b32 s37, exec_lo
                                        ; implicit-def: $sgpr35
	v_cmpx_eq_u16_e32 0x80, v12
; %bb.2969:                             ;   in Loop: Header=BB4_1985 Depth=4
	s_mov_b32 s35, 0x7f800001
	s_xor_b32 s13, exec_lo, -1
; %bb.2970:                             ;   in Loop: Header=BB4_1985 Depth=4
	s_or_b32 exec_lo, exec_lo, s37
	s_delay_alu instid0(SALU_CYCLE_1)
	s_and_b32 s13, s13, exec_lo
                                        ; implicit-def: $vgpr12
	s_or_saveexec_b32 s36, s36
	v_mov_b32_e32 v8, s35
	s_xor_b32 exec_lo, exec_lo, s36
	s_cbranch_execz .LBB4_2236
.LBB4_2971:                             ;   in Loop: Header=BB4_1985 Depth=4
	v_cmp_ne_u16_e32 vcc_lo, 0, v12
	v_mov_b32_e32 v8, 0
	s_and_not1_b32 s13, s13, exec_lo
	s_and_b32 vcc_lo, vcc_lo, exec_lo
	s_delay_alu instid0(SALU_CYCLE_1)
	s_or_b32 s13, s13, vcc_lo
	s_or_b32 exec_lo, exec_lo, s36
	s_and_saveexec_b32 s35, s13
	s_cbranch_execnz .LBB4_2237
	s_branch .LBB4_2238
.LBB4_2972:                             ;   in Loop: Header=BB4_1985 Depth=4
	s_mov_b32 s13, -1
	s_mov_b32 s37, exec_lo
                                        ; implicit-def: $sgpr35
	v_cmpx_eq_u16_e32 0x80, v8
; %bb.2973:                             ;   in Loop: Header=BB4_1985 Depth=4
	s_mov_b32 s35, 0x7f800001
	s_xor_b32 s13, exec_lo, -1
; %bb.2974:                             ;   in Loop: Header=BB4_1985 Depth=4
	s_or_b32 exec_lo, exec_lo, s37
	s_delay_alu instid0(SALU_CYCLE_1)
	s_and_b32 s13, s13, exec_lo
	s_or_saveexec_b32 s36, s36
	v_mov_b32_e32 v12, s35
	s_xor_b32 exec_lo, exec_lo, s36
	s_cbranch_execz .LBB4_2248
.LBB4_2975:                             ;   in Loop: Header=BB4_1985 Depth=4
	v_cmp_ne_u16_e32 vcc_lo, 0, v8
	v_mov_b32_e32 v12, 0
	s_and_not1_b32 s13, s13, exec_lo
	s_and_b32 vcc_lo, vcc_lo, exec_lo
	s_delay_alu instid0(SALU_CYCLE_1)
	s_or_b32 s13, s13, vcc_lo
	s_or_b32 exec_lo, exec_lo, s36
	s_and_saveexec_b32 s35, s13
	s_cbranch_execnz .LBB4_2249
	s_branch .LBB4_2250
.LBB4_2976:                             ;   in Loop: Header=BB4_1985 Depth=4
	s_mov_b32 s13, -1
	s_mov_b32 s37, exec_lo
                                        ; implicit-def: $sgpr35
	v_cmpx_eq_u16_e32 0x80, v13
; %bb.2977:                             ;   in Loop: Header=BB4_1985 Depth=4
	s_mov_b32 s35, 0x7f800001
	s_xor_b32 s13, exec_lo, -1
; %bb.2978:                             ;   in Loop: Header=BB4_1985 Depth=4
	s_or_b32 exec_lo, exec_lo, s37
	s_delay_alu instid0(SALU_CYCLE_1)
	s_and_b32 s13, s13, exec_lo
                                        ; implicit-def: $vgpr13
	s_or_saveexec_b32 s36, s36
	v_mov_b32_e32 v12, s35
	s_xor_b32 exec_lo, exec_lo, s36
	s_cbranch_execz .LBB4_2260
.LBB4_2979:                             ;   in Loop: Header=BB4_1985 Depth=4
	v_cmp_ne_u16_e32 vcc_lo, 0, v13
	v_mov_b32_e32 v12, 0
	s_and_not1_b32 s13, s13, exec_lo
	s_and_b32 vcc_lo, vcc_lo, exec_lo
	s_delay_alu instid0(SALU_CYCLE_1)
	s_or_b32 s13, s13, vcc_lo
	s_or_b32 exec_lo, exec_lo, s36
	s_and_saveexec_b32 s35, s13
	s_cbranch_execnz .LBB4_2261
	s_branch .LBB4_2262
.LBB4_2980:                             ;   in Loop: Header=BB4_1985 Depth=4
	s_mov_b32 s13, -1
	s_mov_b32 s37, exec_lo
                                        ; implicit-def: $sgpr35
	v_cmpx_eq_u16_e32 0x80, v8
; %bb.2981:                             ;   in Loop: Header=BB4_1985 Depth=4
	s_mov_b32 s35, 0x7f800001
	s_xor_b32 s13, exec_lo, -1
; %bb.2982:                             ;   in Loop: Header=BB4_1985 Depth=4
	s_or_b32 exec_lo, exec_lo, s37
	s_delay_alu instid0(SALU_CYCLE_1)
	s_and_b32 s13, s13, exec_lo
	s_or_saveexec_b32 s36, s36
	v_mov_b32_e32 v12, s35
	s_xor_b32 exec_lo, exec_lo, s36
	s_cbranch_execz .LBB4_2272
.LBB4_2983:                             ;   in Loop: Header=BB4_1985 Depth=4
	v_cmp_ne_u16_e32 vcc_lo, 0, v8
	v_mov_b32_e32 v12, 0
	s_and_not1_b32 s13, s13, exec_lo
	s_and_b32 vcc_lo, vcc_lo, exec_lo
	s_delay_alu instid0(SALU_CYCLE_1)
	s_or_b32 s13, s13, vcc_lo
	s_or_b32 exec_lo, exec_lo, s36
	s_and_saveexec_b32 s35, s13
	s_cbranch_execnz .LBB4_2273
	s_branch .LBB4_2274
.LBB4_2984:                             ;   in Loop: Header=BB4_1985 Depth=4
	s_mov_b32 s13, -1
	s_mov_b32 s37, exec_lo
                                        ; implicit-def: $sgpr35
	v_cmpx_eq_u16_e32 0x80, v9
; %bb.2985:                             ;   in Loop: Header=BB4_1985 Depth=4
	s_mov_b32 s35, 0x7f800001
	s_xor_b32 s13, exec_lo, -1
; %bb.2986:                             ;   in Loop: Header=BB4_1985 Depth=4
	s_or_b32 exec_lo, exec_lo, s37
	s_delay_alu instid0(SALU_CYCLE_1)
	s_and_b32 s13, s13, exec_lo
                                        ; implicit-def: $vgpr9
	s_or_saveexec_b32 s36, s36
	v_mov_b32_e32 v8, s35
	s_xor_b32 exec_lo, exec_lo, s36
	s_cbranch_execz .LBB4_2284
.LBB4_2987:                             ;   in Loop: Header=BB4_1985 Depth=4
	v_cmp_ne_u16_e32 vcc_lo, 0, v9
	v_mov_b32_e32 v8, 0
	s_and_not1_b32 s13, s13, exec_lo
	s_and_b32 vcc_lo, vcc_lo, exec_lo
	s_delay_alu instid0(SALU_CYCLE_1)
	s_or_b32 s13, s13, vcc_lo
	s_or_b32 exec_lo, exec_lo, s36
	s_and_saveexec_b32 s35, s13
	s_cbranch_execnz .LBB4_2285
	s_branch .LBB4_2286
.LBB4_2988:                             ;   in Loop: Header=BB4_1985 Depth=4
	s_mov_b32 s13, -1
	s_mov_b32 s37, exec_lo
                                        ; implicit-def: $sgpr35
	v_cmpx_eq_u16_e32 0x80, v8
; %bb.2989:                             ;   in Loop: Header=BB4_1985 Depth=4
	s_mov_b32 s35, 0x7f800001
	s_xor_b32 s13, exec_lo, -1
; %bb.2990:                             ;   in Loop: Header=BB4_1985 Depth=4
	s_or_b32 exec_lo, exec_lo, s37
	s_delay_alu instid0(SALU_CYCLE_1)
	s_and_b32 s13, s13, exec_lo
	s_or_saveexec_b32 s36, s36
	v_mov_b32_e32 v9, s35
	s_xor_b32 exec_lo, exec_lo, s36
	s_cbranch_execz .LBB4_2296
.LBB4_2991:                             ;   in Loop: Header=BB4_1985 Depth=4
	v_cmp_ne_u16_e32 vcc_lo, 0, v8
	v_mov_b32_e32 v9, 0
	s_and_not1_b32 s13, s13, exec_lo
	s_and_b32 vcc_lo, vcc_lo, exec_lo
	s_delay_alu instid0(SALU_CYCLE_1)
	s_or_b32 s13, s13, vcc_lo
	s_or_b32 exec_lo, exec_lo, s36
	s_and_saveexec_b32 s35, s13
	s_cbranch_execnz .LBB4_2297
	s_branch .LBB4_2298
.LBB4_2992:                             ;   in Loop: Header=BB4_1985 Depth=4
	s_mov_b32 s13, -1
	s_mov_b32 s37, exec_lo
                                        ; implicit-def: $sgpr35
	v_cmpx_eq_u16_e32 0x80, v12
; %bb.2993:                             ;   in Loop: Header=BB4_1985 Depth=4
	s_mov_b32 s35, 0x7f800001
	s_xor_b32 s13, exec_lo, -1
; %bb.2994:                             ;   in Loop: Header=BB4_1985 Depth=4
	s_or_b32 exec_lo, exec_lo, s37
	s_delay_alu instid0(SALU_CYCLE_1)
	s_and_b32 s13, s13, exec_lo
                                        ; implicit-def: $vgpr12
	s_or_saveexec_b32 s36, s36
	v_mov_b32_e32 v9, s35
	s_xor_b32 exec_lo, exec_lo, s36
	s_cbranch_execz .LBB4_2308
.LBB4_2995:                             ;   in Loop: Header=BB4_1985 Depth=4
	v_cmp_ne_u16_e32 vcc_lo, 0, v12
	v_mov_b32_e32 v9, 0
	s_and_not1_b32 s13, s13, exec_lo
	s_and_b32 vcc_lo, vcc_lo, exec_lo
	s_delay_alu instid0(SALU_CYCLE_1)
	s_or_b32 s13, s13, vcc_lo
	s_or_b32 exec_lo, exec_lo, s36
	s_and_saveexec_b32 s35, s13
	s_cbranch_execnz .LBB4_2309
	s_branch .LBB4_2310
.LBB4_2996:                             ;   in Loop: Header=BB4_1985 Depth=4
	s_mov_b32 s13, -1
	s_mov_b32 s37, exec_lo
                                        ; implicit-def: $sgpr35
	v_cmpx_eq_u16_e32 0x80, v8
; %bb.2997:                             ;   in Loop: Header=BB4_1985 Depth=4
	s_mov_b32 s35, 0x7f800001
	s_xor_b32 s13, exec_lo, -1
; %bb.2998:                             ;   in Loop: Header=BB4_1985 Depth=4
	s_or_b32 exec_lo, exec_lo, s37
	s_delay_alu instid0(SALU_CYCLE_1)
	s_and_b32 s13, s13, exec_lo
	s_or_saveexec_b32 s36, s36
	v_mov_b32_e32 v9, s35
	s_xor_b32 exec_lo, exec_lo, s36
	s_cbranch_execz .LBB4_2320
.LBB4_2999:                             ;   in Loop: Header=BB4_1985 Depth=4
	v_cmp_ne_u16_e32 vcc_lo, 0, v8
	v_mov_b32_e32 v9, 0
	s_and_not1_b32 s13, s13, exec_lo
	s_and_b32 vcc_lo, vcc_lo, exec_lo
	s_delay_alu instid0(SALU_CYCLE_1)
	s_or_b32 s13, s13, vcc_lo
	s_or_b32 exec_lo, exec_lo, s36
	s_and_saveexec_b32 s35, s13
	s_cbranch_execnz .LBB4_2321
	s_branch .LBB4_2322
.LBB4_3000:                             ;   in Loop: Header=BB4_1985 Depth=4
	s_mov_b32 s13, -1
	s_mov_b32 s37, exec_lo
                                        ; implicit-def: $sgpr35
	v_cmpx_eq_u16_e32 0x80, v9
; %bb.3001:                             ;   in Loop: Header=BB4_1985 Depth=4
	s_mov_b32 s35, 0x7f800001
	s_xor_b32 s13, exec_lo, -1
; %bb.3002:                             ;   in Loop: Header=BB4_1985 Depth=4
	s_or_b32 exec_lo, exec_lo, s37
	s_delay_alu instid0(SALU_CYCLE_1)
	s_and_b32 s13, s13, exec_lo
                                        ; implicit-def: $vgpr9
	s_or_saveexec_b32 s36, s36
	v_mov_b32_e32 v8, s35
	s_xor_b32 exec_lo, exec_lo, s36
	s_cbranch_execz .LBB4_2332
.LBB4_3003:                             ;   in Loop: Header=BB4_1985 Depth=4
	v_cmp_ne_u16_e32 vcc_lo, 0, v9
	v_mov_b32_e32 v8, 0
	s_and_not1_b32 s13, s13, exec_lo
	s_and_b32 vcc_lo, vcc_lo, exec_lo
	s_delay_alu instid0(SALU_CYCLE_1)
	s_or_b32 s13, s13, vcc_lo
	s_or_b32 exec_lo, exec_lo, s36
	s_and_saveexec_b32 s35, s13
	s_cbranch_execnz .LBB4_2333
	s_branch .LBB4_2334
.LBB4_3004:                             ;   in Loop: Header=BB4_1985 Depth=4
	s_mov_b32 s13, -1
	s_mov_b32 s37, exec_lo
                                        ; implicit-def: $sgpr35
	v_cmpx_eq_u16_e32 0x80, v8
; %bb.3005:                             ;   in Loop: Header=BB4_1985 Depth=4
	s_mov_b32 s35, 0x7f800001
	s_xor_b32 s13, exec_lo, -1
; %bb.3006:                             ;   in Loop: Header=BB4_1985 Depth=4
	s_or_b32 exec_lo, exec_lo, s37
	s_delay_alu instid0(SALU_CYCLE_1)
	s_and_b32 s13, s13, exec_lo
	s_or_saveexec_b32 s36, s36
	v_mov_b32_e32 v9, s35
	s_xor_b32 exec_lo, exec_lo, s36
	s_cbranch_execz .LBB4_2344
.LBB4_3007:                             ;   in Loop: Header=BB4_1985 Depth=4
	v_cmp_ne_u16_e32 vcc_lo, 0, v8
	v_mov_b32_e32 v9, 0
	s_and_not1_b32 s13, s13, exec_lo
	s_and_b32 vcc_lo, vcc_lo, exec_lo
	s_delay_alu instid0(SALU_CYCLE_1)
	s_or_b32 s13, s13, vcc_lo
	s_or_b32 exec_lo, exec_lo, s36
	s_and_saveexec_b32 s35, s13
	s_cbranch_execnz .LBB4_2345
	s_branch .LBB4_2346
.LBB4_3008:                             ;   in Loop: Header=BB4_1985 Depth=4
	s_mov_b32 s13, -1
	s_mov_b32 s37, exec_lo
                                        ; implicit-def: $sgpr35
	v_cmpx_eq_u16_e32 0x80, v10
; %bb.3009:                             ;   in Loop: Header=BB4_1985 Depth=4
	s_mov_b32 s35, 0x7f800001
	s_xor_b32 s13, exec_lo, -1
; %bb.3010:                             ;   in Loop: Header=BB4_1985 Depth=4
	s_or_b32 exec_lo, exec_lo, s37
	s_delay_alu instid0(SALU_CYCLE_1)
	s_and_b32 s13, s13, exec_lo
                                        ; implicit-def: $vgpr10
	s_or_saveexec_b32 s36, s36
	v_mov_b32_e32 v9, s35
	s_xor_b32 exec_lo, exec_lo, s36
	s_cbranch_execz .LBB4_2356
.LBB4_3011:                             ;   in Loop: Header=BB4_1985 Depth=4
	v_cmp_ne_u16_e32 vcc_lo, 0, v10
	v_mov_b32_e32 v9, 0
	s_and_not1_b32 s13, s13, exec_lo
	s_and_b32 vcc_lo, vcc_lo, exec_lo
	s_delay_alu instid0(SALU_CYCLE_1)
	s_or_b32 s13, s13, vcc_lo
	s_or_b32 exec_lo, exec_lo, s36
	s_and_saveexec_b32 s35, s13
	s_cbranch_execnz .LBB4_2357
	s_branch .LBB4_2358
.LBB4_3012:                             ;   in Loop: Header=BB4_1985 Depth=4
	s_mov_b32 s13, -1
	s_mov_b32 s37, exec_lo
                                        ; implicit-def: $sgpr35
	v_cmpx_eq_u16_e32 0x80, v8
; %bb.3013:                             ;   in Loop: Header=BB4_1985 Depth=4
	s_mov_b32 s35, 0x7f800001
	s_xor_b32 s13, exec_lo, -1
; %bb.3014:                             ;   in Loop: Header=BB4_1985 Depth=4
	s_or_b32 exec_lo, exec_lo, s37
	s_delay_alu instid0(SALU_CYCLE_1)
	s_and_b32 s13, s13, exec_lo
	s_or_saveexec_b32 s36, s36
	v_mov_b32_e32 v9, s35
	s_xor_b32 exec_lo, exec_lo, s36
	s_cbranch_execz .LBB4_2368
.LBB4_3015:                             ;   in Loop: Header=BB4_1985 Depth=4
	v_cmp_ne_u16_e32 vcc_lo, 0, v8
	v_mov_b32_e32 v9, 0
	s_and_not1_b32 s13, s13, exec_lo
	s_and_b32 vcc_lo, vcc_lo, exec_lo
	s_delay_alu instid0(SALU_CYCLE_1)
	s_or_b32 s13, s13, vcc_lo
	s_or_b32 exec_lo, exec_lo, s36
	s_and_saveexec_b32 s35, s13
	s_cbranch_execnz .LBB4_2369
	s_branch .LBB4_2370
.LBB4_3016:                             ;   in Loop: Header=BB4_1985 Depth=4
	s_mov_b32 s13, -1
	s_mov_b32 s36, exec_lo
                                        ; implicit-def: $sgpr34
	v_cmpx_eq_u16_e32 0x80, v46
; %bb.3017:                             ;   in Loop: Header=BB4_1985 Depth=4
	s_mov_b32 s34, 0x7f800001
	s_xor_b32 s13, exec_lo, -1
; %bb.3018:                             ;   in Loop: Header=BB4_1985 Depth=4
	s_or_b32 exec_lo, exec_lo, s36
	s_delay_alu instid0(SALU_CYCLE_1)
	s_and_b32 s13, s13, exec_lo
                                        ; implicit-def: $vgpr46
	s_or_saveexec_b32 s35, s35
	v_mov_b32_e32 v45, s34
	s_xor_b32 exec_lo, exec_lo, s35
	s_cbranch_execz .LBB4_2380
.LBB4_3019:                             ;   in Loop: Header=BB4_1985 Depth=4
	v_cmp_ne_u16_e32 vcc_lo, 0, v46
	v_mov_b32_e32 v45, 0
	s_and_not1_b32 s13, s13, exec_lo
	s_and_b32 vcc_lo, vcc_lo, exec_lo
	s_delay_alu instid0(SALU_CYCLE_1)
	s_or_b32 s13, s13, vcc_lo
	s_or_b32 exec_lo, exec_lo, s35
	s_and_saveexec_b32 s34, s13
	s_cbranch_execnz .LBB4_2381
	s_branch .LBB4_2382
.LBB4_3020:                             ;   in Loop: Header=BB4_1985 Depth=4
	s_mov_b32 s13, -1
	s_mov_b32 s36, exec_lo
                                        ; implicit-def: $sgpr34
	v_cmpx_eq_u16_e32 0x80, v46
; %bb.3021:                             ;   in Loop: Header=BB4_1985 Depth=4
	s_mov_b32 s34, 0x7f800001
	s_xor_b32 s13, exec_lo, -1
; %bb.3022:                             ;   in Loop: Header=BB4_1985 Depth=4
	s_or_b32 exec_lo, exec_lo, s36
	s_delay_alu instid0(SALU_CYCLE_1)
	s_and_b32 s13, s13, exec_lo
                                        ; implicit-def: $vgpr46
	s_or_saveexec_b32 s35, s35
	v_mov_b32_e32 v133, s34
	s_xor_b32 exec_lo, exec_lo, s35
	s_cbranch_execz .LBB4_2384
.LBB4_3023:                             ;   in Loop: Header=BB4_1985 Depth=4
	v_cmp_ne_u16_e32 vcc_lo, 0, v46
	v_mov_b32_e32 v133, 0
	s_and_not1_b32 s13, s13, exec_lo
	s_and_b32 vcc_lo, vcc_lo, exec_lo
	s_delay_alu instid0(SALU_CYCLE_1)
	s_or_b32 s13, s13, vcc_lo
	s_or_b32 exec_lo, exec_lo, s35
	s_and_saveexec_b32 s34, s13
	s_cbranch_execnz .LBB4_2385
	s_branch .LBB4_2386
.LBB4_3024:                             ;   in Loop: Header=BB4_1985 Depth=4
	s_mov_b32 s13, -1
	s_mov_b32 s36, exec_lo
                                        ; implicit-def: $sgpr34
	v_cmpx_eq_u16_e32 0x80, v46
; %bb.3025:                             ;   in Loop: Header=BB4_1985 Depth=4
	s_mov_b32 s34, 0x7f800001
	s_xor_b32 s13, exec_lo, -1
; %bb.3026:                             ;   in Loop: Header=BB4_1985 Depth=4
	s_or_b32 exec_lo, exec_lo, s36
	s_delay_alu instid0(SALU_CYCLE_1)
	s_and_b32 s13, s13, exec_lo
                                        ; implicit-def: $vgpr46
	s_or_saveexec_b32 s35, s35
	v_mov_b32_e32 v45, s34
	s_xor_b32 exec_lo, exec_lo, s35
	s_cbranch_execz .LBB4_2396
.LBB4_3027:                             ;   in Loop: Header=BB4_1985 Depth=4
	v_cmp_ne_u16_e32 vcc_lo, 0, v46
	v_mov_b32_e32 v45, 0
	s_and_not1_b32 s13, s13, exec_lo
	s_and_b32 vcc_lo, vcc_lo, exec_lo
	s_delay_alu instid0(SALU_CYCLE_1)
	s_or_b32 s13, s13, vcc_lo
	s_or_b32 exec_lo, exec_lo, s35
	s_and_saveexec_b32 s34, s13
	s_cbranch_execnz .LBB4_2397
	s_branch .LBB4_2398
.LBB4_3028:                             ;   in Loop: Header=BB4_1985 Depth=4
	s_mov_b32 s13, -1
	s_mov_b32 s36, exec_lo
                                        ; implicit-def: $sgpr34
	v_cmpx_eq_u16_e64 0x80, v145
; %bb.3029:                             ;   in Loop: Header=BB4_1985 Depth=4
	s_mov_b32 s34, 0x7f800001
	s_xor_b32 s13, exec_lo, -1
; %bb.3030:                             ;   in Loop: Header=BB4_1985 Depth=4
	s_or_b32 exec_lo, exec_lo, s36
	s_delay_alu instid0(SALU_CYCLE_1)
	s_and_b32 s13, s13, exec_lo
	s_or_saveexec_b32 s35, s35
	v_mov_b32_e32 v46, s34
	s_xor_b32 exec_lo, exec_lo, s35
	s_cbranch_execz .LBB4_2400
.LBB4_3031:                             ;   in Loop: Header=BB4_1985 Depth=4
	v_cmp_ne_u16_e64 vcc_lo, 0, v145
	v_mov_b32_e32 v46, 0
	s_and_not1_b32 s13, s13, exec_lo
	s_delay_alu instid0(VALU_DEP_2) | instskip(NEXT) | instid1(SALU_CYCLE_1)
	s_and_b32 vcc_lo, vcc_lo, exec_lo
	s_or_b32 s13, s13, vcc_lo
	s_or_b32 exec_lo, exec_lo, s35
	s_and_saveexec_b32 s34, s13
	s_cbranch_execnz .LBB4_2401
	s_branch .LBB4_2402
.LBB4_3032:                             ;   in Loop: Header=BB4_1985 Depth=4
	s_mov_b32 s13, -1
	s_mov_b32 s36, exec_lo
                                        ; implicit-def: $sgpr34
	v_cmpx_eq_u16_e32 0x80, v46
; %bb.3033:                             ;   in Loop: Header=BB4_1985 Depth=4
	s_mov_b32 s34, 0x7f800001
	s_xor_b32 s13, exec_lo, -1
; %bb.3034:                             ;   in Loop: Header=BB4_1985 Depth=4
	s_or_b32 exec_lo, exec_lo, s36
	s_delay_alu instid0(SALU_CYCLE_1)
	s_and_b32 s13, s13, exec_lo
                                        ; implicit-def: $vgpr46
	s_or_saveexec_b32 s35, s35
	v_mov_b32_e32 v45, s34
	s_xor_b32 exec_lo, exec_lo, s35
	s_cbranch_execz .LBB4_2412
.LBB4_3035:                             ;   in Loop: Header=BB4_1985 Depth=4
	v_cmp_ne_u16_e32 vcc_lo, 0, v46
	v_mov_b32_e32 v45, 0
	s_and_not1_b32 s13, s13, exec_lo
	s_and_b32 vcc_lo, vcc_lo, exec_lo
	s_delay_alu instid0(SALU_CYCLE_1)
	s_or_b32 s13, s13, vcc_lo
	s_or_b32 exec_lo, exec_lo, s35
	s_and_saveexec_b32 s34, s13
	s_cbranch_execnz .LBB4_2413
	s_branch .LBB4_2414
.LBB4_3036:                             ;   in Loop: Header=BB4_1985 Depth=4
	s_mov_b32 s13, -1
	s_mov_b32 s36, exec_lo
                                        ; implicit-def: $sgpr34
	v_cmpx_eq_u16_e32 0x80, v47
; %bb.3037:                             ;   in Loop: Header=BB4_1985 Depth=4
	s_mov_b32 s34, 0x7f800001
	s_xor_b32 s13, exec_lo, -1
; %bb.3038:                             ;   in Loop: Header=BB4_1985 Depth=4
	s_or_b32 exec_lo, exec_lo, s36
	s_delay_alu instid0(SALU_CYCLE_1)
	s_and_b32 s13, s13, exec_lo
                                        ; implicit-def: $vgpr47
	s_or_saveexec_b32 s35, s35
	v_mov_b32_e32 v46, s34
	s_xor_b32 exec_lo, exec_lo, s35
	s_cbranch_execz .LBB4_2416
.LBB4_3039:                             ;   in Loop: Header=BB4_1985 Depth=4
	v_cmp_ne_u16_e32 vcc_lo, 0, v47
	v_mov_b32_e32 v46, 0
	s_and_not1_b32 s13, s13, exec_lo
	s_and_b32 vcc_lo, vcc_lo, exec_lo
	s_delay_alu instid0(SALU_CYCLE_1)
	s_or_b32 s13, s13, vcc_lo
	s_or_b32 exec_lo, exec_lo, s35
	s_and_saveexec_b32 s34, s13
	s_cbranch_execnz .LBB4_2417
	s_branch .LBB4_2418
.LBB4_3040:                             ;   in Loop: Header=BB4_1985 Depth=4
	s_mov_b32 s13, -1
	s_mov_b32 s36, exec_lo
                                        ; implicit-def: $sgpr34
	v_cmpx_eq_u16_e32 0x80, v46
; %bb.3041:                             ;   in Loop: Header=BB4_1985 Depth=4
	s_mov_b32 s34, 0x7f800001
	s_xor_b32 s13, exec_lo, -1
; %bb.3042:                             ;   in Loop: Header=BB4_1985 Depth=4
	s_or_b32 exec_lo, exec_lo, s36
	s_delay_alu instid0(SALU_CYCLE_1)
	s_and_b32 s13, s13, exec_lo
	s_or_saveexec_b32 s35, s35
	v_mov_b32_e32 v45, s34
	s_xor_b32 exec_lo, exec_lo, s35
	s_cbranch_execz .LBB4_2428
.LBB4_3043:                             ;   in Loop: Header=BB4_1985 Depth=4
	v_cmp_ne_u16_e32 vcc_lo, 0, v46
	v_mov_b32_e32 v45, 0
	s_and_not1_b32 s13, s13, exec_lo
	s_and_b32 vcc_lo, vcc_lo, exec_lo
	s_delay_alu instid0(SALU_CYCLE_1)
	s_or_b32 s13, s13, vcc_lo
	s_or_b32 exec_lo, exec_lo, s35
	s_and_saveexec_b32 s34, s13
	s_cbranch_execnz .LBB4_2429
	s_branch .LBB4_2430
.LBB4_3044:                             ;   in Loop: Header=BB4_1985 Depth=4
	s_mov_b32 s13, -1
	s_mov_b32 s36, exec_lo
                                        ; implicit-def: $sgpr34
	v_cmpx_eq_u16_e64 0x80, v177
; %bb.3045:                             ;   in Loop: Header=BB4_1985 Depth=4
	s_mov_b32 s34, 0x7f800001
	s_xor_b32 s13, exec_lo, -1
; %bb.3046:                             ;   in Loop: Header=BB4_1985 Depth=4
	s_or_b32 exec_lo, exec_lo, s36
	s_delay_alu instid0(SALU_CYCLE_1)
	s_and_b32 s13, s13, exec_lo
	s_or_saveexec_b32 s35, s35
	v_mov_b32_e32 v46, s34
	s_xor_b32 exec_lo, exec_lo, s35
	s_cbranch_execz .LBB4_2432
.LBB4_3047:                             ;   in Loop: Header=BB4_1985 Depth=4
	v_cmp_ne_u16_e64 vcc_lo, 0, v177
	v_mov_b32_e32 v46, 0
	s_and_not1_b32 s13, s13, exec_lo
	s_delay_alu instid0(VALU_DEP_2) | instskip(NEXT) | instid1(SALU_CYCLE_1)
	s_and_b32 vcc_lo, vcc_lo, exec_lo
	s_or_b32 s13, s13, vcc_lo
	s_or_b32 exec_lo, exec_lo, s35
	s_and_saveexec_b32 s34, s13
	s_cbranch_execnz .LBB4_2433
	s_branch .LBB4_2434
.LBB4_3048:                             ;   in Loop: Header=BB4_1985 Depth=4
	s_mov_b32 s13, -1
	s_mov_b32 s36, exec_lo
                                        ; implicit-def: $sgpr34
	v_cmpx_eq_u16_e64 0x80, v177
; %bb.3049:                             ;   in Loop: Header=BB4_1985 Depth=4
	s_mov_b32 s34, 0x7f800001
	s_xor_b32 s13, exec_lo, -1
; %bb.3050:                             ;   in Loop: Header=BB4_1985 Depth=4
	s_or_b32 exec_lo, exec_lo, s36
	s_delay_alu instid0(SALU_CYCLE_1)
	s_and_b32 s13, s13, exec_lo
                                        ; implicit-def: $vgpr177
	s_or_saveexec_b32 s35, s35
	v_mov_b32_e32 v166, s34
	s_xor_b32 exec_lo, exec_lo, s35
	s_cbranch_execz .LBB4_2444
.LBB4_3051:                             ;   in Loop: Header=BB4_1985 Depth=4
	v_cmp_ne_u16_e64 vcc_lo, 0, v177
	v_mov_b32_e32 v166, 0
	s_and_not1_b32 s13, s13, exec_lo
	s_delay_alu instid0(VALU_DEP_2) | instskip(NEXT) | instid1(SALU_CYCLE_1)
	s_and_b32 vcc_lo, vcc_lo, exec_lo
	s_or_b32 s13, s13, vcc_lo
	s_or_b32 exec_lo, exec_lo, s35
	s_and_saveexec_b32 s34, s13
	s_cbranch_execnz .LBB4_2445
	s_branch .LBB4_2446
.LBB4_3052:                             ;   in Loop: Header=BB4_1985 Depth=4
	s_mov_b32 s13, -1
	s_mov_b32 s36, exec_lo
                                        ; implicit-def: $sgpr34
	v_cmpx_eq_u16_e32 0x80, v45
; %bb.3053:                             ;   in Loop: Header=BB4_1985 Depth=4
	s_mov_b32 s34, 0x7f800001
	s_xor_b32 s13, exec_lo, -1
; %bb.3054:                             ;   in Loop: Header=BB4_1985 Depth=4
	s_or_b32 exec_lo, exec_lo, s36
	s_delay_alu instid0(SALU_CYCLE_1)
	s_and_b32 s13, s13, exec_lo
                                        ; implicit-def: $vgpr45
	s_or_saveexec_b32 s35, s35
	v_mov_b32_e32 v177, s34
	s_xor_b32 exec_lo, exec_lo, s35
	s_cbranch_execz .LBB4_2448
.LBB4_3055:                             ;   in Loop: Header=BB4_1985 Depth=4
	v_cmp_ne_u16_e32 vcc_lo, 0, v45
	v_mov_b32_e32 v177, 0
	s_and_not1_b32 s13, s13, exec_lo
	s_and_b32 vcc_lo, vcc_lo, exec_lo
	s_delay_alu instid0(SALU_CYCLE_1)
	s_or_b32 s13, s13, vcc_lo
	s_or_b32 exec_lo, exec_lo, s35
	s_and_saveexec_b32 s34, s13
	s_cbranch_execnz .LBB4_2449
	s_branch .LBB4_2450
.LBB4_3056:                             ;   in Loop: Header=BB4_1985 Depth=4
	s_mov_b32 s13, -1
	s_mov_b32 s36, exec_lo
                                        ; implicit-def: $sgpr34
	v_cmpx_eq_u16_e32 0x80, v45
; %bb.3057:                             ;   in Loop: Header=BB4_1985 Depth=4
	s_mov_b32 s34, 0x7f800001
	s_xor_b32 s13, exec_lo, -1
; %bb.3058:                             ;   in Loop: Header=BB4_1985 Depth=4
	s_or_b32 exec_lo, exec_lo, s36
	s_delay_alu instid0(SALU_CYCLE_1)
	s_and_b32 s13, s13, exec_lo
	s_or_saveexec_b32 s35, s35
	v_mov_b32_e32 v177, s34
	s_xor_b32 exec_lo, exec_lo, s35
	s_cbranch_execz .LBB4_2460
.LBB4_3059:                             ;   in Loop: Header=BB4_1985 Depth=4
	v_cmp_ne_u16_e32 vcc_lo, 0, v45
	v_mov_b32_e32 v177, 0
	s_and_not1_b32 s13, s13, exec_lo
	s_and_b32 vcc_lo, vcc_lo, exec_lo
	s_delay_alu instid0(SALU_CYCLE_1)
	s_or_b32 s13, s13, vcc_lo
	s_or_b32 exec_lo, exec_lo, s35
	s_and_saveexec_b32 s34, s13
	s_cbranch_execnz .LBB4_2461
	s_branch .LBB4_2462
.LBB4_3060:                             ;   in Loop: Header=BB4_1985 Depth=4
	s_mov_b32 s13, -1
	s_mov_b32 s36, exec_lo
                                        ; implicit-def: $sgpr34
	v_cmpx_eq_u16_e32 0x80, v45
; %bb.3061:                             ;   in Loop: Header=BB4_1985 Depth=4
	s_mov_b32 s34, 0x7f800001
	s_xor_b32 s13, exec_lo, -1
; %bb.3062:                             ;   in Loop: Header=BB4_1985 Depth=4
	s_or_b32 exec_lo, exec_lo, s36
	s_delay_alu instid0(SALU_CYCLE_1)
	s_and_b32 s13, s13, exec_lo
	s_or_saveexec_b32 s35, s35
	v_mov_b32_e32 v46, s34
	s_xor_b32 exec_lo, exec_lo, s35
	s_cbranch_execz .LBB4_2464
.LBB4_3063:                             ;   in Loop: Header=BB4_1985 Depth=4
	v_cmp_ne_u16_e32 vcc_lo, 0, v45
	v_mov_b32_e32 v46, 0
	s_and_not1_b32 s13, s13, exec_lo
	s_and_b32 vcc_lo, vcc_lo, exec_lo
	s_delay_alu instid0(SALU_CYCLE_1)
	s_or_b32 s13, s13, vcc_lo
	s_or_b32 exec_lo, exec_lo, s35
	s_and_saveexec_b32 s34, s13
	s_cbranch_execnz .LBB4_2465
	s_branch .LBB4_2466
.LBB4_3064:                             ;   in Loop: Header=BB4_1985 Depth=4
	s_mov_b32 s13, -1
	s_mov_b32 s36, exec_lo
                                        ; implicit-def: $sgpr34
	v_cmpx_eq_u16_e32 0x80, v45
; %bb.3065:                             ;   in Loop: Header=BB4_1985 Depth=4
	s_mov_b32 s34, 0x7f800001
	s_xor_b32 s13, exec_lo, -1
; %bb.3066:                             ;   in Loop: Header=BB4_1985 Depth=4
	s_or_b32 exec_lo, exec_lo, s36
	s_delay_alu instid0(SALU_CYCLE_1)
	s_and_b32 s13, s13, exec_lo
                                        ; implicit-def: $vgpr45
	s_or_saveexec_b32 s35, s35
	v_mov_b32_e32 v182, s34
	s_xor_b32 exec_lo, exec_lo, s35
	s_cbranch_execz .LBB4_2476
.LBB4_3067:                             ;   in Loop: Header=BB4_1985 Depth=4
	v_cmp_ne_u16_e32 vcc_lo, 0, v45
	v_mov_b32_e32 v182, 0
	s_and_not1_b32 s13, s13, exec_lo
	s_and_b32 vcc_lo, vcc_lo, exec_lo
	s_delay_alu instid0(SALU_CYCLE_1)
	s_or_b32 s13, s13, vcc_lo
	s_or_b32 exec_lo, exec_lo, s35
	v_lshl_or_b32 v43, v43, 16, v44
	s_and_saveexec_b32 s34, s13
	s_cbranch_execnz .LBB4_2477
	s_branch .LBB4_2478
.LBB4_3068:                             ;   in Loop: Header=BB4_1985 Depth=4
	s_mov_b32 s13, -1
	s_mov_b32 s36, exec_lo
                                        ; implicit-def: $sgpr34
	v_cmpx_eq_u16_e32 0x80, v46
; %bb.3069:                             ;   in Loop: Header=BB4_1985 Depth=4
	s_mov_b32 s34, 0x7f800001
	s_xor_b32 s13, exec_lo, -1
; %bb.3070:                             ;   in Loop: Header=BB4_1985 Depth=4
	s_or_b32 exec_lo, exec_lo, s36
	s_delay_alu instid0(SALU_CYCLE_1)
	s_and_b32 s13, s13, exec_lo
                                        ; implicit-def: $vgpr46
	s_or_saveexec_b32 s35, s35
	v_mov_b32_e32 v45, s34
	s_xor_b32 exec_lo, exec_lo, s35
	s_cbranch_execz .LBB4_2480
.LBB4_3071:                             ;   in Loop: Header=BB4_1985 Depth=4
	v_cmp_ne_u16_e32 vcc_lo, 0, v46
	v_mov_b32_e32 v45, 0
	s_and_not1_b32 s13, s13, exec_lo
	s_and_b32 vcc_lo, vcc_lo, exec_lo
	s_delay_alu instid0(SALU_CYCLE_1)
	s_or_b32 s13, s13, vcc_lo
	s_or_b32 exec_lo, exec_lo, s35
	s_and_saveexec_b32 s34, s13
	s_cbranch_execnz .LBB4_2481
	s_branch .LBB4_2482
.LBB4_3072:                             ;   in Loop: Header=BB4_1985 Depth=4
	s_mov_b32 s13, -1
	s_mov_b32 s36, exec_lo
                                        ; implicit-def: $sgpr34
	v_cmpx_eq_u16_e32 0x80, v45
; %bb.3073:                             ;   in Loop: Header=BB4_1985 Depth=4
	s_mov_b32 s34, 0x7f800001
	s_xor_b32 s13, exec_lo, -1
; %bb.3074:                             ;   in Loop: Header=BB4_1985 Depth=4
	s_or_b32 exec_lo, exec_lo, s36
	s_delay_alu instid0(SALU_CYCLE_1)
	s_and_b32 s13, s13, exec_lo
	s_or_saveexec_b32 s35, s35
	v_mov_b32_e32 v44, s34
	s_xor_b32 exec_lo, exec_lo, s35
	s_cbranch_execz .LBB4_2492
.LBB4_3075:                             ;   in Loop: Header=BB4_1985 Depth=4
	v_cmp_ne_u16_e32 vcc_lo, 0, v45
	v_mov_b32_e32 v44, 0
	s_and_not1_b32 s13, s13, exec_lo
	s_and_b32 vcc_lo, vcc_lo, exec_lo
	s_delay_alu instid0(SALU_CYCLE_1)
	s_or_b32 s13, s13, vcc_lo
	s_or_b32 exec_lo, exec_lo, s35
	s_and_saveexec_b32 s34, s13
	s_cbranch_execnz .LBB4_2493
	s_branch .LBB4_2494
.LBB4_3076:                             ;   in Loop: Header=BB4_1985 Depth=4
	s_mov_b32 s13, -1
	s_mov_b32 s36, exec_lo
                                        ; implicit-def: $sgpr34
	v_cmpx_eq_u16_e32 0x80, v43
; %bb.3077:                             ;   in Loop: Header=BB4_1985 Depth=4
	s_mov_b32 s34, 0x7f800001
	s_xor_b32 s13, exec_lo, -1
; %bb.3078:                             ;   in Loop: Header=BB4_1985 Depth=4
	s_or_b32 exec_lo, exec_lo, s36
	s_delay_alu instid0(SALU_CYCLE_1)
	s_and_b32 s13, s13, exec_lo
	s_or_saveexec_b32 s35, s35
	v_mov_b32_e32 v45, s34
	s_xor_b32 exec_lo, exec_lo, s35
	s_cbranch_execz .LBB4_2496
.LBB4_3079:                             ;   in Loop: Header=BB4_1985 Depth=4
	v_cmp_ne_u16_e32 vcc_lo, 0, v43
	v_mov_b32_e32 v45, 0
	s_and_not1_b32 s13, s13, exec_lo
	s_and_b32 vcc_lo, vcc_lo, exec_lo
	s_delay_alu instid0(SALU_CYCLE_1)
	s_or_b32 s13, s13, vcc_lo
	s_or_b32 exec_lo, exec_lo, s35
	s_and_saveexec_b32 s34, s13
	s_cbranch_execnz .LBB4_2497
	s_branch .LBB4_2498
.LBB4_3080:                             ;   in Loop: Header=BB4_1985 Depth=4
	s_mov_b32 s13, -1
	s_mov_b32 s36, exec_lo
                                        ; implicit-def: $sgpr34
	v_cmpx_eq_u16_e32 0x80, v44
; %bb.3081:                             ;   in Loop: Header=BB4_1985 Depth=4
	s_mov_b32 s34, 0x7f800001
	s_xor_b32 s13, exec_lo, -1
; %bb.3082:                             ;   in Loop: Header=BB4_1985 Depth=4
	s_or_b32 exec_lo, exec_lo, s36
	s_delay_alu instid0(SALU_CYCLE_1)
	s_and_b32 s13, s13, exec_lo
                                        ; implicit-def: $vgpr44
	s_or_saveexec_b32 s35, s35
	v_mov_b32_e32 v43, s34
	s_xor_b32 exec_lo, exec_lo, s35
	s_cbranch_execz .LBB4_2508
.LBB4_3083:                             ;   in Loop: Header=BB4_1985 Depth=4
	v_cmp_ne_u16_e32 vcc_lo, 0, v44
	v_mov_b32_e32 v43, 0
	s_and_not1_b32 s13, s13, exec_lo
	s_and_b32 vcc_lo, vcc_lo, exec_lo
	s_delay_alu instid0(SALU_CYCLE_1)
	s_or_b32 s13, s13, vcc_lo
	s_or_b32 exec_lo, exec_lo, s35
	s_and_saveexec_b32 s34, s13
	s_cbranch_execnz .LBB4_2509
	s_branch .LBB4_2510
.LBB4_3084:                             ;   in Loop: Header=BB4_1985 Depth=4
	s_mov_b32 s13, -1
	s_mov_b32 s36, exec_lo
                                        ; implicit-def: $sgpr34
	v_cmpx_eq_u16_e32 0x80, v44
; %bb.3085:                             ;   in Loop: Header=BB4_1985 Depth=4
	s_mov_b32 s34, 0x7f800001
	s_xor_b32 s13, exec_lo, -1
; %bb.3086:                             ;   in Loop: Header=BB4_1985 Depth=4
	s_or_b32 exec_lo, exec_lo, s36
	s_delay_alu instid0(SALU_CYCLE_1)
	s_and_b32 s13, s13, exec_lo
                                        ; implicit-def: $vgpr44
	s_or_saveexec_b32 s35, s35
	v_mov_b32_e32 v42, s34
	s_xor_b32 exec_lo, exec_lo, s35
	s_cbranch_execz .LBB4_2512
.LBB4_3087:                             ;   in Loop: Header=BB4_1985 Depth=4
	v_cmp_ne_u16_e32 vcc_lo, 0, v44
	v_mov_b32_e32 v42, 0
	s_and_not1_b32 s13, s13, exec_lo
	s_and_b32 vcc_lo, vcc_lo, exec_lo
	s_delay_alu instid0(SALU_CYCLE_1)
	s_or_b32 s13, s13, vcc_lo
	s_or_b32 exec_lo, exec_lo, s35
	s_and_saveexec_b32 s34, s13
	s_cbranch_execnz .LBB4_2513
	s_branch .LBB4_2514
.LBB4_3088:                             ;   in Loop: Header=BB4_1985 Depth=4
	s_mov_b32 s13, -1
	s_mov_b32 s36, exec_lo
                                        ; implicit-def: $sgpr34
	v_cmpx_eq_u16_e32 0x80, v44
; %bb.3089:                             ;   in Loop: Header=BB4_1985 Depth=4
	s_mov_b32 s34, 0x7f800001
	s_xor_b32 s13, exec_lo, -1
; %bb.3090:                             ;   in Loop: Header=BB4_1985 Depth=4
	s_or_b32 exec_lo, exec_lo, s36
	s_delay_alu instid0(SALU_CYCLE_1)
	s_and_b32 s13, s13, exec_lo
                                        ; implicit-def: $vgpr44
	s_or_saveexec_b32 s35, s35
	v_mov_b32_e32 v43, s34
	s_xor_b32 exec_lo, exec_lo, s35
	s_cbranch_execz .LBB4_2524
.LBB4_3091:                             ;   in Loop: Header=BB4_1985 Depth=4
	v_cmp_ne_u16_e32 vcc_lo, 0, v44
	v_mov_b32_e32 v43, 0
	s_and_not1_b32 s13, s13, exec_lo
	s_and_b32 vcc_lo, vcc_lo, exec_lo
	s_delay_alu instid0(SALU_CYCLE_1)
	s_or_b32 s13, s13, vcc_lo
	s_or_b32 exec_lo, exec_lo, s35
	s_and_saveexec_b32 s34, s13
	s_cbranch_execnz .LBB4_2525
	s_branch .LBB4_2526
.LBB4_3092:                             ;   in Loop: Header=BB4_1985 Depth=4
	s_mov_b32 s13, -1
	s_mov_b32 s36, exec_lo
                                        ; implicit-def: $sgpr34
	v_cmpx_eq_u16_e32 0x80, v40
; %bb.3093:                             ;   in Loop: Header=BB4_1985 Depth=4
	s_mov_b32 s34, 0x7f800001
	s_xor_b32 s13, exec_lo, -1
; %bb.3094:                             ;   in Loop: Header=BB4_1985 Depth=4
	s_or_b32 exec_lo, exec_lo, s36
	s_delay_alu instid0(SALU_CYCLE_1)
	s_and_b32 s13, s13, exec_lo
	s_or_saveexec_b32 s35, s35
	v_mov_b32_e32 v44, s34
	s_xor_b32 exec_lo, exec_lo, s35
	s_cbranch_execz .LBB4_2528
.LBB4_3095:                             ;   in Loop: Header=BB4_1985 Depth=4
	v_cmp_ne_u16_e32 vcc_lo, 0, v40
	v_mov_b32_e32 v44, 0
	s_and_not1_b32 s13, s13, exec_lo
	s_and_b32 vcc_lo, vcc_lo, exec_lo
	s_delay_alu instid0(SALU_CYCLE_1)
	s_or_b32 s13, s13, vcc_lo
	s_or_b32 exec_lo, exec_lo, s35
	s_and_saveexec_b32 s34, s13
	s_cbranch_execnz .LBB4_2529
	s_branch .LBB4_2530
.LBB4_3096:                             ;   in Loop: Header=BB4_1985 Depth=4
	s_mov_b32 s13, -1
	s_mov_b32 s36, exec_lo
                                        ; implicit-def: $sgpr34
	v_cmpx_eq_u16_e32 0x80, v44
; %bb.3097:                             ;   in Loop: Header=BB4_1985 Depth=4
	s_mov_b32 s34, 0x7f800001
	s_xor_b32 s13, exec_lo, -1
; %bb.3098:                             ;   in Loop: Header=BB4_1985 Depth=4
	s_or_b32 exec_lo, exec_lo, s36
	s_delay_alu instid0(SALU_CYCLE_1)
	s_and_b32 s13, s13, exec_lo
                                        ; implicit-def: $vgpr44
	s_or_saveexec_b32 s35, s35
	v_mov_b32_e32 v43, s34
	s_xor_b32 exec_lo, exec_lo, s35
	s_cbranch_execz .LBB4_2540
.LBB4_3099:                             ;   in Loop: Header=BB4_1985 Depth=4
	v_cmp_ne_u16_e32 vcc_lo, 0, v44
	v_mov_b32_e32 v43, 0
	s_and_not1_b32 s13, s13, exec_lo
	s_and_b32 vcc_lo, vcc_lo, exec_lo
	s_delay_alu instid0(SALU_CYCLE_1)
	s_or_b32 s13, s13, vcc_lo
	s_or_b32 exec_lo, exec_lo, s35
	s_and_saveexec_b32 s34, s13
	s_cbranch_execnz .LBB4_2541
	s_branch .LBB4_2542
.LBB4_3100:                             ;   in Loop: Header=BB4_1985 Depth=4
	s_mov_b32 s13, -1
	s_mov_b32 s36, exec_lo
                                        ; implicit-def: $sgpr34
	v_cmpx_eq_u16_e32 0x80, v45
; %bb.3101:                             ;   in Loop: Header=BB4_1985 Depth=4
	s_mov_b32 s34, 0x7f800001
	s_xor_b32 s13, exec_lo, -1
; %bb.3102:                             ;   in Loop: Header=BB4_1985 Depth=4
	s_or_b32 exec_lo, exec_lo, s36
	s_delay_alu instid0(SALU_CYCLE_1)
	s_and_b32 s13, s13, exec_lo
                                        ; implicit-def: $vgpr45
	s_or_saveexec_b32 s35, s35
	v_mov_b32_e32 v44, s34
	s_xor_b32 exec_lo, exec_lo, s35
	s_cbranch_execz .LBB4_2544
.LBB4_3103:                             ;   in Loop: Header=BB4_1985 Depth=4
	v_cmp_ne_u16_e32 vcc_lo, 0, v45
	v_mov_b32_e32 v44, 0
	s_and_not1_b32 s13, s13, exec_lo
	s_and_b32 vcc_lo, vcc_lo, exec_lo
	s_delay_alu instid0(SALU_CYCLE_1)
	s_or_b32 s13, s13, vcc_lo
	s_or_b32 exec_lo, exec_lo, s35
	s_and_saveexec_b32 s34, s13
	s_cbranch_execnz .LBB4_2545
	s_branch .LBB4_2546
.LBB4_3104:                             ;   in Loop: Header=BB4_1985 Depth=4
	s_mov_b32 s13, -1
	s_mov_b32 s36, exec_lo
                                        ; implicit-def: $sgpr34
	v_cmpx_eq_u16_e32 0x80, v44
; %bb.3105:                             ;   in Loop: Header=BB4_1985 Depth=4
	s_mov_b32 s34, 0x7f800001
	s_xor_b32 s13, exec_lo, -1
; %bb.3106:                             ;   in Loop: Header=BB4_1985 Depth=4
	s_or_b32 exec_lo, exec_lo, s36
	s_delay_alu instid0(SALU_CYCLE_1)
	s_and_b32 s13, s13, exec_lo
	s_or_saveexec_b32 s35, s35
	v_mov_b32_e32 v43, s34
	s_xor_b32 exec_lo, exec_lo, s35
	s_cbranch_execz .LBB4_2556
.LBB4_3107:                             ;   in Loop: Header=BB4_1985 Depth=4
	v_cmp_ne_u16_e32 vcc_lo, 0, v44
	v_mov_b32_e32 v43, 0
	s_and_not1_b32 s13, s13, exec_lo
	s_and_b32 vcc_lo, vcc_lo, exec_lo
	s_delay_alu instid0(SALU_CYCLE_1)
	s_or_b32 s13, s13, vcc_lo
	s_or_b32 exec_lo, exec_lo, s35
	s_and_saveexec_b32 s34, s13
	s_cbranch_execnz .LBB4_2557
	s_branch .LBB4_2558
.LBB4_3108:                             ;   in Loop: Header=BB4_1985 Depth=4
	s_mov_b32 s13, -1
	s_mov_b32 s36, exec_lo
                                        ; implicit-def: $sgpr34
	v_cmpx_eq_u16_e64 0x80, v180
; %bb.3109:                             ;   in Loop: Header=BB4_1985 Depth=4
	s_mov_b32 s34, 0x7f800001
	s_xor_b32 s13, exec_lo, -1
; %bb.3110:                             ;   in Loop: Header=BB4_1985 Depth=4
	s_or_b32 exec_lo, exec_lo, s36
	s_delay_alu instid0(SALU_CYCLE_1)
	s_and_b32 s13, s13, exec_lo
	s_or_saveexec_b32 s35, s35
	v_mov_b32_e32 v44, s34
	s_xor_b32 exec_lo, exec_lo, s35
	s_cbranch_execz .LBB4_2560
.LBB4_3111:                             ;   in Loop: Header=BB4_1985 Depth=4
	v_cmp_ne_u16_e64 vcc_lo, 0, v180
	v_mov_b32_e32 v44, 0
	s_and_not1_b32 s13, s13, exec_lo
	s_delay_alu instid0(VALU_DEP_2) | instskip(NEXT) | instid1(SALU_CYCLE_1)
	s_and_b32 vcc_lo, vcc_lo, exec_lo
	s_or_b32 s13, s13, vcc_lo
	s_or_b32 exec_lo, exec_lo, s35
	s_and_saveexec_b32 s34, s13
	s_cbranch_execnz .LBB4_2561
	s_branch .LBB4_2562
.LBB4_3112:                             ;   in Loop: Header=BB4_1985 Depth=4
	s_mov_b32 s13, -1
	s_mov_b32 s36, exec_lo
                                        ; implicit-def: $sgpr34
	v_cmpx_eq_u16_e64 0x80, v180
; %bb.3113:                             ;   in Loop: Header=BB4_1985 Depth=4
	s_mov_b32 s34, 0x7f800001
	s_xor_b32 s13, exec_lo, -1
; %bb.3114:                             ;   in Loop: Header=BB4_1985 Depth=4
	s_or_b32 exec_lo, exec_lo, s36
	s_delay_alu instid0(SALU_CYCLE_1)
	s_and_b32 s13, s13, exec_lo
                                        ; implicit-def: $vgpr180
	s_or_saveexec_b32 s35, s35
	v_mov_b32_e32 v179, s34
	s_xor_b32 exec_lo, exec_lo, s35
	s_cbranch_execz .LBB4_2572
.LBB4_3115:                             ;   in Loop: Header=BB4_1985 Depth=4
	v_cmp_ne_u16_e64 vcc_lo, 0, v180
	v_mov_b32_e32 v179, 0
	s_and_not1_b32 s13, s13, exec_lo
	s_delay_alu instid0(VALU_DEP_2) | instskip(NEXT) | instid1(SALU_CYCLE_1)
	s_and_b32 vcc_lo, vcc_lo, exec_lo
	s_or_b32 s13, s13, vcc_lo
	s_or_b32 exec_lo, exec_lo, s35
	s_and_saveexec_b32 s34, s13
	s_cbranch_execnz .LBB4_2573
	s_branch .LBB4_2574
.LBB4_3116:                             ;   in Loop: Header=BB4_1985 Depth=4
	s_mov_b32 s13, -1
	s_mov_b32 s36, exec_lo
                                        ; implicit-def: $sgpr34
	v_cmpx_eq_u16_e32 0x80, v43
; %bb.3117:                             ;   in Loop: Header=BB4_1985 Depth=4
	s_mov_b32 s34, 0x7f800001
	s_xor_b32 s13, exec_lo, -1
; %bb.3118:                             ;   in Loop: Header=BB4_1985 Depth=4
	s_or_b32 exec_lo, exec_lo, s36
	s_delay_alu instid0(SALU_CYCLE_1)
	s_and_b32 s13, s13, exec_lo
                                        ; implicit-def: $vgpr43
	s_or_saveexec_b32 s35, s35
	v_mov_b32_e32 v180, s34
	s_xor_b32 exec_lo, exec_lo, s35
	s_cbranch_execz .LBB4_2576
.LBB4_3119:                             ;   in Loop: Header=BB4_1985 Depth=4
	v_cmp_ne_u16_e32 vcc_lo, 0, v43
	v_mov_b32_e32 v180, 0
	s_and_not1_b32 s13, s13, exec_lo
	s_and_b32 vcc_lo, vcc_lo, exec_lo
	s_delay_alu instid0(SALU_CYCLE_1)
	s_or_b32 s13, s13, vcc_lo
	s_or_b32 exec_lo, exec_lo, s35
	s_and_saveexec_b32 s34, s13
	s_cbranch_execnz .LBB4_2577
	s_branch .LBB4_2578
.LBB4_3120:                             ;   in Loop: Header=BB4_1985 Depth=4
	s_mov_b32 s13, -1
	s_mov_b32 s36, exec_lo
                                        ; implicit-def: $sgpr34
	v_cmpx_eq_u16_e32 0x80, v43
; %bb.3121:                             ;   in Loop: Header=BB4_1985 Depth=4
	s_mov_b32 s34, 0x7f800001
	s_xor_b32 s13, exec_lo, -1
; %bb.3122:                             ;   in Loop: Header=BB4_1985 Depth=4
	s_or_b32 exec_lo, exec_lo, s36
	s_delay_alu instid0(SALU_CYCLE_1)
	s_and_b32 s13, s13, exec_lo
	s_or_saveexec_b32 s35, s35
	v_mov_b32_e32 v180, s34
	s_xor_b32 exec_lo, exec_lo, s35
	s_cbranch_execz .LBB4_2588
.LBB4_3123:                             ;   in Loop: Header=BB4_1985 Depth=4
	v_cmp_ne_u16_e32 vcc_lo, 0, v43
	v_mov_b32_e32 v180, 0
	s_and_not1_b32 s13, s13, exec_lo
	s_and_b32 vcc_lo, vcc_lo, exec_lo
	s_delay_alu instid0(SALU_CYCLE_1)
	s_or_b32 s13, s13, vcc_lo
	s_or_b32 exec_lo, exec_lo, s35
	s_and_saveexec_b32 s34, s13
	s_cbranch_execnz .LBB4_2589
	s_branch .LBB4_2590
.LBB4_3124:                             ;   in Loop: Header=BB4_1985 Depth=4
	s_mov_b32 s13, -1
	s_mov_b32 s36, exec_lo
                                        ; implicit-def: $sgpr34
	v_cmpx_eq_u16_e32 0x80, v43
; %bb.3125:                             ;   in Loop: Header=BB4_1985 Depth=4
	s_mov_b32 s34, 0x7f800001
	s_xor_b32 s13, exec_lo, -1
; %bb.3126:                             ;   in Loop: Header=BB4_1985 Depth=4
	s_or_b32 exec_lo, exec_lo, s36
	s_delay_alu instid0(SALU_CYCLE_1)
	s_and_b32 s13, s13, exec_lo
	s_or_saveexec_b32 s35, s35
	v_mov_b32_e32 v44, s34
	s_xor_b32 exec_lo, exec_lo, s35
	s_cbranch_execz .LBB4_2592
.LBB4_3127:                             ;   in Loop: Header=BB4_1985 Depth=4
	v_cmp_ne_u16_e32 vcc_lo, 0, v43
	v_mov_b32_e32 v44, 0
	s_and_not1_b32 s13, s13, exec_lo
	s_and_b32 vcc_lo, vcc_lo, exec_lo
	s_delay_alu instid0(SALU_CYCLE_1)
	s_or_b32 s13, s13, vcc_lo
	s_or_b32 exec_lo, exec_lo, s35
	s_and_saveexec_b32 s34, s13
	s_cbranch_execnz .LBB4_2593
	s_branch .LBB4_2594
.LBB4_3128:                             ;   in Loop: Header=BB4_1985 Depth=4
	s_mov_b32 s13, -1
	s_mov_b32 s36, exec_lo
                                        ; implicit-def: $sgpr34
	v_cmpx_eq_u16_e32 0x80, v43
; %bb.3129:                             ;   in Loop: Header=BB4_1985 Depth=4
	s_mov_b32 s34, 0x7f800001
	s_xor_b32 s13, exec_lo, -1
; %bb.3130:                             ;   in Loop: Header=BB4_1985 Depth=4
	s_or_b32 exec_lo, exec_lo, s36
	s_delay_alu instid0(SALU_CYCLE_1)
	s_and_b32 s13, s13, exec_lo
                                        ; implicit-def: $vgpr43
	s_or_saveexec_b32 s35, s35
	v_mov_b32_e32 v178, s34
	s_xor_b32 exec_lo, exec_lo, s35
	s_cbranch_execz .LBB4_2604
.LBB4_3131:                             ;   in Loop: Header=BB4_1985 Depth=4
	v_cmp_ne_u16_e32 vcc_lo, 0, v43
	v_mov_b32_e32 v178, 0
	s_and_not1_b32 s13, s13, exec_lo
	s_and_b32 vcc_lo, vcc_lo, exec_lo
	s_delay_alu instid0(SALU_CYCLE_1)
	s_or_b32 s13, s13, vcc_lo
	s_or_b32 exec_lo, exec_lo, s35
	v_lshl_or_b32 v181, v181, 16, v41
	s_and_saveexec_b32 s34, s13
	s_cbranch_execnz .LBB4_2605
	s_branch .LBB4_2606
.LBB4_3132:                             ;   in Loop: Header=BB4_1985 Depth=4
	s_mov_b32 s13, -1
	s_mov_b32 s36, exec_lo
                                        ; implicit-def: $sgpr34
	v_cmpx_eq_u16_e32 0x80, v44
; %bb.3133:                             ;   in Loop: Header=BB4_1985 Depth=4
	s_mov_b32 s34, 0x7f800001
	s_xor_b32 s13, exec_lo, -1
; %bb.3134:                             ;   in Loop: Header=BB4_1985 Depth=4
	s_or_b32 exec_lo, exec_lo, s36
	s_delay_alu instid0(SALU_CYCLE_1)
	s_and_b32 s13, s13, exec_lo
                                        ; implicit-def: $vgpr44
	s_or_saveexec_b32 s35, s35
	v_mov_b32_e32 v43, s34
	s_xor_b32 exec_lo, exec_lo, s35
	s_cbranch_execz .LBB4_2608
.LBB4_3135:                             ;   in Loop: Header=BB4_1985 Depth=4
	v_cmp_ne_u16_e32 vcc_lo, 0, v44
	v_mov_b32_e32 v43, 0
	s_and_not1_b32 s13, s13, exec_lo
	s_and_b32 vcc_lo, vcc_lo, exec_lo
	s_delay_alu instid0(SALU_CYCLE_1)
	s_or_b32 s13, s13, vcc_lo
	s_or_b32 exec_lo, exec_lo, s35
	s_and_saveexec_b32 s34, s13
	s_cbranch_execnz .LBB4_2609
	s_branch .LBB4_2610
.LBB4_3136:                             ;   in Loop: Header=BB4_1985 Depth=4
	s_mov_b32 s13, -1
	s_mov_b32 s36, exec_lo
                                        ; implicit-def: $sgpr34
	v_cmpx_eq_u16_e32 0x80, v43
; %bb.3137:                             ;   in Loop: Header=BB4_1985 Depth=4
	s_mov_b32 s34, 0x7f800001
	s_xor_b32 s13, exec_lo, -1
; %bb.3138:                             ;   in Loop: Header=BB4_1985 Depth=4
	s_or_b32 exec_lo, exec_lo, s36
	s_delay_alu instid0(SALU_CYCLE_1)
	s_and_b32 s13, s13, exec_lo
	s_or_saveexec_b32 s35, s35
	v_mov_b32_e32 v41, s34
	s_xor_b32 exec_lo, exec_lo, s35
	s_cbranch_execz .LBB4_2620
.LBB4_3139:                             ;   in Loop: Header=BB4_1985 Depth=4
	v_cmp_ne_u16_e32 vcc_lo, 0, v43
	v_mov_b32_e32 v41, 0
	s_and_not1_b32 s13, s13, exec_lo
	s_and_b32 vcc_lo, vcc_lo, exec_lo
	s_delay_alu instid0(SALU_CYCLE_1)
	s_or_b32 s13, s13, vcc_lo
	s_or_b32 exec_lo, exec_lo, s35
	s_and_saveexec_b32 s34, s13
	s_cbranch_execnz .LBB4_2621
	s_branch .LBB4_2622
.LBB4_3140:                             ;   in Loop: Header=BB4_1985 Depth=4
	s_mov_b32 s13, -1
	s_mov_b32 s36, exec_lo
                                        ; implicit-def: $sgpr34
	v_cmpx_eq_u16_e64 0x80, v181
; %bb.3141:                             ;   in Loop: Header=BB4_1985 Depth=4
	s_mov_b32 s34, 0x7f800001
	s_xor_b32 s13, exec_lo, -1
; %bb.3142:                             ;   in Loop: Header=BB4_1985 Depth=4
	s_or_b32 exec_lo, exec_lo, s36
	s_delay_alu instid0(SALU_CYCLE_1)
	s_and_b32 s13, s13, exec_lo
	s_or_saveexec_b32 s35, s35
	v_mov_b32_e32 v43, s34
	s_xor_b32 exec_lo, exec_lo, s35
	s_cbranch_execz .LBB4_2624
.LBB4_3143:                             ;   in Loop: Header=BB4_1985 Depth=4
	v_cmp_ne_u16_e64 vcc_lo, 0, v181
	v_mov_b32_e32 v43, 0
	s_and_not1_b32 s13, s13, exec_lo
	s_delay_alu instid0(VALU_DEP_2) | instskip(NEXT) | instid1(SALU_CYCLE_1)
	s_and_b32 vcc_lo, vcc_lo, exec_lo
	s_or_b32 s13, s13, vcc_lo
	s_or_b32 exec_lo, exec_lo, s35
	s_and_saveexec_b32 s34, s13
	s_cbranch_execnz .LBB4_2625
	s_branch .LBB4_2626
.LBB4_3144:                             ;   in Loop: Header=BB4_1985 Depth=4
	s_mov_b32 s13, -1
	s_mov_b32 s36, exec_lo
                                        ; implicit-def: $sgpr34
	v_cmpx_eq_u16_e32 0x80, v41
; %bb.3145:                             ;   in Loop: Header=BB4_1985 Depth=4
	s_mov_b32 s34, 0x7f800001
	s_xor_b32 s13, exec_lo, -1
; %bb.3146:                             ;   in Loop: Header=BB4_1985 Depth=4
	s_or_b32 exec_lo, exec_lo, s36
	s_delay_alu instid0(SALU_CYCLE_1)
	s_and_b32 s13, s13, exec_lo
                                        ; implicit-def: $vgpr41
	s_or_saveexec_b32 s35, s35
	v_mov_b32_e32 v181, s34
	s_xor_b32 exec_lo, exec_lo, s35
	s_cbranch_execz .LBB4_2636
.LBB4_3147:                             ;   in Loop: Header=BB4_1985 Depth=4
	v_cmp_ne_u16_e32 vcc_lo, 0, v41
	v_mov_b32_e32 v181, 0
	s_and_not1_b32 s13, s13, exec_lo
	s_and_b32 vcc_lo, vcc_lo, exec_lo
	s_delay_alu instid0(SALU_CYCLE_1)
	s_or_b32 s13, s13, vcc_lo
	s_or_b32 exec_lo, exec_lo, s35
	s_and_saveexec_b32 s34, s13
	s_cbranch_execnz .LBB4_2637
	s_branch .LBB4_2638
.LBB4_3148:                             ;   in Loop: Header=BB4_1985 Depth=4
	s_mov_b32 s13, -1
	s_mov_b32 s36, exec_lo
                                        ; implicit-def: $sgpr34
	v_cmpx_eq_u16_e32 0x80, v41
; %bb.3149:                             ;   in Loop: Header=BB4_1985 Depth=4
	s_mov_b32 s34, 0x7f800001
	s_xor_b32 s13, exec_lo, -1
; %bb.3150:                             ;   in Loop: Header=BB4_1985 Depth=4
	s_or_b32 exec_lo, exec_lo, s36
	s_delay_alu instid0(SALU_CYCLE_1)
	s_and_b32 s13, s13, exec_lo
                                        ; implicit-def: $vgpr41
	s_or_saveexec_b32 s35, s35
	v_mov_b32_e32 v176, s34
	s_xor_b32 exec_lo, exec_lo, s35
	s_cbranch_execz .LBB4_2640
.LBB4_3151:                             ;   in Loop: Header=BB4_1985 Depth=4
	v_cmp_ne_u16_e32 vcc_lo, 0, v41
	v_mov_b32_e32 v176, 0
	s_and_not1_b32 s13, s13, exec_lo
	s_and_b32 vcc_lo, vcc_lo, exec_lo
	s_delay_alu instid0(SALU_CYCLE_1)
	s_or_b32 s13, s13, vcc_lo
	s_or_b32 exec_lo, exec_lo, s35
	s_and_saveexec_b32 s34, s13
	s_cbranch_execnz .LBB4_2641
	s_branch .LBB4_2642
.LBB4_3152:                             ;   in Loop: Header=BB4_1985 Depth=4
	s_mov_b32 s13, -1
	s_mov_b32 s36, exec_lo
                                        ; implicit-def: $sgpr34
	v_cmpx_eq_u16_e32 0x80, v41
; %bb.3153:                             ;   in Loop: Header=BB4_1985 Depth=4
	s_mov_b32 s34, 0x7f800001
	s_xor_b32 s13, exec_lo, -1
; %bb.3154:                             ;   in Loop: Header=BB4_1985 Depth=4
	s_or_b32 exec_lo, exec_lo, s36
	s_delay_alu instid0(SALU_CYCLE_1)
	s_and_b32 s13, s13, exec_lo
                                        ; implicit-def: $vgpr41
	s_or_saveexec_b32 s35, s35
	v_mov_b32_e32 v181, s34
	s_xor_b32 exec_lo, exec_lo, s35
	s_cbranch_execz .LBB4_2652
.LBB4_3155:                             ;   in Loop: Header=BB4_1985 Depth=4
	v_cmp_ne_u16_e32 vcc_lo, 0, v41
	v_mov_b32_e32 v181, 0
	s_and_not1_b32 s13, s13, exec_lo
	s_and_b32 vcc_lo, vcc_lo, exec_lo
	s_delay_alu instid0(SALU_CYCLE_1)
	s_or_b32 s13, s13, vcc_lo
	s_or_b32 exec_lo, exec_lo, s35
	s_and_saveexec_b32 s34, s13
	s_cbranch_execnz .LBB4_2653
	s_branch .LBB4_2654
.LBB4_3156:                             ;   in Loop: Header=BB4_1985 Depth=4
	s_mov_b32 s13, -1
	s_mov_b32 s36, exec_lo
                                        ; implicit-def: $sgpr34
	v_cmpx_eq_u16_e64 0x80, v165
; %bb.3157:                             ;   in Loop: Header=BB4_1985 Depth=4
	s_mov_b32 s34, 0x7f800001
	s_xor_b32 s13, exec_lo, -1
; %bb.3158:                             ;   in Loop: Header=BB4_1985 Depth=4
	s_or_b32 exec_lo, exec_lo, s36
	s_delay_alu instid0(SALU_CYCLE_1)
	s_and_b32 s13, s13, exec_lo
	s_or_saveexec_b32 s35, s35
	v_mov_b32_e32 v41, s34
	s_xor_b32 exec_lo, exec_lo, s35
	s_cbranch_execz .LBB4_2656
.LBB4_3159:                             ;   in Loop: Header=BB4_1985 Depth=4
	v_cmp_ne_u16_e64 vcc_lo, 0, v165
	v_mov_b32_e32 v41, 0
	s_and_not1_b32 s13, s13, exec_lo
	s_delay_alu instid0(VALU_DEP_2) | instskip(NEXT) | instid1(SALU_CYCLE_1)
	s_and_b32 vcc_lo, vcc_lo, exec_lo
	s_or_b32 s13, s13, vcc_lo
	s_or_b32 exec_lo, exec_lo, s35
	s_and_saveexec_b32 s34, s13
	s_cbranch_execnz .LBB4_2657
	s_branch .LBB4_2658
.LBB4_3160:                             ;   in Loop: Header=BB4_1985 Depth=4
	s_mov_b32 s13, -1
	s_mov_b32 s36, exec_lo
                                        ; implicit-def: $sgpr34
	v_cmpx_eq_u16_e32 0x80, v41
; %bb.3161:                             ;   in Loop: Header=BB4_1985 Depth=4
	s_mov_b32 s34, 0x7f800001
	s_xor_b32 s13, exec_lo, -1
; %bb.3162:                             ;   in Loop: Header=BB4_1985 Depth=4
	s_or_b32 exec_lo, exec_lo, s36
	s_delay_alu instid0(SALU_CYCLE_1)
	s_and_b32 s13, s13, exec_lo
                                        ; implicit-def: $vgpr41
	s_or_saveexec_b32 s35, s35
	v_mov_b32_e32 v181, s34
	s_xor_b32 exec_lo, exec_lo, s35
	s_cbranch_execz .LBB4_2668
.LBB4_3163:                             ;   in Loop: Header=BB4_1985 Depth=4
	v_cmp_ne_u16_e32 vcc_lo, 0, v41
	v_mov_b32_e32 v181, 0
	s_and_not1_b32 s13, s13, exec_lo
	s_and_b32 vcc_lo, vcc_lo, exec_lo
	s_delay_alu instid0(SALU_CYCLE_1)
	s_or_b32 s13, s13, vcc_lo
	s_or_b32 exec_lo, exec_lo, s35
	s_and_saveexec_b32 s34, s13
	s_cbranch_execnz .LBB4_2669
	s_branch .LBB4_2670
.LBB4_3164:                             ;   in Loop: Header=BB4_1985 Depth=4
	s_mov_b32 s13, -1
	s_mov_b32 s36, exec_lo
                                        ; implicit-def: $sgpr34
	v_cmpx_eq_u16_e32 0x80, v43
; %bb.3165:                             ;   in Loop: Header=BB4_1985 Depth=4
	s_mov_b32 s34, 0x7f800001
	s_xor_b32 s13, exec_lo, -1
; %bb.3166:                             ;   in Loop: Header=BB4_1985 Depth=4
	s_or_b32 exec_lo, exec_lo, s36
	s_delay_alu instid0(SALU_CYCLE_1)
	s_and_b32 s13, s13, exec_lo
                                        ; implicit-def: $vgpr43
	s_or_saveexec_b32 s35, s35
	v_mov_b32_e32 v41, s34
	s_xor_b32 exec_lo, exec_lo, s35
	s_cbranch_execz .LBB4_2672
.LBB4_3167:                             ;   in Loop: Header=BB4_1985 Depth=4
	v_cmp_ne_u16_e32 vcc_lo, 0, v43
	v_mov_b32_e32 v41, 0
	s_and_not1_b32 s13, s13, exec_lo
	s_and_b32 vcc_lo, vcc_lo, exec_lo
	s_delay_alu instid0(SALU_CYCLE_1)
	s_or_b32 s13, s13, vcc_lo
	s_or_b32 exec_lo, exec_lo, s35
	s_and_saveexec_b32 s34, s13
	s_cbranch_execnz .LBB4_2673
	s_branch .LBB4_2674
.LBB4_3168:                             ;   in Loop: Header=BB4_1985 Depth=4
	s_mov_b32 s13, -1
	s_mov_b32 s36, exec_lo
                                        ; implicit-def: $sgpr34
	v_cmpx_eq_u16_e32 0x80, v41
; %bb.3169:                             ;   in Loop: Header=BB4_1985 Depth=4
	s_mov_b32 s34, 0x7f800001
	s_xor_b32 s13, exec_lo, -1
; %bb.3170:                             ;   in Loop: Header=BB4_1985 Depth=4
	s_or_b32 exec_lo, exec_lo, s36
	s_delay_alu instid0(SALU_CYCLE_1)
	s_and_b32 s13, s13, exec_lo
	s_or_saveexec_b32 s35, s35
	v_mov_b32_e32 v181, s34
	s_xor_b32 exec_lo, exec_lo, s35
	s_cbranch_execz .LBB4_2684
.LBB4_3171:                             ;   in Loop: Header=BB4_1985 Depth=4
	v_cmp_ne_u16_e32 vcc_lo, 0, v41
	v_mov_b32_e32 v181, 0
	s_and_not1_b32 s13, s13, exec_lo
	s_and_b32 vcc_lo, vcc_lo, exec_lo
	s_delay_alu instid0(SALU_CYCLE_1)
	s_or_b32 s13, s13, vcc_lo
	s_or_b32 exec_lo, exec_lo, s35
	s_and_saveexec_b32 s34, s13
	s_cbranch_execnz .LBB4_2685
	s_branch .LBB4_2686
.LBB4_3172:                             ;   in Loop: Header=BB4_1985 Depth=4
	s_mov_b32 s13, -1
	s_mov_b32 s36, exec_lo
                                        ; implicit-def: $sgpr34
	v_cmpx_eq_u16_e64 0x80, v162
; %bb.3173:                             ;   in Loop: Header=BB4_1985 Depth=4
	s_mov_b32 s34, 0x7f800001
	s_xor_b32 s13, exec_lo, -1
; %bb.3174:                             ;   in Loop: Header=BB4_1985 Depth=4
	s_or_b32 exec_lo, exec_lo, s36
	s_delay_alu instid0(SALU_CYCLE_1)
	s_and_b32 s13, s13, exec_lo
	s_or_saveexec_b32 s35, s35
	v_mov_b32_e32 v41, s34
	s_xor_b32 exec_lo, exec_lo, s35
	s_cbranch_execz .LBB4_2688
.LBB4_3175:                             ;   in Loop: Header=BB4_1985 Depth=4
	v_cmp_ne_u16_e64 vcc_lo, 0, v162
	v_mov_b32_e32 v41, 0
	s_and_not1_b32 s13, s13, exec_lo
	s_delay_alu instid0(VALU_DEP_2) | instskip(NEXT) | instid1(SALU_CYCLE_1)
	s_and_b32 vcc_lo, vcc_lo, exec_lo
	s_or_b32 s13, s13, vcc_lo
	s_or_b32 exec_lo, exec_lo, s35
	s_and_saveexec_b32 s34, s13
	s_cbranch_execnz .LBB4_2689
	s_branch .LBB4_2690
.LBB4_3176:                             ;   in Loop: Header=BB4_1985 Depth=4
	s_mov_b32 s13, -1
	s_mov_b32 s36, exec_lo
                                        ; implicit-def: $sgpr34
	v_cmpx_eq_u16_e64 0x80, v162
; %bb.3177:                             ;   in Loop: Header=BB4_1985 Depth=4
	s_mov_b32 s34, 0x7f800001
	s_xor_b32 s13, exec_lo, -1
; %bb.3178:                             ;   in Loop: Header=BB4_1985 Depth=4
	s_or_b32 exec_lo, exec_lo, s36
	s_delay_alu instid0(SALU_CYCLE_1)
	s_and_b32 s13, s13, exec_lo
                                        ; implicit-def: $vgpr162
	s_or_saveexec_b32 s35, s35
	v_mov_b32_e32 v161, s34
	s_xor_b32 exec_lo, exec_lo, s35
	s_cbranch_execz .LBB4_2700
.LBB4_3179:                             ;   in Loop: Header=BB4_1985 Depth=4
	v_cmp_ne_u16_e64 vcc_lo, 0, v162
	v_mov_b32_e32 v161, 0
	s_and_not1_b32 s13, s13, exec_lo
	s_delay_alu instid0(VALU_DEP_2) | instskip(NEXT) | instid1(SALU_CYCLE_1)
	s_and_b32 vcc_lo, vcc_lo, exec_lo
	s_or_b32 s13, s13, vcc_lo
	s_or_b32 exec_lo, exec_lo, s35
	s_and_saveexec_b32 s34, s13
	s_cbranch_execnz .LBB4_2701
	s_branch .LBB4_2702
.LBB4_3180:                             ;   in Loop: Header=BB4_1985 Depth=4
	s_mov_b32 s13, -1
	s_mov_b32 s36, exec_lo
                                        ; implicit-def: $sgpr34
	v_cmpx_eq_u16_e64 0x80, v181
; %bb.3181:                             ;   in Loop: Header=BB4_1985 Depth=4
	s_mov_b32 s34, 0x7f800001
	s_xor_b32 s13, exec_lo, -1
; %bb.3182:                             ;   in Loop: Header=BB4_1985 Depth=4
	s_or_b32 exec_lo, exec_lo, s36
	s_delay_alu instid0(SALU_CYCLE_1)
	s_and_b32 s13, s13, exec_lo
                                        ; implicit-def: $vgpr181
	s_or_saveexec_b32 s35, s35
	v_mov_b32_e32 v162, s34
	s_xor_b32 exec_lo, exec_lo, s35
	s_cbranch_execz .LBB4_2704
.LBB4_3183:                             ;   in Loop: Header=BB4_1985 Depth=4
	v_cmp_ne_u16_e64 vcc_lo, 0, v181
	v_mov_b32_e32 v162, 0
	s_and_not1_b32 s13, s13, exec_lo
	s_delay_alu instid0(VALU_DEP_2) | instskip(NEXT) | instid1(SALU_CYCLE_1)
	s_and_b32 vcc_lo, vcc_lo, exec_lo
	s_or_b32 s13, s13, vcc_lo
	s_or_b32 exec_lo, exec_lo, s35
	s_and_saveexec_b32 s34, s13
	s_cbranch_execnz .LBB4_2705
	s_branch .LBB4_2706
.LBB4_3184:                             ;   in Loop: Header=BB4_1985 Depth=4
	s_mov_b32 s13, -1
	s_mov_b32 s36, exec_lo
                                        ; implicit-def: $sgpr34
	v_cmpx_eq_u16_e64 0x80, v181
; %bb.3185:                             ;   in Loop: Header=BB4_1985 Depth=4
	s_mov_b32 s34, 0x7f800001
	s_xor_b32 s13, exec_lo, -1
; %bb.3186:                             ;   in Loop: Header=BB4_1985 Depth=4
	s_or_b32 exec_lo, exec_lo, s36
	s_delay_alu instid0(SALU_CYCLE_1)
	s_and_b32 s13, s13, exec_lo
	s_or_saveexec_b32 s35, s35
	v_mov_b32_e32 v162, s34
	s_xor_b32 exec_lo, exec_lo, s35
	s_cbranch_execz .LBB4_2716
.LBB4_3187:                             ;   in Loop: Header=BB4_1985 Depth=4
	v_cmp_ne_u16_e64 vcc_lo, 0, v181
	v_mov_b32_e32 v162, 0
	s_and_not1_b32 s13, s13, exec_lo
	s_delay_alu instid0(VALU_DEP_2) | instskip(NEXT) | instid1(SALU_CYCLE_1)
	s_and_b32 vcc_lo, vcc_lo, exec_lo
	s_or_b32 s13, s13, vcc_lo
	s_or_b32 exec_lo, exec_lo, s35
	s_and_saveexec_b32 s34, s13
	s_cbranch_execnz .LBB4_2717
	s_branch .LBB4_2718
.LBB4_3188:                             ;   in Loop: Header=BB4_1985 Depth=4
	s_mov_b32 s13, -1
	s_mov_b32 s36, exec_lo
                                        ; implicit-def: $sgpr34
	v_cmpx_eq_u16_e64 0x80, v181
; %bb.3189:                             ;   in Loop: Header=BB4_1985 Depth=4
	s_mov_b32 s34, 0x7f800001
	s_xor_b32 s13, exec_lo, -1
; %bb.3190:                             ;   in Loop: Header=BB4_1985 Depth=4
	s_or_b32 exec_lo, exec_lo, s36
	s_delay_alu instid0(SALU_CYCLE_1)
	s_and_b32 s13, s13, exec_lo
	s_or_saveexec_b32 s35, s35
	v_mov_b32_e32 v41, s34
	s_xor_b32 exec_lo, exec_lo, s35
	s_cbranch_execz .LBB4_2720
.LBB4_3191:                             ;   in Loop: Header=BB4_1985 Depth=4
	v_cmp_ne_u16_e64 vcc_lo, 0, v181
	v_mov_b32_e32 v41, 0
	s_and_not1_b32 s13, s13, exec_lo
	s_delay_alu instid0(VALU_DEP_2) | instskip(NEXT) | instid1(SALU_CYCLE_1)
	s_and_b32 vcc_lo, vcc_lo, exec_lo
	s_or_b32 s13, s13, vcc_lo
	s_or_b32 exec_lo, exec_lo, s35
	s_and_saveexec_b32 s34, s13
	s_cbranch_execnz .LBB4_2721
	s_branch .LBB4_2722
.LBB4_3192:                             ;   in Loop: Header=BB4_1985 Depth=4
	s_mov_b32 s13, -1
	s_mov_b32 s36, exec_lo
                                        ; implicit-def: $sgpr34
	v_cmpx_eq_u16_e64 0x80, v181
; %bb.3193:                             ;   in Loop: Header=BB4_1985 Depth=4
	s_mov_b32 s34, 0x7f800001
	s_xor_b32 s13, exec_lo, -1
; %bb.3194:                             ;   in Loop: Header=BB4_1985 Depth=4
	s_or_b32 exec_lo, exec_lo, s36
	s_delay_alu instid0(SALU_CYCLE_1)
	s_and_b32 s13, s13, exec_lo
                                        ; implicit-def: $vgpr181
	s_or_saveexec_b32 s35, s35
	v_mov_b32_e32 v160, s34
	s_xor_b32 exec_lo, exec_lo, s35
	s_cbranch_execz .LBB4_2732
.LBB4_3195:                             ;   in Loop: Header=BB4_1985 Depth=4
	v_cmp_ne_u16_e64 vcc_lo, 0, v181
	v_mov_b32_e32 v160, 0
	s_and_not1_b32 s13, s13, exec_lo
	s_delay_alu instid0(VALU_DEP_2) | instskip(NEXT) | instid1(SALU_CYCLE_1)
	s_and_b32 vcc_lo, vcc_lo, exec_lo
	s_or_b32 s13, s13, vcc_lo
	s_or_b32 exec_lo, exec_lo, s35
	v_lshl_or_b32 v163, v163, 16, v167
	s_and_saveexec_b32 s34, s13
	s_cbranch_execnz .LBB4_2733
	s_branch .LBB4_2734
.LBB4_3196:                             ;   in Loop: Header=BB4_1985 Depth=4
	s_mov_b32 s13, -1
	s_mov_b32 s36, exec_lo
                                        ; implicit-def: $sgpr34
	v_cmpx_eq_u16_e32 0x80, v41
; %bb.3197:                             ;   in Loop: Header=BB4_1985 Depth=4
	s_mov_b32 s34, 0x7f800001
	s_xor_b32 s13, exec_lo, -1
; %bb.3198:                             ;   in Loop: Header=BB4_1985 Depth=4
	s_or_b32 exec_lo, exec_lo, s36
	s_delay_alu instid0(SALU_CYCLE_1)
	s_and_b32 s13, s13, exec_lo
                                        ; implicit-def: $vgpr41
	s_or_saveexec_b32 s35, s35
	v_mov_b32_e32 v181, s34
	s_xor_b32 exec_lo, exec_lo, s35
	s_cbranch_execz .LBB4_2736
.LBB4_3199:                             ;   in Loop: Header=BB4_1985 Depth=4
	v_cmp_ne_u16_e32 vcc_lo, 0, v41
	v_mov_b32_e32 v181, 0
	s_and_not1_b32 s13, s13, exec_lo
	s_and_b32 vcc_lo, vcc_lo, exec_lo
	s_delay_alu instid0(SALU_CYCLE_1)
	s_or_b32 s13, s13, vcc_lo
	s_or_b32 exec_lo, exec_lo, s35
	s_and_saveexec_b32 s34, s13
	s_cbranch_execnz .LBB4_2737
	s_branch .LBB4_2738
.LBB4_3200:                             ;   in Loop: Header=BB4_1985 Depth=4
	s_mov_b32 s13, -1
	s_mov_b32 s36, exec_lo
                                        ; implicit-def: $sgpr34
	v_cmpx_eq_u16_e64 0x80, v181
; %bb.3201:                             ;   in Loop: Header=BB4_1985 Depth=4
	s_mov_b32 s34, 0x7f800001
	s_xor_b32 s13, exec_lo, -1
; %bb.3202:                             ;   in Loop: Header=BB4_1985 Depth=4
	s_or_b32 exec_lo, exec_lo, s36
	s_delay_alu instid0(SALU_CYCLE_1)
	s_and_b32 s13, s13, exec_lo
	s_or_saveexec_b32 s35, s35
	v_mov_b32_e32 v167, s34
	s_xor_b32 exec_lo, exec_lo, s35
	s_cbranch_execz .LBB4_2748
.LBB4_3203:                             ;   in Loop: Header=BB4_1985 Depth=4
	v_cmp_ne_u16_e64 vcc_lo, 0, v181
	v_mov_b32_e32 v167, 0
	s_and_not1_b32 s13, s13, exec_lo
	s_delay_alu instid0(VALU_DEP_2) | instskip(NEXT) | instid1(SALU_CYCLE_1)
	s_and_b32 vcc_lo, vcc_lo, exec_lo
	s_or_b32 s13, s13, vcc_lo
	s_or_b32 exec_lo, exec_lo, s35
	s_and_saveexec_b32 s34, s13
	s_cbranch_execnz .LBB4_2749
	s_branch .LBB4_2750
.LBB4_3204:                             ;   in Loop: Header=BB4_1985 Depth=4
	s_mov_b32 s13, -1
	s_mov_b32 s36, exec_lo
                                        ; implicit-def: $sgpr34
	v_cmpx_eq_u16_e64 0x80, v163
; %bb.3205:                             ;   in Loop: Header=BB4_1985 Depth=4
	s_mov_b32 s34, 0x7f800001
	s_xor_b32 s13, exec_lo, -1
; %bb.3206:                             ;   in Loop: Header=BB4_1985 Depth=4
	s_or_b32 exec_lo, exec_lo, s36
	s_delay_alu instid0(SALU_CYCLE_1)
	s_and_b32 s13, s13, exec_lo
	s_or_saveexec_b32 s35, s35
	v_mov_b32_e32 v181, s34
	s_xor_b32 exec_lo, exec_lo, s35
	s_cbranch_execz .LBB4_2752
.LBB4_3207:                             ;   in Loop: Header=BB4_1985 Depth=4
	v_cmp_ne_u16_e64 vcc_lo, 0, v163
	v_mov_b32_e32 v181, 0
	s_and_not1_b32 s13, s13, exec_lo
	s_delay_alu instid0(VALU_DEP_2) | instskip(NEXT) | instid1(SALU_CYCLE_1)
	s_and_b32 vcc_lo, vcc_lo, exec_lo
	s_or_b32 s13, s13, vcc_lo
	s_or_b32 exec_lo, exec_lo, s35
	s_and_saveexec_b32 s34, s13
	s_cbranch_execnz .LBB4_2753
	s_branch .LBB4_2754
.LBB4_3208:                             ;   in Loop: Header=BB4_1985 Depth=4
	s_mov_b32 s13, -1
	s_mov_b32 s36, exec_lo
                                        ; implicit-def: $sgpr34
	v_cmpx_eq_u16_e64 0x80, v167
; %bb.3209:                             ;   in Loop: Header=BB4_1985 Depth=4
	s_mov_b32 s34, 0x7f800001
	s_xor_b32 s13, exec_lo, -1
; %bb.3210:                             ;   in Loop: Header=BB4_1985 Depth=4
	s_or_b32 exec_lo, exec_lo, s36
	s_delay_alu instid0(SALU_CYCLE_1)
	s_and_b32 s13, s13, exec_lo
                                        ; implicit-def: $vgpr167
	s_or_saveexec_b32 s35, s35
	v_mov_b32_e32 v163, s34
	s_xor_b32 exec_lo, exec_lo, s35
	s_cbranch_execz .LBB4_2764
.LBB4_3211:                             ;   in Loop: Header=BB4_1985 Depth=4
	v_cmp_ne_u16_e64 vcc_lo, 0, v167
	v_mov_b32_e32 v163, 0
	s_and_not1_b32 s13, s13, exec_lo
	s_delay_alu instid0(VALU_DEP_2) | instskip(NEXT) | instid1(SALU_CYCLE_1)
	s_and_b32 vcc_lo, vcc_lo, exec_lo
	s_or_b32 s13, s13, vcc_lo
	s_or_b32 exec_lo, exec_lo, s35
	s_and_saveexec_b32 s34, s13
	s_cbranch_execnz .LBB4_2765
	s_branch .LBB4_2766
.LBB4_3212:                             ;   in Loop: Header=BB4_1985 Depth=4
	s_mov_b32 s13, -1
	s_mov_b32 s36, exec_lo
                                        ; implicit-def: $sgpr34
	v_cmpx_eq_u16_e64 0x80, v167
; %bb.3213:                             ;   in Loop: Header=BB4_1985 Depth=4
	s_mov_b32 s34, 0x7f800001
	s_xor_b32 s13, exec_lo, -1
; %bb.3214:                             ;   in Loop: Header=BB4_1985 Depth=4
	s_or_b32 exec_lo, exec_lo, s36
	s_delay_alu instid0(SALU_CYCLE_1)
	s_and_b32 s13, s13, exec_lo
                                        ; implicit-def: $vgpr167
	s_or_saveexec_b32 s35, s35
	v_mov_b32_e32 v150, s34
	s_xor_b32 exec_lo, exec_lo, s35
	s_cbranch_execz .LBB4_2768
.LBB4_3215:                             ;   in Loop: Header=BB4_1985 Depth=4
	v_cmp_ne_u16_e64 vcc_lo, 0, v167
	v_mov_b32_e32 v150, 0
	s_and_not1_b32 s13, s13, exec_lo
	s_delay_alu instid0(VALU_DEP_2) | instskip(NEXT) | instid1(SALU_CYCLE_1)
	s_and_b32 vcc_lo, vcc_lo, exec_lo
	s_or_b32 s13, s13, vcc_lo
	s_or_b32 exec_lo, exec_lo, s35
	s_and_saveexec_b32 s34, s13
	s_cbranch_execnz .LBB4_2769
	s_branch .LBB4_2770
.LBB4_3216:                             ;   in Loop: Header=BB4_1985 Depth=4
	s_mov_b32 s13, -1
	s_mov_b32 s36, exec_lo
                                        ; implicit-def: $sgpr34
	v_cmpx_eq_u16_e64 0x80, v167
; %bb.3217:                             ;   in Loop: Header=BB4_1985 Depth=4
	s_mov_b32 s34, 0x7f800001
	s_xor_b32 s13, exec_lo, -1
; %bb.3218:                             ;   in Loop: Header=BB4_1985 Depth=4
	s_or_b32 exec_lo, exec_lo, s36
	s_delay_alu instid0(SALU_CYCLE_1)
	s_and_b32 s13, s13, exec_lo
                                        ; implicit-def: $vgpr167
	s_or_saveexec_b32 s35, s35
	v_mov_b32_e32 v163, s34
	s_xor_b32 exec_lo, exec_lo, s35
	s_cbranch_execz .LBB4_2780
.LBB4_3219:                             ;   in Loop: Header=BB4_1985 Depth=4
	v_cmp_ne_u16_e64 vcc_lo, 0, v167
	v_mov_b32_e32 v163, 0
	s_and_not1_b32 s13, s13, exec_lo
	s_delay_alu instid0(VALU_DEP_2) | instskip(NEXT) | instid1(SALU_CYCLE_1)
	s_and_b32 vcc_lo, vcc_lo, exec_lo
	s_or_b32 s13, s13, vcc_lo
	s_or_b32 exec_lo, exec_lo, s35
	s_and_saveexec_b32 s34, s13
	s_cbranch_execnz .LBB4_2781
	s_branch .LBB4_2782
.LBB4_3220:                             ;   in Loop: Header=BB4_1985 Depth=4
	s_mov_b32 s13, -1
	s_mov_b32 s36, exec_lo
                                        ; implicit-def: $sgpr34
	v_cmpx_eq_u16_e64 0x80, v148
; %bb.3221:                             ;   in Loop: Header=BB4_1985 Depth=4
	s_mov_b32 s34, 0x7f800001
	s_xor_b32 s13, exec_lo, -1
; %bb.3222:                             ;   in Loop: Header=BB4_1985 Depth=4
	s_or_b32 exec_lo, exec_lo, s36
	s_delay_alu instid0(SALU_CYCLE_1)
	s_and_b32 s13, s13, exec_lo
	s_or_saveexec_b32 s35, s35
	v_mov_b32_e32 v167, s34
	s_xor_b32 exec_lo, exec_lo, s35
	s_cbranch_execz .LBB4_2784
.LBB4_3223:                             ;   in Loop: Header=BB4_1985 Depth=4
	v_cmp_ne_u16_e64 vcc_lo, 0, v148
	v_mov_b32_e32 v167, 0
	s_and_not1_b32 s13, s13, exec_lo
	s_delay_alu instid0(VALU_DEP_2) | instskip(NEXT) | instid1(SALU_CYCLE_1)
	s_and_b32 vcc_lo, vcc_lo, exec_lo
	s_or_b32 s13, s13, vcc_lo
	s_or_b32 exec_lo, exec_lo, s35
	s_and_saveexec_b32 s34, s13
	s_cbranch_execnz .LBB4_2785
	s_branch .LBB4_2786
.LBB4_3224:                             ;   in Loop: Header=BB4_1985 Depth=4
	s_mov_b32 s13, -1
	s_mov_b32 s36, exec_lo
                                        ; implicit-def: $sgpr34
	v_cmpx_eq_u16_e64 0x80, v167
; %bb.3225:                             ;   in Loop: Header=BB4_1985 Depth=4
	s_mov_b32 s34, 0x7f800001
	s_xor_b32 s13, exec_lo, -1
; %bb.3226:                             ;   in Loop: Header=BB4_1985 Depth=4
	s_or_b32 exec_lo, exec_lo, s36
	s_delay_alu instid0(SALU_CYCLE_1)
	s_and_b32 s13, s13, exec_lo
                                        ; implicit-def: $vgpr167
	s_or_saveexec_b32 s35, s35
	v_mov_b32_e32 v163, s34
	s_xor_b32 exec_lo, exec_lo, s35
	s_cbranch_execz .LBB4_2796
.LBB4_3227:                             ;   in Loop: Header=BB4_1985 Depth=4
	v_cmp_ne_u16_e64 vcc_lo, 0, v167
	v_mov_b32_e32 v163, 0
	s_and_not1_b32 s13, s13, exec_lo
	s_delay_alu instid0(VALU_DEP_2) | instskip(NEXT) | instid1(SALU_CYCLE_1)
	s_and_b32 vcc_lo, vcc_lo, exec_lo
	s_or_b32 s13, s13, vcc_lo
	s_or_b32 exec_lo, exec_lo, s35
	s_and_saveexec_b32 s34, s13
	s_cbranch_execnz .LBB4_2797
	s_branch .LBB4_2798
.LBB4_3228:                             ;   in Loop: Header=BB4_1985 Depth=4
	s_mov_b32 s13, -1
	s_mov_b32 s36, exec_lo
                                        ; implicit-def: $sgpr34
	v_cmpx_eq_u16_e64 0x80, v181
; %bb.3229:                             ;   in Loop: Header=BB4_1985 Depth=4
	s_mov_b32 s34, 0x7f800001
	s_xor_b32 s13, exec_lo, -1
; %bb.3230:                             ;   in Loop: Header=BB4_1985 Depth=4
	s_or_b32 exec_lo, exec_lo, s36
	s_delay_alu instid0(SALU_CYCLE_1)
	s_and_b32 s13, s13, exec_lo
                                        ; implicit-def: $vgpr181
	s_or_saveexec_b32 s35, s35
	v_mov_b32_e32 v167, s34
	s_xor_b32 exec_lo, exec_lo, s35
	s_cbranch_execz .LBB4_2800
.LBB4_3231:                             ;   in Loop: Header=BB4_1985 Depth=4
	v_cmp_ne_u16_e64 vcc_lo, 0, v181
	v_mov_b32_e32 v167, 0
	s_and_not1_b32 s13, s13, exec_lo
	s_delay_alu instid0(VALU_DEP_2) | instskip(NEXT) | instid1(SALU_CYCLE_1)
	s_and_b32 vcc_lo, vcc_lo, exec_lo
	s_or_b32 s13, s13, vcc_lo
	s_or_b32 exec_lo, exec_lo, s35
	s_and_saveexec_b32 s34, s13
	s_cbranch_execnz .LBB4_2801
	s_branch .LBB4_2802
.LBB4_3232:                             ;   in Loop: Header=BB4_1985 Depth=4
	s_mov_b32 s13, -1
	s_mov_b32 s36, exec_lo
                                        ; implicit-def: $sgpr34
	v_cmpx_eq_u16_e64 0x80, v167
; %bb.3233:                             ;   in Loop: Header=BB4_1985 Depth=4
	s_mov_b32 s34, 0x7f800001
	s_xor_b32 s13, exec_lo, -1
; %bb.3234:                             ;   in Loop: Header=BB4_1985 Depth=4
	s_or_b32 exec_lo, exec_lo, s36
	s_delay_alu instid0(SALU_CYCLE_1)
	s_and_b32 s13, s13, exec_lo
	s_or_saveexec_b32 s35, s35
	v_mov_b32_e32 v163, s34
	s_xor_b32 exec_lo, exec_lo, s35
	s_cbranch_execz .LBB4_2812
.LBB4_3235:                             ;   in Loop: Header=BB4_1985 Depth=4
	v_cmp_ne_u16_e64 vcc_lo, 0, v167
	v_mov_b32_e32 v163, 0
	s_and_not1_b32 s13, s13, exec_lo
	s_delay_alu instid0(VALU_DEP_2) | instskip(NEXT) | instid1(SALU_CYCLE_1)
	s_and_b32 vcc_lo, vcc_lo, exec_lo
	s_or_b32 s13, s13, vcc_lo
	s_or_b32 exec_lo, exec_lo, s35
	s_and_saveexec_b32 s34, s13
	s_cbranch_execnz .LBB4_2813
	s_branch .LBB4_2814
.LBB4_3236:                             ;   in Loop: Header=BB4_1985 Depth=4
	s_mov_b32 s13, -1
	s_mov_b32 s36, exec_lo
                                        ; implicit-def: $sgpr34
	v_cmpx_eq_u16_e64 0x80, v144
; %bb.3237:                             ;   in Loop: Header=BB4_1985 Depth=4
	s_mov_b32 s34, 0x7f800001
	s_xor_b32 s13, exec_lo, -1
; %bb.3238:                             ;   in Loop: Header=BB4_1985 Depth=4
	s_or_b32 exec_lo, exec_lo, s36
	s_delay_alu instid0(SALU_CYCLE_1)
	s_and_b32 s13, s13, exec_lo
	s_or_saveexec_b32 s35, s35
	v_mov_b32_e32 v167, s34
	s_xor_b32 exec_lo, exec_lo, s35
	s_cbranch_execz .LBB4_2816
.LBB4_3239:                             ;   in Loop: Header=BB4_1985 Depth=4
	v_cmp_ne_u16_e64 vcc_lo, 0, v144
	v_mov_b32_e32 v167, 0
	s_and_not1_b32 s13, s13, exec_lo
	s_delay_alu instid0(VALU_DEP_2) | instskip(NEXT) | instid1(SALU_CYCLE_1)
	s_and_b32 vcc_lo, vcc_lo, exec_lo
	s_or_b32 s13, s13, vcc_lo
	s_or_b32 exec_lo, exec_lo, s35
	s_and_saveexec_b32 s34, s13
	s_cbranch_execnz .LBB4_2817
	s_branch .LBB4_2818
.LBB4_3240:                             ;   in Loop: Header=BB4_1985 Depth=4
	s_mov_b32 s13, -1
	s_mov_b32 s36, exec_lo
                                        ; implicit-def: $sgpr34
	v_cmpx_eq_u16_e64 0x80, v144
; %bb.3241:                             ;   in Loop: Header=BB4_1985 Depth=4
	s_mov_b32 s34, 0x7f800001
	s_xor_b32 s13, exec_lo, -1
; %bb.3242:                             ;   in Loop: Header=BB4_1985 Depth=4
	s_or_b32 exec_lo, exec_lo, s36
	s_delay_alu instid0(SALU_CYCLE_1)
	s_and_b32 s13, s13, exec_lo
                                        ; implicit-def: $vgpr144
	s_or_saveexec_b32 s35, s35
	v_mov_b32_e32 v135, s34
	s_xor_b32 exec_lo, exec_lo, s35
	s_cbranch_execz .LBB4_2828
.LBB4_3243:                             ;   in Loop: Header=BB4_1985 Depth=4
	v_cmp_ne_u16_e64 vcc_lo, 0, v144
	v_mov_b32_e32 v135, 0
	s_and_not1_b32 s13, s13, exec_lo
	s_delay_alu instid0(VALU_DEP_2) | instskip(NEXT) | instid1(SALU_CYCLE_1)
	s_and_b32 vcc_lo, vcc_lo, exec_lo
	s_or_b32 s13, s13, vcc_lo
	s_or_b32 exec_lo, exec_lo, s35
	s_and_saveexec_b32 s34, s13
	s_cbranch_execnz .LBB4_2829
	s_branch .LBB4_2830
.LBB4_3244:                             ;   in Loop: Header=BB4_1985 Depth=4
	s_mov_b32 s13, -1
	s_mov_b32 s36, exec_lo
                                        ; implicit-def: $sgpr34
	v_cmpx_eq_u16_e64 0x80, v163
; %bb.3245:                             ;   in Loop: Header=BB4_1985 Depth=4
	s_mov_b32 s34, 0x7f800001
	s_xor_b32 s13, exec_lo, -1
; %bb.3246:                             ;   in Loop: Header=BB4_1985 Depth=4
	s_or_b32 exec_lo, exec_lo, s36
	s_delay_alu instid0(SALU_CYCLE_1)
	s_and_b32 s13, s13, exec_lo
                                        ; implicit-def: $vgpr163
	s_or_saveexec_b32 s35, s35
	v_mov_b32_e32 v144, s34
	s_xor_b32 exec_lo, exec_lo, s35
	s_cbranch_execz .LBB4_2832
.LBB4_3247:                             ;   in Loop: Header=BB4_1985 Depth=4
	v_cmp_ne_u16_e64 vcc_lo, 0, v163
	v_mov_b32_e32 v144, 0
	s_and_not1_b32 s13, s13, exec_lo
	s_delay_alu instid0(VALU_DEP_2) | instskip(NEXT) | instid1(SALU_CYCLE_1)
	s_and_b32 vcc_lo, vcc_lo, exec_lo
	s_or_b32 s13, s13, vcc_lo
	s_or_b32 exec_lo, exec_lo, s35
	s_and_saveexec_b32 s34, s13
	s_cbranch_execnz .LBB4_2833
	s_branch .LBB4_2834
.LBB4_3248:                             ;   in Loop: Header=BB4_1985 Depth=4
	s_mov_b32 s13, -1
	s_mov_b32 s36, exec_lo
                                        ; implicit-def: $sgpr34
	v_cmpx_eq_u16_e64 0x80, v163
; %bb.3249:                             ;   in Loop: Header=BB4_1985 Depth=4
	s_mov_b32 s34, 0x7f800001
	s_xor_b32 s13, exec_lo, -1
; %bb.3250:                             ;   in Loop: Header=BB4_1985 Depth=4
	s_or_b32 exec_lo, exec_lo, s36
	s_delay_alu instid0(SALU_CYCLE_1)
	s_and_b32 s13, s13, exec_lo
	s_or_saveexec_b32 s35, s35
	v_mov_b32_e32 v144, s34
	s_xor_b32 exec_lo, exec_lo, s35
	s_cbranch_execz .LBB4_2844
.LBB4_3251:                             ;   in Loop: Header=BB4_1985 Depth=4
	v_cmp_ne_u16_e64 vcc_lo, 0, v163
	v_mov_b32_e32 v144, 0
	s_and_not1_b32 s13, s13, exec_lo
	s_delay_alu instid0(VALU_DEP_2) | instskip(NEXT) | instid1(SALU_CYCLE_1)
	s_and_b32 vcc_lo, vcc_lo, exec_lo
	s_or_b32 s13, s13, vcc_lo
	s_or_b32 exec_lo, exec_lo, s35
	s_and_saveexec_b32 s34, s13
	s_cbranch_execnz .LBB4_2845
	s_branch .LBB4_2846
.LBB4_3252:                             ;   in Loop: Header=BB4_1985 Depth=4
	s_mov_b32 s13, -1
	s_mov_b32 s36, exec_lo
                                        ; implicit-def: $sgpr34
	v_cmpx_eq_u16_e64 0x80, v163
; %bb.3253:                             ;   in Loop: Header=BB4_1985 Depth=4
	s_mov_b32 s34, 0x7f800001
	s_xor_b32 s13, exec_lo, -1
; %bb.3254:                             ;   in Loop: Header=BB4_1985 Depth=4
	s_or_b32 exec_lo, exec_lo, s36
	s_delay_alu instid0(SALU_CYCLE_1)
	s_and_b32 s13, s13, exec_lo
	s_or_saveexec_b32 s35, s35
	v_mov_b32_e32 v167, s34
	s_xor_b32 exec_lo, exec_lo, s35
	s_cbranch_execz .LBB4_2848
.LBB4_3255:                             ;   in Loop: Header=BB4_1985 Depth=4
	v_cmp_ne_u16_e64 vcc_lo, 0, v163
	v_mov_b32_e32 v167, 0
	s_and_not1_b32 s13, s13, exec_lo
	s_delay_alu instid0(VALU_DEP_2) | instskip(NEXT) | instid1(SALU_CYCLE_1)
	s_and_b32 vcc_lo, vcc_lo, exec_lo
	s_or_b32 s13, s13, vcc_lo
	s_or_b32 exec_lo, exec_lo, s35
	s_and_saveexec_b32 s34, s13
	s_cbranch_execnz .LBB4_2849
	s_branch .LBB4_2850
.LBB4_3256:                             ;   in Loop: Header=BB4_1985 Depth=4
	s_mov_b32 s13, -1
	s_mov_b32 s36, exec_lo
                                        ; implicit-def: $sgpr34
	v_cmpx_eq_u16_e64 0x80, v163
; %bb.3257:                             ;   in Loop: Header=BB4_1985 Depth=4
	s_mov_b32 s34, 0x7f800001
	s_xor_b32 s13, exec_lo, -1
; %bb.3258:                             ;   in Loop: Header=BB4_1985 Depth=4
	s_or_b32 exec_lo, exec_lo, s36
	s_delay_alu instid0(SALU_CYCLE_1)
	s_and_b32 s13, s13, exec_lo
                                        ; implicit-def: $vgpr163
	s_or_saveexec_b32 s35, s35
	v_mov_b32_e32 v134, s34
	s_xor_b32 exec_lo, exec_lo, s35
	s_cbranch_execz .LBB4_2860
.LBB4_3259:                             ;   in Loop: Header=BB4_1985 Depth=4
	v_cmp_ne_u16_e64 vcc_lo, 0, v163
	v_mov_b32_e32 v134, 0
	s_and_not1_b32 s13, s13, exec_lo
	s_delay_alu instid0(VALU_DEP_2) | instskip(NEXT) | instid1(SALU_CYCLE_1)
	s_and_b32 vcc_lo, vcc_lo, exec_lo
	s_or_b32 s13, s13, vcc_lo
	s_or_b32 exec_lo, exec_lo, s35
	v_lshl_or_b32 v146, v146, 16, v149
	s_and_saveexec_b32 s34, s13
	s_cbranch_execnz .LBB4_2861
	s_branch .LBB4_2862
.LBB4_3260:                             ;   in Loop: Header=BB4_1985 Depth=4
	s_mov_b32 s13, -1
	s_mov_b32 s36, exec_lo
                                        ; implicit-def: $sgpr34
	v_cmpx_eq_u16_e64 0x80, v167
; %bb.3261:                             ;   in Loop: Header=BB4_1985 Depth=4
	s_mov_b32 s34, 0x7f800001
	s_xor_b32 s13, exec_lo, -1
; %bb.3262:                             ;   in Loop: Header=BB4_1985 Depth=4
	s_or_b32 exec_lo, exec_lo, s36
	s_delay_alu instid0(SALU_CYCLE_1)
	s_and_b32 s13, s13, exec_lo
                                        ; implicit-def: $vgpr167
	s_or_saveexec_b32 s35, s35
	v_mov_b32_e32 v163, s34
	s_xor_b32 exec_lo, exec_lo, s35
	s_cbranch_execz .LBB4_2864
.LBB4_3263:                             ;   in Loop: Header=BB4_1985 Depth=4
	v_cmp_ne_u16_e64 vcc_lo, 0, v167
	v_mov_b32_e32 v163, 0
	s_and_not1_b32 s13, s13, exec_lo
	s_delay_alu instid0(VALU_DEP_2) | instskip(NEXT) | instid1(SALU_CYCLE_1)
	s_and_b32 vcc_lo, vcc_lo, exec_lo
	s_or_b32 s13, s13, vcc_lo
	s_or_b32 exec_lo, exec_lo, s35
	s_and_saveexec_b32 s34, s13
	s_cbranch_execnz .LBB4_2865
	s_branch .LBB4_2866
.LBB4_3264:                             ;   in Loop: Header=BB4_1985 Depth=4
	s_mov_b32 s13, -1
	s_mov_b32 s36, exec_lo
                                        ; implicit-def: $sgpr34
	v_cmpx_eq_u16_e64 0x80, v163
; %bb.3265:                             ;   in Loop: Header=BB4_1985 Depth=4
	s_mov_b32 s34, 0x7f800001
	s_xor_b32 s13, exec_lo, -1
; %bb.3266:                             ;   in Loop: Header=BB4_1985 Depth=4
	s_or_b32 exec_lo, exec_lo, s36
	s_delay_alu instid0(SALU_CYCLE_1)
	s_and_b32 s13, s13, exec_lo
	s_or_saveexec_b32 s35, s35
	v_mov_b32_e32 v149, s34
	s_xor_b32 exec_lo, exec_lo, s35
	s_cbranch_execz .LBB4_2876
.LBB4_3267:                             ;   in Loop: Header=BB4_1985 Depth=4
	v_cmp_ne_u16_e64 vcc_lo, 0, v163
	v_mov_b32_e32 v149, 0
	s_and_not1_b32 s13, s13, exec_lo
	s_delay_alu instid0(VALU_DEP_2) | instskip(NEXT) | instid1(SALU_CYCLE_1)
	s_and_b32 vcc_lo, vcc_lo, exec_lo
	s_or_b32 s13, s13, vcc_lo
	s_or_b32 exec_lo, exec_lo, s35
	s_and_saveexec_b32 s34, s13
	s_cbranch_execnz .LBB4_2877
	s_branch .LBB4_2878
.LBB4_3268:                             ;   in Loop: Header=BB4_1985 Depth=4
	s_mov_b32 s13, -1
	s_mov_b32 s36, exec_lo
                                        ; implicit-def: $sgpr34
	v_cmpx_eq_u16_e64 0x80, v146
; %bb.3269:                             ;   in Loop: Header=BB4_1985 Depth=4
	s_mov_b32 s34, 0x7f800001
	s_xor_b32 s13, exec_lo, -1
; %bb.3270:                             ;   in Loop: Header=BB4_1985 Depth=4
	s_or_b32 exec_lo, exec_lo, s36
	s_delay_alu instid0(SALU_CYCLE_1)
	s_and_b32 s13, s13, exec_lo
	s_or_saveexec_b32 s35, s35
	v_mov_b32_e32 v163, s34
	s_xor_b32 exec_lo, exec_lo, s35
	s_cbranch_execz .LBB4_2880
.LBB4_3271:                             ;   in Loop: Header=BB4_1985 Depth=4
	v_cmp_ne_u16_e64 vcc_lo, 0, v146
	v_mov_b32_e32 v163, 0
	s_and_not1_b32 s13, s13, exec_lo
	s_delay_alu instid0(VALU_DEP_2) | instskip(NEXT) | instid1(SALU_CYCLE_1)
	s_and_b32 vcc_lo, vcc_lo, exec_lo
	s_or_b32 s13, s13, vcc_lo
	s_or_b32 exec_lo, exec_lo, s35
	s_and_saveexec_b32 s34, s13
	s_cbranch_execnz .LBB4_2881
	s_branch .LBB4_2882
.LBB4_3272:                             ;   in Loop: Header=BB4_1895 Depth=3
	s_or_b32 exec_lo, exec_lo, s30
.LBB4_3273:                             ;   in Loop: Header=BB4_1895 Depth=3
	s_delay_alu instid0(SALU_CYCLE_1) | instskip(SKIP_3) | instid1(VALU_DEP_1)
	s_or_b32 exec_lo, exec_lo, s14
	v_dual_mov_b32 v64, 0 :: v_dual_lshlrev_b32 v67, 10, v131
	s_mov_b32 s13, 0
	s_mov_b32 s30, exec_lo
                                        ; implicit-def: $vgpr65
                                        ; implicit-def: $vgpr66
                                        ; implicit-def: $vgpr8
	v_cmpx_ne_u32_e64 v53, v67
	s_cbranch_execz .LBB4_3931
; %bb.3274:                             ;   in Loop: Header=BB4_1895 Depth=3
	v_lshlrev_b32_e32 v2, 5, v2
	v_sub_nc_u32_e32 v9, v53, v67
	s_mov_b32 s31, exec_lo
	s_delay_alu instid0(VALU_DEP_2) | instskip(NEXT) | instid1(VALU_DEP_2)
	v_sub_nc_u32_e32 v2, v84, v2
	v_ashrrev_i32_e32 v10, 31, v9
	s_delay_alu instid0(VALU_DEP_2) | instskip(NEXT) | instid1(VALU_DEP_2)
	v_ashrrev_i32_e32 v8, 31, v2
	v_lshrrev_b32_e32 v10, 23, v10
	s_delay_alu instid0(VALU_DEP_2) | instskip(NEXT) | instid1(VALU_DEP_2)
	v_lshrrev_b32_e32 v8, 27, v8
	v_add_nc_u32_e32 v10, v9, v10
	s_delay_alu instid0(VALU_DEP_2) | instskip(NEXT) | instid1(VALU_DEP_1)
	v_add_nc_u32_e32 v8, v2, v8
	v_and_b32_e32 v11, 0xffffffe0, v8
	s_delay_alu instid0(VALU_DEP_1) | instskip(NEXT) | instid1(VALU_DEP_4)
	v_sub_nc_u32_e32 v68, v2, v11
	v_and_b32_e32 v2, 0xfffffe00, v10
	v_ashrrev_i32_e32 v11, 5, v8
	v_ashrrev_i32_e32 v10, 9, v10
	s_delay_alu instid0(VALU_DEP_4) | instskip(NEXT) | instid1(VALU_DEP_4)
	v_lshlrev_b32_e32 v8, 4, v68
	v_sub_nc_u32_e32 v69, v9, v2
	s_delay_alu instid0(VALU_DEP_2) | instskip(NEXT) | instid1(VALU_DEP_2)
	v_lshl_add_u32 v8, v11, 9, v8
	v_cmp_lt_i32_e64 s13, 15, v69
	s_delay_alu instid0(VALU_DEP_2) | instskip(NEXT) | instid1(VALU_DEP_2)
	v_sub_nc_u32_e32 v66, v9, v8
	v_add_co_ci_u32_e64 v10, vcc_lo, 0, v10, s13
	s_delay_alu instid0(VALU_DEP_1) | instskip(NEXT) | instid1(VALU_DEP_3)
	v_sub_nc_u32_e32 v131, v10, v11
	v_cmpx_lt_i32_e32 15, v66
	s_cbranch_execz .LBB4_3928
; %bb.3275:                             ;   in Loop: Header=BB4_1895 Depth=3
	s_cbranch_execz .LBB4_3276
; %bb.11607:
	s_getpc_b64 s[48:49]
.Lpost_getpc212:
	s_add_u32 s48, s48, (.LBB4_11237-.Lpost_getpc212)&4294967295
	s_addc_u32 s49, s49, (.LBB4_11237-.Lpost_getpc212)>>32
	s_setpc_b64 s[48:49]
.LBB4_3276:                             ;   in Loop: Header=BB4_1895 Depth=3
	ds_load_b64 v[9:10], v0
	ds_load_b128 v[12:15], v0
	v_add_nc_u32_e32 v8, v8, v67
	s_delay_alu instid0(VALU_DEP_1)
	v_ashrrev_i32_e32 v11, 31, v8
	s_waitcnt lgkmcnt(1)
	v_readfirstlane_b32 s14, v9
	s_waitcnt lgkmcnt(0)
	v_add_co_u32 v12, vcc_lo, v12, v8
	v_add_co_ci_u32_e32 v13, vcc_lo, v13, v11, vcc_lo
	s_delay_alu instid0(VALU_DEP_3)
	s_and_b32 s34, s14, 3
	v_add_co_u32 v14, vcc_lo, v14, v8
	s_clz_i32_u32 s35, s34
	v_add_co_ci_u32_e32 v15, vcc_lo, v15, v11, vcc_lo
	s_min_u32 s35, s35, 32
	s_bfe_u32 s36, s14, 0x50002
	s_sub_i32 vcc_lo, s35, 29
	s_sub_i32 s35, 30, s35
	s_lshl_b32 vcc_lo, s14, vcc_lo
	v_and_b32_e32 v132, 0xff, v9
	s_and_b32 s37, vcc_lo, 3
	v_add_co_u32 v64, vcc_lo, v9, v8
	s_cmp_eq_u32 s36, 0
	v_add_co_ci_u32_e32 v65, vcc_lo, v10, v11, vcc_lo
	s_cselect_b32 vcc_lo, s35, s36
	s_cselect_b32 s34, s37, s34
	s_lshl_b32 s14, s14, 24
	s_lshl_b32 vcc_lo, vcc_lo, 23
	s_and_b32 s14, s14, 0x80000000
	s_add_i32 vcc_lo, vcc_lo, 0x37800000
	s_lshl_b32 s35, s34, 21
	s_or_b32 s14, s14, vcc_lo
	s_mov_b32 s34, 0
	s_or_b32 s35, s14, s35
	s_branch .LBB4_3280
.LBB4_3277:                             ;   in Loop: Header=BB4_3280 Depth=4
	s_or_b32 exec_lo, exec_lo, s14
	s_delay_alu instid0(VALU_DEP_1) | instskip(NEXT) | instid1(VALU_DEP_2)
	v_lshrrev_b32_e32 v146, 21, v146
	v_min_i32_e32 v163, 31, v144
	v_cmp_gt_i32_e32 vcc_lo, 32, v144
	v_lshrrev_b32_e32 v11, 24, v11
	s_delay_alu instid0(VALU_DEP_3) | instskip(NEXT) | instid1(VALU_DEP_2)
	v_dual_cndmask_b32 v146, 3, v146 :: v_dual_lshlrev_b32 v163, 2, v163
	v_and_b32_e32 v11, 0x80, v11
	s_delay_alu instid0(VALU_DEP_2) | instskip(NEXT) | instid1(VALU_DEP_3)
	v_and_b32_e32 v163, 0xfc, v163
	v_and_b32_e32 v164, 3, v146
	v_or_b32_e32 v144, v144, v146
	s_delay_alu instid0(VALU_DEP_2) | instskip(NEXT) | instid1(VALU_DEP_2)
	v_or3_b32 v11, v11, v163, v164
	v_cmp_ne_u32_e32 vcc_lo, 0, v144
	s_delay_alu instid0(VALU_DEP_2) | instskip(NEXT) | instid1(VALU_DEP_1)
	v_lshlrev_b32_e32 v11, 8, v11
	v_cndmask_b32_e32 v144, 0, v11, vcc_lo
.LBB4_3278:                             ;   in Loop: Header=BB4_3280 Depth=4
	s_or_b32 exec_lo, exec_lo, s37
.LBB4_3279:                             ;   in Loop: Header=BB4_3280 Depth=4
	s_delay_alu instid0(SALU_CYCLE_1)
	s_or_b32 exec_lo, exec_lo, s36
	v_or_b32_e32 v9, v9, v160
	v_and_b32_e32 v11, 0xff, v151
	v_lshlrev_b32_e32 v145, 8, v145
	v_and_b32_e32 v147, 0xff, v147
	v_lshlrev_b32_e32 v148, 8, v148
	v_or_b32_e32 v134, v144, v134
	v_and_b32_e32 v146, 0xff, v161
	v_lshlrev_b32_e32 v8, 24, v8
	v_lshlrev_b32_e32 v9, 16, v9
	;; [unrolled: 1-line block ×3, first 2 shown]
	v_perm_b32 v133, v145, v133, 0xc0c0500
	v_lshlrev_b32_e32 v10, 24, v10
	v_lshlrev_b32_e32 v144, 16, v147
	v_perm_b32 v145, v148, v150, 0xc0c0500
	v_and_b32_e32 v135, 0xff, v135
	v_lshlrev_b32_e32 v134, 16, v134
	v_add_co_u32 v12, vcc_lo, v12, v101
	v_or3_b32 v9, v162, v146, v9
	v_or3_b32 v8, v8, v11, v133
	;; [unrolled: 1-line block ×4, first 2 shown]
	v_sub_nc_u32_e32 v66, v66, v85
	v_add_co_ci_u32_e32 v13, vcc_lo, v13, v102, vcc_lo
	v_add_co_u32 v14, vcc_lo, v14, v101
	v_add_co_ci_u32_e32 v15, vcc_lo, v15, v102, vcc_lo
	global_store_b128 v[64:65], v[8:11], off glc slc dlc
	v_cmp_gt_i32_e32 vcc_lo, 16, v66
	v_add_co_u32 v64, s14, v64, v101
	s_delay_alu instid0(VALU_DEP_1) | instskip(SKIP_2) | instid1(SALU_CYCLE_1)
	v_add_co_ci_u32_e64 v65, s14, v65, v102, s14
	v_sub_nc_u32_e32 v131, v131, v81
	s_or_b32 s34, vcc_lo, s34
	s_and_not1_b32 exec_lo, exec_lo, s34
	s_cbranch_execz .LBB4_3927
.LBB4_3280:                             ;   Parent Loop BB4_51 Depth=1
                                        ;     Parent Loop BB4_1893 Depth=2
                                        ;       Parent Loop BB4_1895 Depth=3
                                        ; =>      This Inner Loop Header: Depth=4
	v_cmp_gt_i16_e64 vcc_lo, 0x80, v132
	s_delay_alu instid0(VALU_DEP_1)
	s_and_b32 vcc_lo, exec_lo, vcc_lo
	s_cbranch_vccnz .LBB4_3284
; %bb.3281:                             ;   in Loop: Header=BB4_3280 Depth=4
	v_cmp_eq_u16_e64 vcc_lo, 0x80, v132
	s_mov_b32 s14, -1
                                        ; implicit-def: $sgpr36
	s_delay_alu instid0(VALU_DEP_1)
	s_and_b32 vcc_lo, exec_lo, vcc_lo
	s_cbranch_vccz .LBB4_3283
; %bb.3282:                             ;   in Loop: Header=BB4_3280 Depth=4
	s_mov_b32 s14, 0
	s_mov_b32 s36, 0x7f800001
.LBB4_3283:                             ;   in Loop: Header=BB4_3280 Depth=4
	s_mov_b32 vcc_lo, 0
	s_branch .LBB4_3285
.LBB4_3284:                             ;   in Loop: Header=BB4_3280 Depth=4
	s_mov_b32 vcc_lo, -1
	s_mov_b32 s14, 0
                                        ; implicit-def: $sgpr36
.LBB4_3285:                             ;   in Loop: Header=BB4_3280 Depth=4
	s_and_b32 vcc_lo, exec_lo, vcc_lo
	s_cbranch_vccz .LBB4_3287
; %bb.3286:                             ;   in Loop: Header=BB4_3280 Depth=4
	v_cmp_ne_u16_e64 s14, 0, v132
	s_mov_b32 s36, 0
.LBB4_3287:                             ;   in Loop: Header=BB4_3280 Depth=4
	s_delay_alu instid0(VALU_DEP_1)
	s_and_not1_b32 vcc_lo, exec_lo, s14
	s_cbranch_vccnz .LBB4_3289
; %bb.3288:                             ;   in Loop: Header=BB4_3280 Depth=4
	s_mov_b32 s36, s35
.LBB4_3289:                             ;   in Loop: Header=BB4_3280 Depth=4
	global_load_b128 v[8:11], v[12:13], off slc dlc
	s_mov_b32 s14, 0
	s_mov_b32 s38, exec_lo
                                        ; implicit-def: $sgpr37
	s_waitcnt vmcnt(0)
	v_and_b32_e32 v134, 0xff, v8
	s_delay_alu instid0(VALU_DEP_1)
	v_cmpx_lt_i16_e64 0x7f, v134
	s_xor_b32 s38, exec_lo, s38
	s_cbranch_execnz .LBB4_3735
; %bb.3290:                             ;   in Loop: Header=BB4_3280 Depth=4
	s_or_saveexec_b32 s38, s38
	v_mov_b32_e32 v133, s37
	s_xor_b32 exec_lo, exec_lo, s38
	s_cbranch_execnz .LBB4_3738
.LBB4_3291:                             ;   in Loop: Header=BB4_3280 Depth=4
	s_or_b32 exec_lo, exec_lo, s38
	s_and_saveexec_b32 s37, s14
	s_cbranch_execz .LBB4_3293
.LBB4_3292:                             ;   in Loop: Header=BB4_3280 Depth=4
	v_bfe_u32 v144, v8, 2, 5
	v_lshlrev_b32_e32 v145, 24, v8
	s_delay_alu instid0(VALU_DEP_2) | instskip(SKIP_1) | instid1(VALU_DEP_1)
	v_cmp_eq_u32_e32 vcc_lo, 0, v144
	v_and_b32_e32 v133, 3, v8
	v_clz_i32_u32_e32 v134, v133
	s_delay_alu instid0(VALU_DEP_1) | instskip(NEXT) | instid1(VALU_DEP_1)
	v_min_u32_e32 v134, 32, v134
	v_subrev_nc_u32_e32 v135, 29, v134
	v_sub_nc_u32_e32 v134, 30, v134
	s_delay_alu instid0(VALU_DEP_1) | instskip(NEXT) | instid1(VALU_DEP_1)
	v_dual_cndmask_b32 v134, v144, v134 :: v_dual_lshlrev_b32 v135, v135, v8
	v_and_b32_e32 v135, 3, v135
	s_delay_alu instid0(VALU_DEP_2) | instskip(NEXT) | instid1(VALU_DEP_2)
	v_lshl_add_u32 v134, v134, 23, 0x37800000
	v_cndmask_b32_e32 v133, v133, v135, vcc_lo
	v_and_b32_e32 v135, 0x80000000, v145
	s_delay_alu instid0(VALU_DEP_2) | instskip(NEXT) | instid1(VALU_DEP_1)
	v_lshlrev_b32_e32 v133, 21, v133
	v_or3_b32 v133, v135, v134, v133
.LBB4_3293:                             ;   in Loop: Header=BB4_3280 Depth=4
	s_or_b32 exec_lo, exec_lo, s37
	s_delay_alu instid0(VALU_DEP_1) | instskip(NEXT) | instid1(VALU_DEP_1)
	v_mul_f32_e32 v134, s36, v133
	v_and_b32_e32 v133, 0x7f800000, v134
	s_delay_alu instid0(VALU_DEP_1)
	v_cmp_ne_u32_e32 vcc_lo, 0x7f800000, v133
	v_mov_b32_e32 v133, 0x80
	s_and_saveexec_b32 s37, vcc_lo
	s_cbranch_execz .LBB4_3301
; %bb.3294:                             ;   in Loop: Header=BB4_3280 Depth=4
	v_mov_b32_e32 v133, 0
	s_mov_b32 s38, exec_lo
	v_cmpx_ne_u32_e32 0, v134
	s_cbranch_execz .LBB4_3300
; %bb.3295:                             ;   in Loop: Header=BB4_3280 Depth=4
	v_bfe_u32 v133, v134, 23, 8
	s_delay_alu instid0(VALU_DEP_1) | instskip(SKIP_1) | instid1(VALU_DEP_2)
	v_sub_nc_u32_e32 v144, 0x70, v133
	v_cmp_gt_u32_e32 vcc_lo, 0x71, v133
	v_dual_cndmask_b32 v144, 0, v144 :: v_dual_and_b32 v135, 0x7fffff, v134
	s_delay_alu instid0(VALU_DEP_1) | instskip(SKIP_2) | instid1(VALU_DEP_4)
	v_or_b32_e32 v145, 0x800000, v135
	v_cmp_eq_u32_e32 vcc_lo, 0, v133
	v_add_nc_u32_e32 v133, 0xffffff91, v133
	v_cndmask_b32_e64 v144, v144, 0x6f, vcc_lo
	s_delay_alu instid0(VALU_DEP_2) | instskip(SKIP_1) | instid1(VALU_DEP_3)
	v_cndmask_b32_e64 v133, v133, 0xffffff92, vcc_lo
	v_cndmask_b32_e32 v135, v145, v135, vcc_lo
	v_lshl_add_u32 v145, 0x200000, v144, -1
	v_lshlrev_b32_e64 v148, v144, 0x100000
	s_delay_alu instid0(VALU_DEP_3) | instskip(SKIP_1) | instid1(VALU_DEP_4)
	v_lshrrev_b32_e32 v146, v144, v135
	v_add_nc_u32_e32 v144, v144, v133
	v_and_b32_e32 v135, v145, v135
	s_delay_alu instid0(VALU_DEP_3) | instskip(NEXT) | instid1(VALU_DEP_2)
	v_bfe_u32 v147, v146, 21, 1
	v_cmp_eq_u32_e64 s14, v135, v148
	s_delay_alu instid0(VALU_DEP_2) | instskip(NEXT) | instid1(VALU_DEP_1)
	v_add_nc_u32_e32 v145, -1, v147
	v_cndmask_b32_e64 v135, 0, v145, s14
	v_lshrrev_b32_e32 v145, 23, v146
	s_mov_b32 s14, exec_lo
	s_delay_alu instid0(VALU_DEP_2) | instskip(NEXT) | instid1(VALU_DEP_2)
	v_add_nc_u32_e32 v135, v135, v146
	v_xor_b32_e32 v145, 1, v145
	s_delay_alu instid0(VALU_DEP_2) | instskip(NEXT) | instid1(VALU_DEP_1)
	v_and_b32_e32 v133, 0x1fffff, v135
	v_add_nc_u32_e32 v135, v133, v146
                                        ; implicit-def: $vgpr133
	s_delay_alu instid0(VALU_DEP_3)
	v_cmpx_ne_u32_e64 v144, v145
	s_xor_b32 s14, exec_lo, s14
; %bb.3296:                             ;   in Loop: Header=BB4_3280 Depth=4
	s_delay_alu instid0(VALU_DEP_2) | instskip(SKIP_2) | instid1(VALU_DEP_2)
	v_cmp_lt_u32_e32 vcc_lo, 0xffffff, v135
	v_sub_nc_u32_e32 v133, v144, v145
	v_cndmask_b32_e64 v144, 0, 1, vcc_lo
	v_add_co_ci_u32_e32 v133, vcc_lo, 0, v133, vcc_lo
	s_delay_alu instid0(VALU_DEP_2)
	v_lshrrev_b32_e32 v135, v144, v135
; %bb.3297:                             ;   in Loop: Header=BB4_3280 Depth=4
	s_and_not1_saveexec_b32 s14, s14
; %bb.3298:                             ;   in Loop: Header=BB4_3280 Depth=4
	s_delay_alu instid0(VALU_DEP_1)
	v_bfe_u32 v133, v135, 23, 1
; %bb.3299:                             ;   in Loop: Header=BB4_3280 Depth=4
	s_or_b32 exec_lo, exec_lo, s14
	v_lshrrev_b32_e32 v135, 21, v135
	s_delay_alu instid0(VALU_DEP_2) | instskip(SKIP_2) | instid1(VALU_DEP_2)
	v_cmp_gt_i32_e32 vcc_lo, 32, v133
	v_lshrrev_b32_e32 v134, 24, v134
	v_min_i32_e32 v144, 31, v133
	v_dual_cndmask_b32 v135, 3, v135 :: v_dual_and_b32 v134, 0x80, v134
	s_delay_alu instid0(VALU_DEP_1) | instskip(SKIP_1) | instid1(VALU_DEP_2)
	v_or_b32_e32 v133, v133, v135
	v_and_b32_e32 v145, 3, v135
	v_cmp_ne_u32_e32 vcc_lo, 0, v133
	v_lshlrev_b32_e32 v144, 2, v144
	s_delay_alu instid0(VALU_DEP_1) | instskip(NEXT) | instid1(VALU_DEP_1)
	v_or3_b32 v134, v144, v134, v145
	v_cndmask_b32_e32 v133, 0, v134, vcc_lo
.LBB4_3300:                             ;   in Loop: Header=BB4_3280 Depth=4
	s_or_b32 exec_lo, exec_lo, s38
.LBB4_3301:                             ;   in Loop: Header=BB4_3280 Depth=4
	s_delay_alu instid0(SALU_CYCLE_1) | instskip(SKIP_3) | instid1(VALU_DEP_1)
	s_or_b32 exec_lo, exec_lo, s37
	v_lshrrev_b16 v134, 8, v8
	s_mov_b32 s14, 0
	s_mov_b32 s38, exec_lo
                                        ; implicit-def: $sgpr37
	v_cmpx_lt_i16_e64 0x7f, v134
	s_xor_b32 s38, exec_lo, s38
	s_cbranch_execnz .LBB4_3739
; %bb.3302:                             ;   in Loop: Header=BB4_3280 Depth=4
	s_or_saveexec_b32 s38, s38
	v_mov_b32_e32 v135, s37
	s_xor_b32 exec_lo, exec_lo, s38
	s_cbranch_execnz .LBB4_3742
.LBB4_3303:                             ;   in Loop: Header=BB4_3280 Depth=4
	s_or_b32 exec_lo, exec_lo, s38
	s_and_saveexec_b32 s37, s14
	s_cbranch_execz .LBB4_3305
.LBB4_3304:                             ;   in Loop: Header=BB4_3280 Depth=4
	v_and_b32_e32 v135, 0xffff, v134
	v_lshlrev_b32_e32 v134, 24, v134
	s_delay_alu instid0(VALU_DEP_2) | instskip(NEXT) | instid1(VALU_DEP_2)
	v_and_b32_e32 v144, 3, v135
	v_and_b32_e32 v134, 0x80000000, v134
	s_delay_alu instid0(VALU_DEP_2) | instskip(NEXT) | instid1(VALU_DEP_1)
	v_clz_i32_u32_e32 v145, v144
	v_min_u32_e32 v145, 32, v145
	s_delay_alu instid0(VALU_DEP_1) | instskip(SKIP_1) | instid1(VALU_DEP_2)
	v_subrev_nc_u32_e32 v146, 29, v145
	v_sub_nc_u32_e32 v145, 30, v145
	v_lshlrev_b32_e32 v146, v146, v135
	v_bfe_u32 v135, v135, 2, 5
	s_delay_alu instid0(VALU_DEP_2) | instskip(NEXT) | instid1(VALU_DEP_2)
	v_and_b32_e32 v146, 3, v146
	v_cmp_eq_u32_e32 vcc_lo, 0, v135
	s_delay_alu instid0(VALU_DEP_2) | instskip(NEXT) | instid1(VALU_DEP_1)
	v_dual_cndmask_b32 v135, v135, v145 :: v_dual_cndmask_b32 v144, v144, v146
	v_lshl_add_u32 v135, v135, 23, 0x37800000
	s_delay_alu instid0(VALU_DEP_2) | instskip(NEXT) | instid1(VALU_DEP_1)
	v_lshlrev_b32_e32 v144, 21, v144
	v_or3_b32 v135, v134, v135, v144
.LBB4_3305:                             ;   in Loop: Header=BB4_3280 Depth=4
	s_or_b32 exec_lo, exec_lo, s37
	s_delay_alu instid0(VALU_DEP_1) | instskip(SKIP_1) | instid1(VALU_DEP_1)
	v_dual_mul_f32 v134, s36, v135 :: v_dual_mov_b32 v145, 0x80
	s_mov_b32 s37, exec_lo
	v_and_b32_e32 v135, 0x7f800000, v134
	s_delay_alu instid0(VALU_DEP_1)
	v_cmpx_ne_u32_e32 0x7f800000, v135
	s_cbranch_execz .LBB4_3313
; %bb.3306:                             ;   in Loop: Header=BB4_3280 Depth=4
	v_mov_b32_e32 v145, 0
	s_mov_b32 s38, exec_lo
	v_cmpx_ne_u32_e32 0, v134
	s_cbranch_execz .LBB4_3312
; %bb.3307:                             ;   in Loop: Header=BB4_3280 Depth=4
	v_bfe_u32 v135, v134, 23, 8
	s_delay_alu instid0(VALU_DEP_1) | instskip(SKIP_1) | instid1(VALU_DEP_2)
	v_sub_nc_u32_e32 v145, 0x70, v135
	v_cmp_gt_u32_e32 vcc_lo, 0x71, v135
	v_dual_cndmask_b32 v145, 0, v145 :: v_dual_and_b32 v144, 0x7fffff, v134
	s_delay_alu instid0(VALU_DEP_1) | instskip(SKIP_2) | instid1(VALU_DEP_4)
	v_or_b32_e32 v146, 0x800000, v144
	v_cmp_eq_u32_e32 vcc_lo, 0, v135
	v_add_nc_u32_e32 v135, 0xffffff91, v135
	v_cndmask_b32_e64 v145, v145, 0x6f, vcc_lo
	s_delay_alu instid0(VALU_DEP_4) | instskip(NEXT) | instid1(VALU_DEP_3)
	v_cndmask_b32_e32 v144, v146, v144, vcc_lo
	v_cndmask_b32_e64 v135, v135, 0xffffff92, vcc_lo
	s_delay_alu instid0(VALU_DEP_3) | instskip(NEXT) | instid1(VALU_DEP_3)
	v_lshl_add_u32 v146, 0x200000, v145, -1
	v_lshrrev_b32_e32 v147, v145, v144
	v_lshlrev_b32_e64 v149, v145, 0x100000
	s_delay_alu instid0(VALU_DEP_4) | instskip(NEXT) | instid1(VALU_DEP_4)
	v_add_nc_u32_e32 v145, v145, v135
	v_and_b32_e32 v144, v146, v144
	s_delay_alu instid0(VALU_DEP_4) | instskip(NEXT) | instid1(VALU_DEP_2)
	v_bfe_u32 v148, v147, 21, 1
	v_cmp_eq_u32_e64 s14, v144, v149
	s_delay_alu instid0(VALU_DEP_2) | instskip(NEXT) | instid1(VALU_DEP_1)
	v_add_nc_u32_e32 v146, -1, v148
	v_cndmask_b32_e64 v144, 0, v146, s14
	v_lshrrev_b32_e32 v146, 23, v147
	s_mov_b32 s14, exec_lo
	s_delay_alu instid0(VALU_DEP_2) | instskip(NEXT) | instid1(VALU_DEP_2)
	v_add_nc_u32_e32 v144, v144, v147
	v_xor_b32_e32 v146, 1, v146
	s_delay_alu instid0(VALU_DEP_2) | instskip(NEXT) | instid1(VALU_DEP_1)
	v_and_b32_e32 v135, 0x1fffff, v144
	v_add_nc_u32_e32 v144, v135, v147
                                        ; implicit-def: $vgpr135
	s_delay_alu instid0(VALU_DEP_3)
	v_cmpx_ne_u32_e64 v145, v146
	s_xor_b32 s14, exec_lo, s14
; %bb.3308:                             ;   in Loop: Header=BB4_3280 Depth=4
	s_delay_alu instid0(VALU_DEP_2) | instskip(SKIP_2) | instid1(VALU_DEP_2)
	v_cmp_lt_u32_e32 vcc_lo, 0xffffff, v144
	v_sub_nc_u32_e32 v135, v145, v146
	v_cndmask_b32_e64 v145, 0, 1, vcc_lo
	v_add_co_ci_u32_e32 v135, vcc_lo, 0, v135, vcc_lo
	s_delay_alu instid0(VALU_DEP_2)
	v_lshrrev_b32_e32 v144, v145, v144
; %bb.3309:                             ;   in Loop: Header=BB4_3280 Depth=4
	s_and_not1_saveexec_b32 s14, s14
; %bb.3310:                             ;   in Loop: Header=BB4_3280 Depth=4
	s_delay_alu instid0(VALU_DEP_1)
	v_bfe_u32 v135, v144, 23, 1
; %bb.3311:                             ;   in Loop: Header=BB4_3280 Depth=4
	s_or_b32 exec_lo, exec_lo, s14
	v_lshrrev_b32_e32 v144, 21, v144
	s_delay_alu instid0(VALU_DEP_2) | instskip(SKIP_2) | instid1(VALU_DEP_2)
	v_cmp_gt_i32_e32 vcc_lo, 32, v135
	v_min_i32_e32 v145, 31, v135
	v_lshrrev_b32_e32 v134, 24, v134
	v_dual_cndmask_b32 v144, 3, v144 :: v_dual_lshlrev_b32 v145, 2, v145
	s_delay_alu instid0(VALU_DEP_2) | instskip(NEXT) | instid1(VALU_DEP_2)
	v_and_b32_e32 v134, 0x80, v134
	v_or_b32_e32 v135, v135, v144
	s_delay_alu instid0(VALU_DEP_1) | instskip(SKIP_1) | instid1(VALU_DEP_1)
	v_cmp_ne_u32_e32 vcc_lo, 0, v135
	v_and_b32_e32 v146, 3, v144
	v_or3_b32 v134, v145, v134, v146
	s_delay_alu instid0(VALU_DEP_1)
	v_cndmask_b32_e32 v145, 0, v134, vcc_lo
.LBB4_3312:                             ;   in Loop: Header=BB4_3280 Depth=4
	s_or_b32 exec_lo, exec_lo, s38
.LBB4_3313:                             ;   in Loop: Header=BB4_3280 Depth=4
	s_delay_alu instid0(SALU_CYCLE_1) | instskip(SKIP_3) | instid1(VALU_DEP_1)
	s_or_b32 exec_lo, exec_lo, s37
	v_lshrrev_b32_e32 v134, 16, v8
	s_mov_b32 s14, 0
	s_mov_b32 s38, exec_lo
                                        ; implicit-def: $sgpr37
	v_and_b32_e32 v144, 0xff, v134
	s_delay_alu instid0(VALU_DEP_1)
	v_cmpx_lt_i16_e64 0x7f, v144
	s_xor_b32 s38, exec_lo, s38
	s_cbranch_execnz .LBB4_3743
; %bb.3314:                             ;   in Loop: Header=BB4_3280 Depth=4
	s_or_saveexec_b32 s38, s38
	v_mov_b32_e32 v135, s37
	s_xor_b32 exec_lo, exec_lo, s38
	s_cbranch_execnz .LBB4_3746
.LBB4_3315:                             ;   in Loop: Header=BB4_3280 Depth=4
	s_or_b32 exec_lo, exec_lo, s38
	s_and_saveexec_b32 s37, s14
	s_cbranch_execz .LBB4_3317
.LBB4_3316:                             ;   in Loop: Header=BB4_3280 Depth=4
	v_bfe_u32 v135, v8, 16, 2
	s_delay_alu instid0(VALU_DEP_1) | instskip(NEXT) | instid1(VALU_DEP_1)
	v_clz_i32_u32_e32 v144, v135
	v_min_u32_e32 v144, 32, v144
	s_delay_alu instid0(VALU_DEP_1) | instskip(SKIP_1) | instid1(VALU_DEP_2)
	v_subrev_nc_u32_e32 v146, 29, v144
	v_sub_nc_u32_e32 v144, 30, v144
	v_lshlrev_b32_e32 v134, v146, v134
	v_bfe_u32 v146, v8, 18, 5
	s_delay_alu instid0(VALU_DEP_2) | instskip(NEXT) | instid1(VALU_DEP_2)
	v_and_b32_e32 v134, 3, v134
	v_cmp_eq_u32_e32 vcc_lo, 0, v146
	s_delay_alu instid0(VALU_DEP_2) | instskip(NEXT) | instid1(VALU_DEP_1)
	v_dual_cndmask_b32 v134, v135, v134 :: v_dual_lshlrev_b32 v147, 8, v8
	v_dual_cndmask_b32 v144, v146, v144 :: v_dual_and_b32 v135, 0x80000000, v147
	s_delay_alu instid0(VALU_DEP_2) | instskip(NEXT) | instid1(VALU_DEP_2)
	v_lshlrev_b32_e32 v134, 21, v134
	v_lshl_add_u32 v144, v144, 23, 0x37800000
	s_delay_alu instid0(VALU_DEP_1)
	v_or3_b32 v135, v135, v144, v134
.LBB4_3317:                             ;   in Loop: Header=BB4_3280 Depth=4
	s_or_b32 exec_lo, exec_lo, s37
	s_delay_alu instid0(VALU_DEP_1) | instskip(SKIP_1) | instid1(VALU_DEP_1)
	v_dual_mul_f32 v134, s36, v135 :: v_dual_mov_b32 v151, 0x80
	s_mov_b32 s37, exec_lo
	v_and_b32_e32 v135, 0x7f800000, v134
	s_delay_alu instid0(VALU_DEP_1)
	v_cmpx_ne_u32_e32 0x7f800000, v135
	s_cbranch_execz .LBB4_3325
; %bb.3318:                             ;   in Loop: Header=BB4_3280 Depth=4
	v_mov_b32_e32 v151, 0
	s_mov_b32 s38, exec_lo
	v_cmpx_ne_u32_e32 0, v134
	s_cbranch_execz .LBB4_3324
; %bb.3319:                             ;   in Loop: Header=BB4_3280 Depth=4
	v_bfe_u32 v135, v134, 23, 8
	v_and_b32_e32 v144, 0x7fffff, v134
	s_delay_alu instid0(VALU_DEP_2) | instskip(SKIP_1) | instid1(VALU_DEP_3)
	v_sub_nc_u32_e32 v146, 0x70, v135
	v_cmp_gt_u32_e32 vcc_lo, 0x71, v135
	v_or_b32_e32 v147, 0x800000, v144
	s_delay_alu instid0(VALU_DEP_3) | instskip(SKIP_2) | instid1(VALU_DEP_3)
	v_cndmask_b32_e32 v146, 0, v146, vcc_lo
	v_cmp_eq_u32_e32 vcc_lo, 0, v135
	v_add_nc_u32_e32 v135, 0xffffff91, v135
	v_cndmask_b32_e64 v146, v146, 0x6f, vcc_lo
	v_cndmask_b32_e32 v144, v147, v144, vcc_lo
	s_delay_alu instid0(VALU_DEP_3) | instskip(NEXT) | instid1(VALU_DEP_3)
	v_cndmask_b32_e64 v135, v135, 0xffffff92, vcc_lo
	v_lshl_add_u32 v147, 0x200000, v146, -1
	s_delay_alu instid0(VALU_DEP_3) | instskip(SKIP_1) | instid1(VALU_DEP_4)
	v_lshrrev_b32_e32 v148, v146, v144
	v_lshlrev_b32_e64 v150, v146, 0x100000
	v_add_nc_u32_e32 v146, v146, v135
	s_delay_alu instid0(VALU_DEP_4) | instskip(NEXT) | instid1(VALU_DEP_4)
	v_and_b32_e32 v144, v147, v144
	v_bfe_u32 v149, v148, 21, 1
	s_delay_alu instid0(VALU_DEP_2) | instskip(NEXT) | instid1(VALU_DEP_2)
	v_cmp_eq_u32_e64 s14, v144, v150
	v_add_nc_u32_e32 v147, -1, v149
	s_delay_alu instid0(VALU_DEP_1) | instskip(SKIP_2) | instid1(VALU_DEP_2)
	v_cndmask_b32_e64 v144, 0, v147, s14
	v_lshrrev_b32_e32 v147, 23, v148
	s_mov_b32 s14, exec_lo
	v_add_nc_u32_e32 v144, v144, v148
	s_delay_alu instid0(VALU_DEP_2) | instskip(NEXT) | instid1(VALU_DEP_2)
	v_xor_b32_e32 v147, 1, v147
	v_and_b32_e32 v135, 0x1fffff, v144
	s_delay_alu instid0(VALU_DEP_1) | instskip(NEXT) | instid1(VALU_DEP_3)
	v_add_nc_u32_e32 v144, v135, v148
                                        ; implicit-def: $vgpr135
	v_cmpx_ne_u32_e64 v146, v147
	s_xor_b32 s14, exec_lo, s14
; %bb.3320:                             ;   in Loop: Header=BB4_3280 Depth=4
	s_delay_alu instid0(VALU_DEP_2) | instskip(SKIP_2) | instid1(VALU_DEP_2)
	v_cmp_lt_u32_e32 vcc_lo, 0xffffff, v144
	v_sub_nc_u32_e32 v135, v146, v147
	v_cndmask_b32_e64 v146, 0, 1, vcc_lo
	v_add_co_ci_u32_e32 v135, vcc_lo, 0, v135, vcc_lo
	s_delay_alu instid0(VALU_DEP_2)
	v_lshrrev_b32_e32 v144, v146, v144
; %bb.3321:                             ;   in Loop: Header=BB4_3280 Depth=4
	s_and_not1_saveexec_b32 s14, s14
; %bb.3322:                             ;   in Loop: Header=BB4_3280 Depth=4
	s_delay_alu instid0(VALU_DEP_1)
	v_bfe_u32 v135, v144, 23, 1
; %bb.3323:                             ;   in Loop: Header=BB4_3280 Depth=4
	s_or_b32 exec_lo, exec_lo, s14
	v_lshrrev_b32_e32 v144, 21, v144
	s_delay_alu instid0(VALU_DEP_2) | instskip(SKIP_2) | instid1(VALU_DEP_4)
	v_cmp_gt_i32_e32 vcc_lo, 32, v135
	v_lshrrev_b32_e32 v134, 24, v134
	v_min_i32_e32 v146, 31, v135
	v_cndmask_b32_e32 v144, 3, v144, vcc_lo
	s_delay_alu instid0(VALU_DEP_3) | instskip(NEXT) | instid1(VALU_DEP_3)
	v_and_b32_e32 v134, 0x80, v134
	v_lshlrev_b32_e32 v146, 2, v146
	s_delay_alu instid0(VALU_DEP_3) | instskip(SKIP_1) | instid1(VALU_DEP_2)
	v_and_b32_e32 v147, 3, v144
	v_or_b32_e32 v135, v135, v144
	v_or3_b32 v134, v146, v134, v147
	s_delay_alu instid0(VALU_DEP_2) | instskip(NEXT) | instid1(VALU_DEP_2)
	v_cmp_ne_u32_e32 vcc_lo, 0, v135
	v_cndmask_b32_e32 v151, 0, v134, vcc_lo
.LBB4_3324:                             ;   in Loop: Header=BB4_3280 Depth=4
	s_or_b32 exec_lo, exec_lo, s38
.LBB4_3325:                             ;   in Loop: Header=BB4_3280 Depth=4
	s_delay_alu instid0(SALU_CYCLE_1) | instskip(SKIP_3) | instid1(VALU_DEP_1)
	s_or_b32 exec_lo, exec_lo, s37
	v_lshrrev_b32_e32 v134, 24, v8
	s_mov_b32 s14, 0
	s_mov_b32 s38, exec_lo
                                        ; implicit-def: $sgpr37
	v_cmpx_lt_i16_e64 0x7f, v134
	s_xor_b32 s38, exec_lo, s38
	s_cbranch_execnz .LBB4_3747
; %bb.3326:                             ;   in Loop: Header=BB4_3280 Depth=4
	s_or_saveexec_b32 s38, s38
	v_mov_b32_e32 v135, s37
	s_xor_b32 exec_lo, exec_lo, s38
	s_cbranch_execnz .LBB4_3750
.LBB4_3327:                             ;   in Loop: Header=BB4_3280 Depth=4
	s_or_b32 exec_lo, exec_lo, s38
	s_and_saveexec_b32 s37, s14
	s_cbranch_execz .LBB4_3329
.LBB4_3328:                             ;   in Loop: Header=BB4_3280 Depth=4
	v_bfe_u32 v135, v8, 24, 2
	s_delay_alu instid0(VALU_DEP_1) | instskip(NEXT) | instid1(VALU_DEP_1)
	v_clz_i32_u32_e32 v144, v135
	v_min_u32_e32 v144, 32, v144
	s_delay_alu instid0(VALU_DEP_1) | instskip(SKIP_1) | instid1(VALU_DEP_2)
	v_subrev_nc_u32_e32 v146, 29, v144
	v_sub_nc_u32_e32 v144, 30, v144
	v_lshlrev_b32_e32 v134, v146, v134
	v_bfe_u32 v146, v8, 26, 5
	v_and_b32_e32 v8, 0x80000000, v8
	s_delay_alu instid0(VALU_DEP_3) | instskip(NEXT) | instid1(VALU_DEP_3)
	v_and_b32_e32 v134, 3, v134
	v_cmp_eq_u32_e32 vcc_lo, 0, v146
	v_cndmask_b32_e32 v144, v146, v144, vcc_lo
	s_delay_alu instid0(VALU_DEP_3) | instskip(NEXT) | instid1(VALU_DEP_2)
	v_cndmask_b32_e32 v134, v135, v134, vcc_lo
	v_lshl_add_u32 v135, v144, 23, 0x37800000
	s_delay_alu instid0(VALU_DEP_2) | instskip(NEXT) | instid1(VALU_DEP_1)
	v_lshlrev_b32_e32 v134, 21, v134
	v_or3_b32 v135, v8, v135, v134
.LBB4_3329:                             ;   in Loop: Header=BB4_3280 Depth=4
	s_or_b32 exec_lo, exec_lo, s37
	s_delay_alu instid0(VALU_DEP_1) | instskip(SKIP_2) | instid1(VALU_DEP_2)
	v_mul_f32_e32 v8, s36, v135
	v_mov_b32_e32 v162, 0x80
	s_mov_b32 s37, exec_lo
	v_and_b32_e32 v134, 0x7f800000, v8
	s_delay_alu instid0(VALU_DEP_1)
	v_cmpx_ne_u32_e32 0x7f800000, v134
	s_cbranch_execz .LBB4_3337
; %bb.3330:                             ;   in Loop: Header=BB4_3280 Depth=4
	v_mov_b32_e32 v162, 0
	s_mov_b32 s38, exec_lo
	v_cmpx_ne_u32_e32 0, v8
	s_cbranch_execz .LBB4_3336
; %bb.3331:                             ;   in Loop: Header=BB4_3280 Depth=4
	v_bfe_u32 v134, v8, 23, 8
	v_and_b32_e32 v135, 0x7fffff, v8
	s_delay_alu instid0(VALU_DEP_2) | instskip(SKIP_1) | instid1(VALU_DEP_3)
	v_sub_nc_u32_e32 v144, 0x70, v134
	v_cmp_gt_u32_e32 vcc_lo, 0x71, v134
	v_or_b32_e32 v146, 0x800000, v135
	s_delay_alu instid0(VALU_DEP_3) | instskip(SKIP_1) | instid1(VALU_DEP_3)
	v_cndmask_b32_e32 v144, 0, v144, vcc_lo
	v_cmp_eq_u32_e32 vcc_lo, 0, v134
	v_dual_cndmask_b32 v135, v146, v135 :: v_dual_add_nc_u32 v134, 0xffffff91, v134
	s_delay_alu instid0(VALU_DEP_3) | instskip(NEXT) | instid1(VALU_DEP_2)
	v_cndmask_b32_e64 v144, v144, 0x6f, vcc_lo
	v_cndmask_b32_e64 v134, v134, 0xffffff92, vcc_lo
	s_delay_alu instid0(VALU_DEP_2) | instskip(SKIP_2) | instid1(VALU_DEP_4)
	v_lshrrev_b32_e32 v147, v144, v135
	v_lshl_add_u32 v146, 0x200000, v144, -1
	v_lshlrev_b32_e64 v149, v144, 0x100000
	v_add_nc_u32_e32 v144, v144, v134
	s_delay_alu instid0(VALU_DEP_4) | instskip(NEXT) | instid1(VALU_DEP_4)
	v_bfe_u32 v148, v147, 21, 1
	v_and_b32_e32 v135, v146, v135
	s_delay_alu instid0(VALU_DEP_2) | instskip(NEXT) | instid1(VALU_DEP_2)
	v_add_nc_u32_e32 v146, -1, v148
	v_cmp_eq_u32_e64 s14, v135, v149
	s_delay_alu instid0(VALU_DEP_1) | instskip(SKIP_2) | instid1(VALU_DEP_2)
	v_cndmask_b32_e64 v135, 0, v146, s14
	v_lshrrev_b32_e32 v146, 23, v147
	s_mov_b32 s14, exec_lo
	v_add_nc_u32_e32 v135, v135, v147
	s_delay_alu instid0(VALU_DEP_2) | instskip(NEXT) | instid1(VALU_DEP_2)
	v_xor_b32_e32 v146, 1, v146
	v_and_b32_e32 v134, 0x1fffff, v135
	s_delay_alu instid0(VALU_DEP_1) | instskip(NEXT) | instid1(VALU_DEP_3)
	v_add_nc_u32_e32 v135, v134, v147
                                        ; implicit-def: $vgpr134
	v_cmpx_ne_u32_e64 v144, v146
	s_xor_b32 s14, exec_lo, s14
; %bb.3332:                             ;   in Loop: Header=BB4_3280 Depth=4
	s_delay_alu instid0(VALU_DEP_2) | instskip(SKIP_2) | instid1(VALU_DEP_2)
	v_cmp_lt_u32_e32 vcc_lo, 0xffffff, v135
	v_sub_nc_u32_e32 v134, v144, v146
	v_cndmask_b32_e64 v144, 0, 1, vcc_lo
	v_add_co_ci_u32_e32 v134, vcc_lo, 0, v134, vcc_lo
	s_delay_alu instid0(VALU_DEP_2)
	v_lshrrev_b32_e32 v135, v144, v135
; %bb.3333:                             ;   in Loop: Header=BB4_3280 Depth=4
	s_and_not1_saveexec_b32 s14, s14
; %bb.3334:                             ;   in Loop: Header=BB4_3280 Depth=4
	s_delay_alu instid0(VALU_DEP_1)
	v_bfe_u32 v134, v135, 23, 1
; %bb.3335:                             ;   in Loop: Header=BB4_3280 Depth=4
	s_or_b32 exec_lo, exec_lo, s14
	v_lshrrev_b32_e32 v135, 21, v135
	s_delay_alu instid0(VALU_DEP_2) | instskip(SKIP_2) | instid1(VALU_DEP_2)
	v_cmp_gt_i32_e32 vcc_lo, 32, v134
	v_lshrrev_b32_e32 v8, 24, v8
	v_min_i32_e32 v144, 31, v134
	v_dual_cndmask_b32 v135, 3, v135 :: v_dual_and_b32 v8, 0x80, v8
	s_delay_alu instid0(VALU_DEP_2) | instskip(NEXT) | instid1(VALU_DEP_2)
	v_lshlrev_b32_e32 v144, 2, v144
	v_and_b32_e32 v146, 3, v135
	v_or_b32_e32 v134, v134, v135
	s_delay_alu instid0(VALU_DEP_2) | instskip(NEXT) | instid1(VALU_DEP_2)
	v_or3_b32 v8, v144, v8, v146
	v_cmp_ne_u32_e32 vcc_lo, 0, v134
	s_delay_alu instid0(VALU_DEP_2)
	v_cndmask_b32_e32 v162, 0, v8, vcc_lo
.LBB4_3336:                             ;   in Loop: Header=BB4_3280 Depth=4
	s_or_b32 exec_lo, exec_lo, s38
.LBB4_3337:                             ;   in Loop: Header=BB4_3280 Depth=4
	s_delay_alu instid0(SALU_CYCLE_1) | instskip(SKIP_3) | instid1(VALU_DEP_1)
	s_or_b32 exec_lo, exec_lo, s37
	v_and_b32_e32 v134, 0xff, v9
	s_mov_b32 s14, 0
	s_mov_b32 s38, exec_lo
                                        ; implicit-def: $sgpr37
	v_cmpx_lt_i16_e64 0x7f, v134
	s_xor_b32 s38, exec_lo, s38
	s_cbranch_execnz .LBB4_3751
; %bb.3338:                             ;   in Loop: Header=BB4_3280 Depth=4
	s_or_saveexec_b32 s38, s38
	v_mov_b32_e32 v8, s37
	s_xor_b32 exec_lo, exec_lo, s38
	s_cbranch_execnz .LBB4_3754
.LBB4_3339:                             ;   in Loop: Header=BB4_3280 Depth=4
	s_or_b32 exec_lo, exec_lo, s38
	s_and_saveexec_b32 s37, s14
	s_cbranch_execz .LBB4_3341
.LBB4_3340:                             ;   in Loop: Header=BB4_3280 Depth=4
	v_and_b32_e32 v8, 3, v9
	v_bfe_u32 v144, v9, 2, 5
	v_lshlrev_b32_e32 v146, 24, v9
	s_delay_alu instid0(VALU_DEP_3) | instskip(NEXT) | instid1(VALU_DEP_3)
	v_clz_i32_u32_e32 v134, v8
	v_cmp_eq_u32_e32 vcc_lo, 0, v144
	s_delay_alu instid0(VALU_DEP_2) | instskip(NEXT) | instid1(VALU_DEP_1)
	v_min_u32_e32 v134, 32, v134
	v_subrev_nc_u32_e32 v135, 29, v134
	v_sub_nc_u32_e32 v134, 30, v134
	s_delay_alu instid0(VALU_DEP_1) | instskip(NEXT) | instid1(VALU_DEP_1)
	v_dual_cndmask_b32 v134, v144, v134 :: v_dual_lshlrev_b32 v135, v135, v9
	v_and_b32_e32 v135, 3, v135
	s_delay_alu instid0(VALU_DEP_2) | instskip(NEXT) | instid1(VALU_DEP_2)
	v_lshl_add_u32 v134, v134, 23, 0x37800000
	v_dual_cndmask_b32 v8, v8, v135 :: v_dual_and_b32 v135, 0x80000000, v146
	s_delay_alu instid0(VALU_DEP_1) | instskip(NEXT) | instid1(VALU_DEP_1)
	v_lshlrev_b32_e32 v8, 21, v8
	v_or3_b32 v8, v135, v134, v8
.LBB4_3341:                             ;   in Loop: Header=BB4_3280 Depth=4
	s_or_b32 exec_lo, exec_lo, s37
	s_delay_alu instid0(VALU_DEP_1) | instskip(SKIP_1) | instid1(VALU_DEP_1)
	v_dual_mul_f32 v8, s36, v8 :: v_dual_mov_b32 v161, 0x80
	s_mov_b32 s37, exec_lo
	v_and_b32_e32 v134, 0x7f800000, v8
	s_delay_alu instid0(VALU_DEP_1)
	v_cmpx_ne_u32_e32 0x7f800000, v134
	s_cbranch_execz .LBB4_3349
; %bb.3342:                             ;   in Loop: Header=BB4_3280 Depth=4
	v_mov_b32_e32 v161, 0
	s_mov_b32 s38, exec_lo
	v_cmpx_ne_u32_e32 0, v8
	s_cbranch_execz .LBB4_3348
; %bb.3343:                             ;   in Loop: Header=BB4_3280 Depth=4
	v_bfe_u32 v134, v8, 23, 8
	v_and_b32_e32 v135, 0x7fffff, v8
	s_delay_alu instid0(VALU_DEP_2) | instskip(SKIP_1) | instid1(VALU_DEP_3)
	v_sub_nc_u32_e32 v144, 0x70, v134
	v_cmp_gt_u32_e32 vcc_lo, 0x71, v134
	v_or_b32_e32 v146, 0x800000, v135
	s_delay_alu instid0(VALU_DEP_3) | instskip(SKIP_1) | instid1(VALU_DEP_3)
	v_cndmask_b32_e32 v144, 0, v144, vcc_lo
	v_cmp_eq_u32_e32 vcc_lo, 0, v134
	v_dual_cndmask_b32 v135, v146, v135 :: v_dual_add_nc_u32 v134, 0xffffff91, v134
	s_delay_alu instid0(VALU_DEP_3) | instskip(NEXT) | instid1(VALU_DEP_2)
	v_cndmask_b32_e64 v144, v144, 0x6f, vcc_lo
	v_cndmask_b32_e64 v134, v134, 0xffffff92, vcc_lo
	s_delay_alu instid0(VALU_DEP_2) | instskip(SKIP_2) | instid1(VALU_DEP_4)
	v_lshrrev_b32_e32 v147, v144, v135
	v_lshl_add_u32 v146, 0x200000, v144, -1
	v_lshlrev_b32_e64 v149, v144, 0x100000
	v_add_nc_u32_e32 v144, v144, v134
	s_delay_alu instid0(VALU_DEP_4) | instskip(NEXT) | instid1(VALU_DEP_4)
	v_bfe_u32 v148, v147, 21, 1
	v_and_b32_e32 v135, v146, v135
	s_delay_alu instid0(VALU_DEP_2) | instskip(NEXT) | instid1(VALU_DEP_2)
	v_add_nc_u32_e32 v146, -1, v148
	v_cmp_eq_u32_e64 s14, v135, v149
	s_delay_alu instid0(VALU_DEP_1) | instskip(SKIP_2) | instid1(VALU_DEP_2)
	v_cndmask_b32_e64 v135, 0, v146, s14
	v_lshrrev_b32_e32 v146, 23, v147
	s_mov_b32 s14, exec_lo
	v_add_nc_u32_e32 v135, v135, v147
	s_delay_alu instid0(VALU_DEP_2) | instskip(NEXT) | instid1(VALU_DEP_2)
	v_xor_b32_e32 v146, 1, v146
	v_and_b32_e32 v134, 0x1fffff, v135
	s_delay_alu instid0(VALU_DEP_1) | instskip(NEXT) | instid1(VALU_DEP_3)
	v_add_nc_u32_e32 v135, v134, v147
                                        ; implicit-def: $vgpr134
	v_cmpx_ne_u32_e64 v144, v146
	s_xor_b32 s14, exec_lo, s14
; %bb.3344:                             ;   in Loop: Header=BB4_3280 Depth=4
	s_delay_alu instid0(VALU_DEP_2) | instskip(SKIP_2) | instid1(VALU_DEP_2)
	v_cmp_lt_u32_e32 vcc_lo, 0xffffff, v135
	v_sub_nc_u32_e32 v134, v144, v146
	v_cndmask_b32_e64 v144, 0, 1, vcc_lo
	v_add_co_ci_u32_e32 v134, vcc_lo, 0, v134, vcc_lo
	s_delay_alu instid0(VALU_DEP_2)
	v_lshrrev_b32_e32 v135, v144, v135
; %bb.3345:                             ;   in Loop: Header=BB4_3280 Depth=4
	s_and_not1_saveexec_b32 s14, s14
; %bb.3346:                             ;   in Loop: Header=BB4_3280 Depth=4
	s_delay_alu instid0(VALU_DEP_1)
	v_bfe_u32 v134, v135, 23, 1
; %bb.3347:                             ;   in Loop: Header=BB4_3280 Depth=4
	s_or_b32 exec_lo, exec_lo, s14
	v_lshrrev_b32_e32 v135, 21, v135
	s_delay_alu instid0(VALU_DEP_2) | instskip(SKIP_2) | instid1(VALU_DEP_2)
	v_cmp_gt_i32_e32 vcc_lo, 32, v134
	v_min_i32_e32 v144, 31, v134
	v_lshrrev_b32_e32 v8, 24, v8
	v_dual_cndmask_b32 v135, 3, v135 :: v_dual_lshlrev_b32 v144, 2, v144
	s_delay_alu instid0(VALU_DEP_2) | instskip(NEXT) | instid1(VALU_DEP_2)
	v_and_b32_e32 v8, 0x80, v8
	v_or_b32_e32 v134, v134, v135
	s_delay_alu instid0(VALU_DEP_3) | instskip(NEXT) | instid1(VALU_DEP_2)
	v_and_b32_e32 v144, 0xfc, v144
	v_cmp_ne_u32_e32 vcc_lo, 0, v134
	v_and_b32_e32 v146, 3, v135
	s_delay_alu instid0(VALU_DEP_1) | instskip(NEXT) | instid1(VALU_DEP_1)
	v_or3_b32 v8, v144, v8, v146
	v_cndmask_b32_e32 v161, 0, v8, vcc_lo
.LBB4_3348:                             ;   in Loop: Header=BB4_3280 Depth=4
	s_or_b32 exec_lo, exec_lo, s38
.LBB4_3349:                             ;   in Loop: Header=BB4_3280 Depth=4
	s_delay_alu instid0(SALU_CYCLE_1) | instskip(SKIP_3) | instid1(VALU_DEP_1)
	s_or_b32 exec_lo, exec_lo, s37
	v_lshrrev_b16 v8, 8, v9
	s_mov_b32 s14, 0
	s_mov_b32 s38, exec_lo
                                        ; implicit-def: $sgpr37
	v_cmpx_lt_i16_e32 0x7f, v8
	s_xor_b32 s38, exec_lo, s38
	s_cbranch_execnz .LBB4_3755
; %bb.3350:                             ;   in Loop: Header=BB4_3280 Depth=4
	s_or_saveexec_b32 s38, s38
	v_mov_b32_e32 v134, s37
	s_xor_b32 exec_lo, exec_lo, s38
	s_cbranch_execnz .LBB4_3758
.LBB4_3351:                             ;   in Loop: Header=BB4_3280 Depth=4
	s_or_b32 exec_lo, exec_lo, s38
	s_and_saveexec_b32 s37, s14
	s_cbranch_execz .LBB4_3353
.LBB4_3352:                             ;   in Loop: Header=BB4_3280 Depth=4
	v_and_b32_e32 v134, 0xffff, v8
	v_lshlrev_b32_e32 v8, 24, v8
	s_delay_alu instid0(VALU_DEP_2) | instskip(NEXT) | instid1(VALU_DEP_2)
	v_and_b32_e32 v135, 3, v134
	v_and_b32_e32 v8, 0x80000000, v8
	s_delay_alu instid0(VALU_DEP_2) | instskip(NEXT) | instid1(VALU_DEP_1)
	v_clz_i32_u32_e32 v144, v135
	v_min_u32_e32 v144, 32, v144
	s_delay_alu instid0(VALU_DEP_1) | instskip(SKIP_1) | instid1(VALU_DEP_2)
	v_subrev_nc_u32_e32 v146, 29, v144
	v_sub_nc_u32_e32 v144, 30, v144
	v_lshlrev_b32_e32 v146, v146, v134
	v_bfe_u32 v134, v134, 2, 5
	s_delay_alu instid0(VALU_DEP_2) | instskip(NEXT) | instid1(VALU_DEP_2)
	v_and_b32_e32 v146, 3, v146
	v_cmp_eq_u32_e32 vcc_lo, 0, v134
	s_delay_alu instid0(VALU_DEP_2) | instskip(NEXT) | instid1(VALU_DEP_1)
	v_dual_cndmask_b32 v134, v134, v144 :: v_dual_cndmask_b32 v135, v135, v146
	v_lshl_add_u32 v134, v134, 23, 0x37800000
	s_delay_alu instid0(VALU_DEP_2) | instskip(NEXT) | instid1(VALU_DEP_1)
	v_lshlrev_b32_e32 v135, 21, v135
	v_or3_b32 v134, v8, v134, v135
.LBB4_3353:                             ;   in Loop: Header=BB4_3280 Depth=4
	s_or_b32 exec_lo, exec_lo, s37
	s_delay_alu instid0(VALU_DEP_1) | instskip(SKIP_2) | instid1(VALU_DEP_2)
	v_mul_f32_e32 v8, s36, v134
	v_mov_b32_e32 v164, 0x8000
	s_mov_b32 s37, exec_lo
	v_and_b32_e32 v134, 0x7f800000, v8
	s_delay_alu instid0(VALU_DEP_1)
	v_cmpx_ne_u32_e32 0x7f800000, v134
	s_cbranch_execz .LBB4_3361
; %bb.3354:                             ;   in Loop: Header=BB4_3280 Depth=4
	v_mov_b32_e32 v164, 0
	s_mov_b32 s38, exec_lo
	v_cmpx_ne_u32_e32 0, v8
	s_cbranch_execz .LBB4_3360
; %bb.3355:                             ;   in Loop: Header=BB4_3280 Depth=4
	v_bfe_u32 v134, v8, 23, 8
	v_and_b32_e32 v135, 0x7fffff, v8
	s_delay_alu instid0(VALU_DEP_2) | instskip(SKIP_1) | instid1(VALU_DEP_3)
	v_sub_nc_u32_e32 v144, 0x70, v134
	v_cmp_gt_u32_e32 vcc_lo, 0x71, v134
	v_or_b32_e32 v146, 0x800000, v135
	s_delay_alu instid0(VALU_DEP_3) | instskip(SKIP_1) | instid1(VALU_DEP_3)
	v_cndmask_b32_e32 v144, 0, v144, vcc_lo
	v_cmp_eq_u32_e32 vcc_lo, 0, v134
	v_dual_cndmask_b32 v135, v146, v135 :: v_dual_add_nc_u32 v134, 0xffffff91, v134
	s_delay_alu instid0(VALU_DEP_3) | instskip(NEXT) | instid1(VALU_DEP_2)
	v_cndmask_b32_e64 v144, v144, 0x6f, vcc_lo
	v_cndmask_b32_e64 v134, v134, 0xffffff92, vcc_lo
	s_delay_alu instid0(VALU_DEP_2) | instskip(SKIP_2) | instid1(VALU_DEP_4)
	v_lshrrev_b32_e32 v147, v144, v135
	v_lshl_add_u32 v146, 0x200000, v144, -1
	v_lshlrev_b32_e64 v149, v144, 0x100000
	v_add_nc_u32_e32 v144, v144, v134
	s_delay_alu instid0(VALU_DEP_4) | instskip(NEXT) | instid1(VALU_DEP_4)
	v_bfe_u32 v148, v147, 21, 1
	v_and_b32_e32 v135, v146, v135
	s_delay_alu instid0(VALU_DEP_2) | instskip(NEXT) | instid1(VALU_DEP_2)
	v_add_nc_u32_e32 v146, -1, v148
	v_cmp_eq_u32_e64 s14, v135, v149
	s_delay_alu instid0(VALU_DEP_1) | instskip(SKIP_2) | instid1(VALU_DEP_2)
	v_cndmask_b32_e64 v135, 0, v146, s14
	v_lshrrev_b32_e32 v146, 23, v147
	s_mov_b32 s14, exec_lo
	v_add_nc_u32_e32 v135, v135, v147
	s_delay_alu instid0(VALU_DEP_2) | instskip(NEXT) | instid1(VALU_DEP_2)
	v_xor_b32_e32 v146, 1, v146
	v_and_b32_e32 v134, 0x1fffff, v135
	s_delay_alu instid0(VALU_DEP_1) | instskip(NEXT) | instid1(VALU_DEP_3)
	v_add_nc_u32_e32 v135, v134, v147
                                        ; implicit-def: $vgpr134
	v_cmpx_ne_u32_e64 v144, v146
	s_xor_b32 s14, exec_lo, s14
; %bb.3356:                             ;   in Loop: Header=BB4_3280 Depth=4
	s_delay_alu instid0(VALU_DEP_2) | instskip(SKIP_2) | instid1(VALU_DEP_2)
	v_cmp_lt_u32_e32 vcc_lo, 0xffffff, v135
	v_sub_nc_u32_e32 v134, v144, v146
	v_cndmask_b32_e64 v144, 0, 1, vcc_lo
	v_add_co_ci_u32_e32 v134, vcc_lo, 0, v134, vcc_lo
	s_delay_alu instid0(VALU_DEP_2)
	v_lshrrev_b32_e32 v135, v144, v135
; %bb.3357:                             ;   in Loop: Header=BB4_3280 Depth=4
	s_and_not1_saveexec_b32 s14, s14
; %bb.3358:                             ;   in Loop: Header=BB4_3280 Depth=4
	s_delay_alu instid0(VALU_DEP_1)
	v_bfe_u32 v134, v135, 23, 1
; %bb.3359:                             ;   in Loop: Header=BB4_3280 Depth=4
	s_or_b32 exec_lo, exec_lo, s14
	v_lshrrev_b32_e32 v135, 21, v135
	s_delay_alu instid0(VALU_DEP_2) | instskip(SKIP_2) | instid1(VALU_DEP_3)
	v_min_i32_e32 v144, 31, v134
	v_cmp_gt_i32_e32 vcc_lo, 32, v134
	v_lshrrev_b32_e32 v8, 24, v8
	v_dual_cndmask_b32 v135, 3, v135 :: v_dual_lshlrev_b32 v144, 2, v144
	s_delay_alu instid0(VALU_DEP_2) | instskip(NEXT) | instid1(VALU_DEP_2)
	v_and_b32_e32 v8, 0x80, v8
	v_and_b32_e32 v144, 0xfc, v144
	s_delay_alu instid0(VALU_DEP_3) | instskip(SKIP_1) | instid1(VALU_DEP_2)
	v_and_b32_e32 v146, 3, v135
	v_or_b32_e32 v134, v134, v135
	v_or3_b32 v8, v8, v144, v146
	s_delay_alu instid0(VALU_DEP_2) | instskip(NEXT) | instid1(VALU_DEP_2)
	v_cmp_ne_u32_e32 vcc_lo, 0, v134
	v_lshlrev_b32_e32 v8, 8, v8
	s_delay_alu instid0(VALU_DEP_1)
	v_cndmask_b32_e32 v164, 0, v8, vcc_lo
.LBB4_3360:                             ;   in Loop: Header=BB4_3280 Depth=4
	s_or_b32 exec_lo, exec_lo, s38
.LBB4_3361:                             ;   in Loop: Header=BB4_3280 Depth=4
	s_delay_alu instid0(SALU_CYCLE_1) | instskip(SKIP_3) | instid1(VALU_DEP_1)
	s_or_b32 exec_lo, exec_lo, s37
	v_lshrrev_b32_e32 v8, 16, v9
	s_mov_b32 s14, 0
	s_mov_b32 s38, exec_lo
                                        ; implicit-def: $sgpr37
	v_and_b32_e32 v135, 0xff, v8
	s_delay_alu instid0(VALU_DEP_1)
	v_cmpx_lt_i16_e64 0x7f, v135
	s_xor_b32 s38, exec_lo, s38
	s_cbranch_execnz .LBB4_3759
; %bb.3362:                             ;   in Loop: Header=BB4_3280 Depth=4
	s_or_saveexec_b32 s38, s38
	v_mov_b32_e32 v134, s37
	s_xor_b32 exec_lo, exec_lo, s38
	s_cbranch_execnz .LBB4_3762
.LBB4_3363:                             ;   in Loop: Header=BB4_3280 Depth=4
	s_or_b32 exec_lo, exec_lo, s38
	s_and_saveexec_b32 s37, s14
	s_cbranch_execz .LBB4_3365
.LBB4_3364:                             ;   in Loop: Header=BB4_3280 Depth=4
	v_bfe_u32 v134, v9, 16, 2
	v_lshlrev_b32_e32 v146, 8, v9
	s_delay_alu instid0(VALU_DEP_2) | instskip(NEXT) | instid1(VALU_DEP_1)
	v_clz_i32_u32_e32 v135, v134
	v_min_u32_e32 v135, 32, v135
	s_delay_alu instid0(VALU_DEP_1) | instskip(SKIP_1) | instid1(VALU_DEP_2)
	v_subrev_nc_u32_e32 v144, 29, v135
	v_sub_nc_u32_e32 v135, 30, v135
	v_lshlrev_b32_e32 v8, v144, v8
	v_bfe_u32 v144, v9, 18, 5
	s_delay_alu instid0(VALU_DEP_1) | instskip(NEXT) | instid1(VALU_DEP_3)
	v_cmp_eq_u32_e32 vcc_lo, 0, v144
	v_dual_cndmask_b32 v135, v144, v135 :: v_dual_and_b32 v8, 3, v8
	s_delay_alu instid0(VALU_DEP_1) | instskip(SKIP_1) | instid1(VALU_DEP_3)
	v_cndmask_b32_e32 v8, v134, v8, vcc_lo
	v_and_b32_e32 v134, 0x80000000, v146
	v_lshl_add_u32 v135, v135, 23, 0x37800000
	s_delay_alu instid0(VALU_DEP_3) | instskip(NEXT) | instid1(VALU_DEP_1)
	v_lshlrev_b32_e32 v8, 21, v8
	v_or3_b32 v134, v134, v135, v8
.LBB4_3365:                             ;   in Loop: Header=BB4_3280 Depth=4
	s_or_b32 exec_lo, exec_lo, s37
	s_delay_alu instid0(VALU_DEP_1) | instskip(SKIP_2) | instid1(VALU_DEP_2)
	v_mul_f32_e32 v8, s36, v134
	v_mov_b32_e32 v160, 0x80
	s_mov_b32 s37, exec_lo
	v_and_b32_e32 v134, 0x7f800000, v8
	s_delay_alu instid0(VALU_DEP_1)
	v_cmpx_ne_u32_e32 0x7f800000, v134
	s_cbranch_execz .LBB4_3373
; %bb.3366:                             ;   in Loop: Header=BB4_3280 Depth=4
	v_mov_b32_e32 v160, 0
	s_mov_b32 s38, exec_lo
	v_cmpx_ne_u32_e32 0, v8
	s_cbranch_execz .LBB4_3372
; %bb.3367:                             ;   in Loop: Header=BB4_3280 Depth=4
	v_bfe_u32 v134, v8, 23, 8
	v_and_b32_e32 v135, 0x7fffff, v8
	s_delay_alu instid0(VALU_DEP_2) | instskip(SKIP_1) | instid1(VALU_DEP_3)
	v_sub_nc_u32_e32 v144, 0x70, v134
	v_cmp_gt_u32_e32 vcc_lo, 0x71, v134
	v_or_b32_e32 v146, 0x800000, v135
	s_delay_alu instid0(VALU_DEP_3) | instskip(SKIP_1) | instid1(VALU_DEP_3)
	v_cndmask_b32_e32 v144, 0, v144, vcc_lo
	v_cmp_eq_u32_e32 vcc_lo, 0, v134
	v_dual_cndmask_b32 v135, v146, v135 :: v_dual_add_nc_u32 v134, 0xffffff91, v134
	s_delay_alu instid0(VALU_DEP_3) | instskip(NEXT) | instid1(VALU_DEP_2)
	v_cndmask_b32_e64 v144, v144, 0x6f, vcc_lo
	v_cndmask_b32_e64 v134, v134, 0xffffff92, vcc_lo
	s_delay_alu instid0(VALU_DEP_2) | instskip(SKIP_2) | instid1(VALU_DEP_4)
	v_lshrrev_b32_e32 v147, v144, v135
	v_lshl_add_u32 v146, 0x200000, v144, -1
	v_lshlrev_b32_e64 v149, v144, 0x100000
	v_add_nc_u32_e32 v144, v144, v134
	s_delay_alu instid0(VALU_DEP_4) | instskip(NEXT) | instid1(VALU_DEP_4)
	v_bfe_u32 v148, v147, 21, 1
	v_and_b32_e32 v135, v146, v135
	s_delay_alu instid0(VALU_DEP_2) | instskip(NEXT) | instid1(VALU_DEP_2)
	v_add_nc_u32_e32 v146, -1, v148
	v_cmp_eq_u32_e64 s14, v135, v149
	s_delay_alu instid0(VALU_DEP_1) | instskip(SKIP_2) | instid1(VALU_DEP_2)
	v_cndmask_b32_e64 v135, 0, v146, s14
	v_lshrrev_b32_e32 v146, 23, v147
	s_mov_b32 s14, exec_lo
	v_add_nc_u32_e32 v135, v135, v147
	s_delay_alu instid0(VALU_DEP_2) | instskip(NEXT) | instid1(VALU_DEP_2)
	v_xor_b32_e32 v146, 1, v146
	v_and_b32_e32 v134, 0x1fffff, v135
	s_delay_alu instid0(VALU_DEP_1) | instskip(NEXT) | instid1(VALU_DEP_3)
	v_add_nc_u32_e32 v135, v134, v147
                                        ; implicit-def: $vgpr134
	v_cmpx_ne_u32_e64 v144, v146
	s_xor_b32 s14, exec_lo, s14
; %bb.3368:                             ;   in Loop: Header=BB4_3280 Depth=4
	s_delay_alu instid0(VALU_DEP_2) | instskip(SKIP_2) | instid1(VALU_DEP_2)
	v_cmp_lt_u32_e32 vcc_lo, 0xffffff, v135
	v_sub_nc_u32_e32 v134, v144, v146
	v_cndmask_b32_e64 v144, 0, 1, vcc_lo
	v_add_co_ci_u32_e32 v134, vcc_lo, 0, v134, vcc_lo
	s_delay_alu instid0(VALU_DEP_2)
	v_lshrrev_b32_e32 v135, v144, v135
; %bb.3369:                             ;   in Loop: Header=BB4_3280 Depth=4
	s_and_not1_saveexec_b32 s14, s14
; %bb.3370:                             ;   in Loop: Header=BB4_3280 Depth=4
	s_delay_alu instid0(VALU_DEP_1)
	v_bfe_u32 v134, v135, 23, 1
; %bb.3371:                             ;   in Loop: Header=BB4_3280 Depth=4
	s_or_b32 exec_lo, exec_lo, s14
	v_lshrrev_b32_e32 v135, 21, v135
	s_delay_alu instid0(VALU_DEP_2) | instskip(SKIP_2) | instid1(VALU_DEP_3)
	v_min_i32_e32 v144, 31, v134
	v_cmp_gt_i32_e32 vcc_lo, 32, v134
	v_lshrrev_b32_e32 v8, 24, v8
	v_dual_cndmask_b32 v135, 3, v135 :: v_dual_lshlrev_b32 v144, 2, v144
	s_delay_alu instid0(VALU_DEP_2) | instskip(NEXT) | instid1(VALU_DEP_2)
	v_and_b32_e32 v8, 0x80, v8
	v_and_b32_e32 v144, 0xfc, v144
	s_delay_alu instid0(VALU_DEP_3) | instskip(SKIP_1) | instid1(VALU_DEP_2)
	v_and_b32_e32 v146, 3, v135
	v_or_b32_e32 v134, v134, v135
	v_or3_b32 v8, v144, v8, v146
	s_delay_alu instid0(VALU_DEP_2) | instskip(NEXT) | instid1(VALU_DEP_2)
	v_cmp_ne_u32_e32 vcc_lo, 0, v134
	v_cndmask_b32_e32 v160, 0, v8, vcc_lo
.LBB4_3372:                             ;   in Loop: Header=BB4_3280 Depth=4
	s_or_b32 exec_lo, exec_lo, s38
.LBB4_3373:                             ;   in Loop: Header=BB4_3280 Depth=4
	s_delay_alu instid0(SALU_CYCLE_1) | instskip(SKIP_3) | instid1(VALU_DEP_1)
	s_or_b32 exec_lo, exec_lo, s37
	v_lshrrev_b32_e32 v8, 24, v9
	s_mov_b32 s14, 0
	s_mov_b32 s38, exec_lo
                                        ; implicit-def: $sgpr37
	v_cmpx_lt_i16_e32 0x7f, v8
	s_xor_b32 s38, exec_lo, s38
	s_cbranch_execnz .LBB4_3763
; %bb.3374:                             ;   in Loop: Header=BB4_3280 Depth=4
	s_or_saveexec_b32 s38, s38
	v_mov_b32_e32 v134, s37
	s_xor_b32 exec_lo, exec_lo, s38
	s_cbranch_execnz .LBB4_3766
.LBB4_3375:                             ;   in Loop: Header=BB4_3280 Depth=4
	s_or_b32 exec_lo, exec_lo, s38
	s_and_saveexec_b32 s37, s14
	s_cbranch_execz .LBB4_3377
.LBB4_3376:                             ;   in Loop: Header=BB4_3280 Depth=4
	v_bfe_u32 v134, v9, 24, 2
	s_delay_alu instid0(VALU_DEP_1) | instskip(NEXT) | instid1(VALU_DEP_1)
	v_clz_i32_u32_e32 v135, v134
	v_min_u32_e32 v135, 32, v135
	s_delay_alu instid0(VALU_DEP_1) | instskip(SKIP_1) | instid1(VALU_DEP_2)
	v_subrev_nc_u32_e32 v144, 29, v135
	v_sub_nc_u32_e32 v135, 30, v135
	v_lshlrev_b32_e32 v8, v144, v8
	v_bfe_u32 v144, v9, 26, 5
	v_and_b32_e32 v9, 0x80000000, v9
	s_delay_alu instid0(VALU_DEP_2) | instskip(NEXT) | instid1(VALU_DEP_4)
	v_cmp_eq_u32_e32 vcc_lo, 0, v144
	v_dual_cndmask_b32 v135, v144, v135 :: v_dual_and_b32 v8, 3, v8
	s_delay_alu instid0(VALU_DEP_1) | instskip(NEXT) | instid1(VALU_DEP_2)
	v_cndmask_b32_e32 v8, v134, v8, vcc_lo
	v_lshl_add_u32 v134, v135, 23, 0x37800000
	s_delay_alu instid0(VALU_DEP_2) | instskip(NEXT) | instid1(VALU_DEP_1)
	v_lshlrev_b32_e32 v8, 21, v8
	v_or3_b32 v134, v9, v134, v8
.LBB4_3377:                             ;   in Loop: Header=BB4_3280 Depth=4
	s_or_b32 exec_lo, exec_lo, s37
	s_delay_alu instid0(VALU_DEP_1) | instskip(SKIP_1) | instid1(VALU_DEP_1)
	v_dual_mul_f32 v8, s36, v134 :: v_dual_mov_b32 v163, 0x8000
	s_mov_b32 s37, exec_lo
	v_and_b32_e32 v9, 0x7f800000, v8
	s_delay_alu instid0(VALU_DEP_1)
	v_cmpx_ne_u32_e32 0x7f800000, v9
	s_cbranch_execz .LBB4_3385
; %bb.3378:                             ;   in Loop: Header=BB4_3280 Depth=4
	v_mov_b32_e32 v163, 0
	s_mov_b32 s38, exec_lo
	v_cmpx_ne_u32_e32 0, v8
	s_cbranch_execz .LBB4_3384
; %bb.3379:                             ;   in Loop: Header=BB4_3280 Depth=4
	v_bfe_u32 v9, v8, 23, 8
	s_delay_alu instid0(VALU_DEP_1) | instskip(SKIP_1) | instid1(VALU_DEP_2)
	v_sub_nc_u32_e32 v135, 0x70, v9
	v_cmp_gt_u32_e32 vcc_lo, 0x71, v9
	v_dual_cndmask_b32 v135, 0, v135 :: v_dual_and_b32 v134, 0x7fffff, v8
	s_delay_alu instid0(VALU_DEP_1) | instskip(SKIP_2) | instid1(VALU_DEP_4)
	v_or_b32_e32 v144, 0x800000, v134
	v_cmp_eq_u32_e32 vcc_lo, 0, v9
	v_add_nc_u32_e32 v9, 0xffffff91, v9
	v_cndmask_b32_e64 v135, v135, 0x6f, vcc_lo
	s_delay_alu instid0(VALU_DEP_4) | instskip(NEXT) | instid1(VALU_DEP_3)
	v_cndmask_b32_e32 v134, v144, v134, vcc_lo
	v_cndmask_b32_e64 v9, v9, 0xffffff92, vcc_lo
	s_delay_alu instid0(VALU_DEP_3) | instskip(NEXT) | instid1(VALU_DEP_3)
	v_lshl_add_u32 v144, 0x200000, v135, -1
	v_lshrrev_b32_e32 v146, v135, v134
	v_lshlrev_b32_e64 v148, v135, 0x100000
	s_delay_alu instid0(VALU_DEP_4) | instskip(NEXT) | instid1(VALU_DEP_4)
	v_add_nc_u32_e32 v135, v135, v9
	v_and_b32_e32 v134, v144, v134
	s_delay_alu instid0(VALU_DEP_4) | instskip(NEXT) | instid1(VALU_DEP_2)
	v_bfe_u32 v147, v146, 21, 1
	v_cmp_eq_u32_e64 s14, v134, v148
	s_delay_alu instid0(VALU_DEP_2) | instskip(NEXT) | instid1(VALU_DEP_1)
	v_add_nc_u32_e32 v144, -1, v147
	v_cndmask_b32_e64 v134, 0, v144, s14
	v_lshrrev_b32_e32 v144, 23, v146
	s_mov_b32 s14, exec_lo
	s_delay_alu instid0(VALU_DEP_2) | instskip(NEXT) | instid1(VALU_DEP_2)
	v_add_nc_u32_e32 v134, v134, v146
	v_xor_b32_e32 v144, 1, v144
	s_delay_alu instid0(VALU_DEP_2) | instskip(NEXT) | instid1(VALU_DEP_1)
	v_and_b32_e32 v9, 0x1fffff, v134
	v_add_nc_u32_e32 v134, v9, v146
                                        ; implicit-def: $vgpr9
	s_delay_alu instid0(VALU_DEP_3)
	v_cmpx_ne_u32_e64 v135, v144
	s_xor_b32 s14, exec_lo, s14
; %bb.3380:                             ;   in Loop: Header=BB4_3280 Depth=4
	s_delay_alu instid0(VALU_DEP_2) | instskip(SKIP_2) | instid1(VALU_DEP_2)
	v_cmp_lt_u32_e32 vcc_lo, 0xffffff, v134
	v_sub_nc_u32_e32 v9, v135, v144
	v_cndmask_b32_e64 v135, 0, 1, vcc_lo
	v_add_co_ci_u32_e32 v9, vcc_lo, 0, v9, vcc_lo
	s_delay_alu instid0(VALU_DEP_2)
	v_lshrrev_b32_e32 v134, v135, v134
; %bb.3381:                             ;   in Loop: Header=BB4_3280 Depth=4
	s_and_not1_saveexec_b32 s14, s14
; %bb.3382:                             ;   in Loop: Header=BB4_3280 Depth=4
	s_delay_alu instid0(VALU_DEP_1)
	v_bfe_u32 v9, v134, 23, 1
; %bb.3383:                             ;   in Loop: Header=BB4_3280 Depth=4
	s_or_b32 exec_lo, exec_lo, s14
	v_lshrrev_b32_e32 v134, 21, v134
	s_delay_alu instid0(VALU_DEP_2) | instskip(SKIP_2) | instid1(VALU_DEP_2)
	v_cmp_gt_i32_e32 vcc_lo, 32, v9
	v_min_i32_e32 v135, 31, v9
	v_lshrrev_b32_e32 v8, 24, v8
	v_dual_cndmask_b32 v134, 3, v134 :: v_dual_lshlrev_b32 v135, 2, v135
	s_delay_alu instid0(VALU_DEP_2) | instskip(NEXT) | instid1(VALU_DEP_2)
	v_and_b32_e32 v8, 0x80, v8
	v_or_b32_e32 v9, v9, v134
	s_delay_alu instid0(VALU_DEP_3) | instskip(NEXT) | instid1(VALU_DEP_2)
	v_and_b32_e32 v135, 0xfc, v135
	v_cmp_ne_u32_e32 vcc_lo, 0, v9
	v_and_b32_e32 v144, 3, v134
	s_delay_alu instid0(VALU_DEP_1) | instskip(NEXT) | instid1(VALU_DEP_1)
	v_or3_b32 v8, v8, v135, v144
	v_lshlrev_b32_e32 v8, 8, v8
	s_delay_alu instid0(VALU_DEP_1)
	v_cndmask_b32_e32 v163, 0, v8, vcc_lo
.LBB4_3384:                             ;   in Loop: Header=BB4_3280 Depth=4
	s_or_b32 exec_lo, exec_lo, s38
.LBB4_3385:                             ;   in Loop: Header=BB4_3280 Depth=4
	s_delay_alu instid0(SALU_CYCLE_1) | instskip(SKIP_3) | instid1(VALU_DEP_1)
	s_or_b32 exec_lo, exec_lo, s37
	v_and_b32_e32 v9, 0xff, v10
	s_mov_b32 s14, 0
	s_mov_b32 s38, exec_lo
                                        ; implicit-def: $sgpr37
	v_cmpx_lt_i16_e32 0x7f, v9
	s_xor_b32 s38, exec_lo, s38
	s_cbranch_execnz .LBB4_3767
; %bb.3386:                             ;   in Loop: Header=BB4_3280 Depth=4
	s_or_saveexec_b32 s38, s38
	v_mov_b32_e32 v8, s37
	s_xor_b32 exec_lo, exec_lo, s38
	s_cbranch_execnz .LBB4_3770
.LBB4_3387:                             ;   in Loop: Header=BB4_3280 Depth=4
	s_or_b32 exec_lo, exec_lo, s38
	s_and_saveexec_b32 s37, s14
	s_cbranch_execz .LBB4_3389
.LBB4_3388:                             ;   in Loop: Header=BB4_3280 Depth=4
	v_bfe_u32 v135, v10, 2, 5
	v_lshlrev_b32_e32 v144, 24, v10
	s_delay_alu instid0(VALU_DEP_2) | instskip(SKIP_1) | instid1(VALU_DEP_1)
	v_cmp_eq_u32_e32 vcc_lo, 0, v135
	v_and_b32_e32 v8, 3, v10
	v_clz_i32_u32_e32 v9, v8
	s_delay_alu instid0(VALU_DEP_1) | instskip(NEXT) | instid1(VALU_DEP_1)
	v_min_u32_e32 v9, 32, v9
	v_subrev_nc_u32_e32 v134, 29, v9
	v_sub_nc_u32_e32 v9, 30, v9
	s_delay_alu instid0(VALU_DEP_1) | instskip(NEXT) | instid1(VALU_DEP_1)
	v_dual_cndmask_b32 v9, v135, v9 :: v_dual_lshlrev_b32 v134, v134, v10
	v_and_b32_e32 v134, 3, v134
	s_delay_alu instid0(VALU_DEP_2) | instskip(NEXT) | instid1(VALU_DEP_2)
	v_lshl_add_u32 v9, v9, 23, 0x37800000
	v_cndmask_b32_e32 v8, v8, v134, vcc_lo
	v_and_b32_e32 v134, 0x80000000, v144
	s_delay_alu instid0(VALU_DEP_2) | instskip(NEXT) | instid1(VALU_DEP_1)
	v_lshlrev_b32_e32 v8, 21, v8
	v_or3_b32 v8, v134, v9, v8
.LBB4_3389:                             ;   in Loop: Header=BB4_3280 Depth=4
	s_or_b32 exec_lo, exec_lo, s37
	s_delay_alu instid0(VALU_DEP_1) | instskip(SKIP_2) | instid1(VALU_DEP_2)
	v_mul_f32_e32 v8, s36, v8
	v_mov_b32_e32 v150, 0x80
	s_mov_b32 s37, exec_lo
	v_and_b32_e32 v9, 0x7f800000, v8
	s_delay_alu instid0(VALU_DEP_1)
	v_cmpx_ne_u32_e32 0x7f800000, v9
	s_cbranch_execz .LBB4_3397
; %bb.3390:                             ;   in Loop: Header=BB4_3280 Depth=4
	v_mov_b32_e32 v150, 0
	s_mov_b32 s38, exec_lo
	v_cmpx_ne_u32_e32 0, v8
	s_cbranch_execz .LBB4_3396
; %bb.3391:                             ;   in Loop: Header=BB4_3280 Depth=4
	v_bfe_u32 v9, v8, 23, 8
	s_delay_alu instid0(VALU_DEP_1) | instskip(SKIP_1) | instid1(VALU_DEP_2)
	v_sub_nc_u32_e32 v135, 0x70, v9
	v_cmp_gt_u32_e32 vcc_lo, 0x71, v9
	v_dual_cndmask_b32 v135, 0, v135 :: v_dual_and_b32 v134, 0x7fffff, v8
	s_delay_alu instid0(VALU_DEP_1) | instskip(SKIP_2) | instid1(VALU_DEP_4)
	v_or_b32_e32 v144, 0x800000, v134
	v_cmp_eq_u32_e32 vcc_lo, 0, v9
	v_add_nc_u32_e32 v9, 0xffffff91, v9
	v_cndmask_b32_e64 v135, v135, 0x6f, vcc_lo
	s_delay_alu instid0(VALU_DEP_4) | instskip(NEXT) | instid1(VALU_DEP_3)
	v_cndmask_b32_e32 v134, v144, v134, vcc_lo
	v_cndmask_b32_e64 v9, v9, 0xffffff92, vcc_lo
	s_delay_alu instid0(VALU_DEP_3) | instskip(NEXT) | instid1(VALU_DEP_3)
	v_lshl_add_u32 v144, 0x200000, v135, -1
	v_lshrrev_b32_e32 v146, v135, v134
	v_lshlrev_b32_e64 v148, v135, 0x100000
	s_delay_alu instid0(VALU_DEP_4) | instskip(NEXT) | instid1(VALU_DEP_4)
	v_add_nc_u32_e32 v135, v135, v9
	v_and_b32_e32 v134, v144, v134
	s_delay_alu instid0(VALU_DEP_4) | instskip(NEXT) | instid1(VALU_DEP_2)
	v_bfe_u32 v147, v146, 21, 1
	v_cmp_eq_u32_e64 s14, v134, v148
	s_delay_alu instid0(VALU_DEP_2) | instskip(NEXT) | instid1(VALU_DEP_1)
	v_add_nc_u32_e32 v144, -1, v147
	v_cndmask_b32_e64 v134, 0, v144, s14
	v_lshrrev_b32_e32 v144, 23, v146
	s_mov_b32 s14, exec_lo
	s_delay_alu instid0(VALU_DEP_2) | instskip(NEXT) | instid1(VALU_DEP_2)
	v_add_nc_u32_e32 v134, v134, v146
	v_xor_b32_e32 v144, 1, v144
	s_delay_alu instid0(VALU_DEP_2) | instskip(NEXT) | instid1(VALU_DEP_1)
	v_and_b32_e32 v9, 0x1fffff, v134
	v_add_nc_u32_e32 v134, v9, v146
                                        ; implicit-def: $vgpr9
	s_delay_alu instid0(VALU_DEP_3)
	v_cmpx_ne_u32_e64 v135, v144
	s_xor_b32 s14, exec_lo, s14
; %bb.3392:                             ;   in Loop: Header=BB4_3280 Depth=4
	s_delay_alu instid0(VALU_DEP_2) | instskip(SKIP_2) | instid1(VALU_DEP_2)
	v_cmp_lt_u32_e32 vcc_lo, 0xffffff, v134
	v_sub_nc_u32_e32 v9, v135, v144
	v_cndmask_b32_e64 v135, 0, 1, vcc_lo
	v_add_co_ci_u32_e32 v9, vcc_lo, 0, v9, vcc_lo
	s_delay_alu instid0(VALU_DEP_2)
	v_lshrrev_b32_e32 v134, v135, v134
; %bb.3393:                             ;   in Loop: Header=BB4_3280 Depth=4
	s_and_not1_saveexec_b32 s14, s14
; %bb.3394:                             ;   in Loop: Header=BB4_3280 Depth=4
	s_delay_alu instid0(VALU_DEP_1)
	v_bfe_u32 v9, v134, 23, 1
; %bb.3395:                             ;   in Loop: Header=BB4_3280 Depth=4
	s_or_b32 exec_lo, exec_lo, s14
	v_lshrrev_b32_e32 v134, 21, v134
	s_delay_alu instid0(VALU_DEP_2) | instskip(SKIP_2) | instid1(VALU_DEP_4)
	v_cmp_gt_i32_e32 vcc_lo, 32, v9
	v_lshrrev_b32_e32 v8, 24, v8
	v_min_i32_e32 v135, 31, v9
	v_cndmask_b32_e32 v134, 3, v134, vcc_lo
	s_delay_alu instid0(VALU_DEP_3) | instskip(NEXT) | instid1(VALU_DEP_3)
	v_and_b32_e32 v8, 0x80, v8
	v_lshlrev_b32_e32 v135, 2, v135
	s_delay_alu instid0(VALU_DEP_3) | instskip(SKIP_1) | instid1(VALU_DEP_2)
	v_and_b32_e32 v144, 3, v134
	v_or_b32_e32 v9, v9, v134
	v_or3_b32 v8, v135, v8, v144
	s_delay_alu instid0(VALU_DEP_2) | instskip(NEXT) | instid1(VALU_DEP_2)
	v_cmp_ne_u32_e32 vcc_lo, 0, v9
	v_cndmask_b32_e32 v150, 0, v8, vcc_lo
.LBB4_3396:                             ;   in Loop: Header=BB4_3280 Depth=4
	s_or_b32 exec_lo, exec_lo, s38
.LBB4_3397:                             ;   in Loop: Header=BB4_3280 Depth=4
	s_delay_alu instid0(SALU_CYCLE_1) | instskip(SKIP_3) | instid1(VALU_DEP_1)
	s_or_b32 exec_lo, exec_lo, s37
	v_lshrrev_b16 v8, 8, v10
	s_mov_b32 s14, 0
	s_mov_b32 s38, exec_lo
                                        ; implicit-def: $sgpr37
	v_cmpx_lt_i16_e32 0x7f, v8
	s_xor_b32 s38, exec_lo, s38
	s_cbranch_execnz .LBB4_3771
; %bb.3398:                             ;   in Loop: Header=BB4_3280 Depth=4
	s_or_saveexec_b32 s38, s38
	v_mov_b32_e32 v9, s37
	s_xor_b32 exec_lo, exec_lo, s38
	s_cbranch_execnz .LBB4_3774
.LBB4_3399:                             ;   in Loop: Header=BB4_3280 Depth=4
	s_or_b32 exec_lo, exec_lo, s38
	s_and_saveexec_b32 s37, s14
	s_cbranch_execz .LBB4_3401
.LBB4_3400:                             ;   in Loop: Header=BB4_3280 Depth=4
	v_and_b32_e32 v9, 0xffff, v8
	v_lshlrev_b32_e32 v8, 24, v8
	s_delay_alu instid0(VALU_DEP_2) | instskip(NEXT) | instid1(VALU_DEP_2)
	v_and_b32_e32 v134, 3, v9
	v_and_b32_e32 v8, 0x80000000, v8
	s_delay_alu instid0(VALU_DEP_2) | instskip(NEXT) | instid1(VALU_DEP_1)
	v_clz_i32_u32_e32 v135, v134
	v_min_u32_e32 v135, 32, v135
	s_delay_alu instid0(VALU_DEP_1) | instskip(SKIP_1) | instid1(VALU_DEP_2)
	v_subrev_nc_u32_e32 v144, 29, v135
	v_sub_nc_u32_e32 v135, 30, v135
	v_lshlrev_b32_e32 v144, v144, v9
	v_bfe_u32 v9, v9, 2, 5
	s_delay_alu instid0(VALU_DEP_2) | instskip(NEXT) | instid1(VALU_DEP_2)
	v_and_b32_e32 v144, 3, v144
	v_cmp_eq_u32_e32 vcc_lo, 0, v9
	s_delay_alu instid0(VALU_DEP_2) | instskip(NEXT) | instid1(VALU_DEP_1)
	v_dual_cndmask_b32 v9, v9, v135 :: v_dual_cndmask_b32 v134, v134, v144
	v_lshl_add_u32 v9, v9, 23, 0x37800000
	s_delay_alu instid0(VALU_DEP_2) | instskip(NEXT) | instid1(VALU_DEP_1)
	v_lshlrev_b32_e32 v134, 21, v134
	v_or3_b32 v9, v8, v9, v134
.LBB4_3401:                             ;   in Loop: Header=BB4_3280 Depth=4
	s_or_b32 exec_lo, exec_lo, s37
	s_delay_alu instid0(VALU_DEP_1) | instskip(SKIP_2) | instid1(VALU_DEP_2)
	v_mul_f32_e32 v8, s36, v9
	v_mov_b32_e32 v148, 0x80
	s_mov_b32 s37, exec_lo
	v_and_b32_e32 v9, 0x7f800000, v8
	s_delay_alu instid0(VALU_DEP_1)
	v_cmpx_ne_u32_e32 0x7f800000, v9
	s_cbranch_execz .LBB4_3409
; %bb.3402:                             ;   in Loop: Header=BB4_3280 Depth=4
	v_mov_b32_e32 v148, 0
	s_mov_b32 s38, exec_lo
	v_cmpx_ne_u32_e32 0, v8
	s_cbranch_execz .LBB4_3408
; %bb.3403:                             ;   in Loop: Header=BB4_3280 Depth=4
	v_bfe_u32 v9, v8, 23, 8
	s_delay_alu instid0(VALU_DEP_1) | instskip(SKIP_1) | instid1(VALU_DEP_2)
	v_sub_nc_u32_e32 v135, 0x70, v9
	v_cmp_gt_u32_e32 vcc_lo, 0x71, v9
	v_dual_cndmask_b32 v135, 0, v135 :: v_dual_and_b32 v134, 0x7fffff, v8
	s_delay_alu instid0(VALU_DEP_1) | instskip(SKIP_2) | instid1(VALU_DEP_4)
	v_or_b32_e32 v144, 0x800000, v134
	v_cmp_eq_u32_e32 vcc_lo, 0, v9
	v_add_nc_u32_e32 v9, 0xffffff91, v9
	v_cndmask_b32_e64 v135, v135, 0x6f, vcc_lo
	s_delay_alu instid0(VALU_DEP_4) | instskip(NEXT) | instid1(VALU_DEP_3)
	v_cndmask_b32_e32 v134, v144, v134, vcc_lo
	v_cndmask_b32_e64 v9, v9, 0xffffff92, vcc_lo
	s_delay_alu instid0(VALU_DEP_3) | instskip(NEXT) | instid1(VALU_DEP_3)
	v_lshl_add_u32 v144, 0x200000, v135, -1
	v_lshrrev_b32_e32 v146, v135, v134
	v_lshlrev_b32_e64 v148, v135, 0x100000
	s_delay_alu instid0(VALU_DEP_4) | instskip(NEXT) | instid1(VALU_DEP_4)
	v_add_nc_u32_e32 v135, v135, v9
	v_and_b32_e32 v134, v144, v134
	s_delay_alu instid0(VALU_DEP_4) | instskip(NEXT) | instid1(VALU_DEP_2)
	v_bfe_u32 v147, v146, 21, 1
	v_cmp_eq_u32_e64 s14, v134, v148
	s_delay_alu instid0(VALU_DEP_2) | instskip(NEXT) | instid1(VALU_DEP_1)
	v_add_nc_u32_e32 v144, -1, v147
	v_cndmask_b32_e64 v134, 0, v144, s14
	v_lshrrev_b32_e32 v144, 23, v146
	s_mov_b32 s14, exec_lo
	s_delay_alu instid0(VALU_DEP_2) | instskip(NEXT) | instid1(VALU_DEP_2)
	v_add_nc_u32_e32 v134, v134, v146
	v_xor_b32_e32 v144, 1, v144
	s_delay_alu instid0(VALU_DEP_2) | instskip(NEXT) | instid1(VALU_DEP_1)
	v_and_b32_e32 v9, 0x1fffff, v134
	v_add_nc_u32_e32 v134, v9, v146
                                        ; implicit-def: $vgpr9
	s_delay_alu instid0(VALU_DEP_3)
	v_cmpx_ne_u32_e64 v135, v144
	s_xor_b32 s14, exec_lo, s14
; %bb.3404:                             ;   in Loop: Header=BB4_3280 Depth=4
	s_delay_alu instid0(VALU_DEP_2) | instskip(SKIP_2) | instid1(VALU_DEP_2)
	v_cmp_lt_u32_e32 vcc_lo, 0xffffff, v134
	v_sub_nc_u32_e32 v9, v135, v144
	v_cndmask_b32_e64 v135, 0, 1, vcc_lo
	v_add_co_ci_u32_e32 v9, vcc_lo, 0, v9, vcc_lo
	s_delay_alu instid0(VALU_DEP_2)
	v_lshrrev_b32_e32 v134, v135, v134
; %bb.3405:                             ;   in Loop: Header=BB4_3280 Depth=4
	s_and_not1_saveexec_b32 s14, s14
; %bb.3406:                             ;   in Loop: Header=BB4_3280 Depth=4
	s_delay_alu instid0(VALU_DEP_1)
	v_bfe_u32 v9, v134, 23, 1
; %bb.3407:                             ;   in Loop: Header=BB4_3280 Depth=4
	s_or_b32 exec_lo, exec_lo, s14
	v_lshrrev_b32_e32 v134, 21, v134
	s_delay_alu instid0(VALU_DEP_2) | instskip(SKIP_2) | instid1(VALU_DEP_4)
	v_cmp_gt_i32_e32 vcc_lo, 32, v9
	v_lshrrev_b32_e32 v8, 24, v8
	v_min_i32_e32 v135, 31, v9
	v_cndmask_b32_e32 v134, 3, v134, vcc_lo
	s_delay_alu instid0(VALU_DEP_3) | instskip(NEXT) | instid1(VALU_DEP_3)
	v_and_b32_e32 v8, 0x80, v8
	v_lshlrev_b32_e32 v135, 2, v135
	s_delay_alu instid0(VALU_DEP_3) | instskip(SKIP_1) | instid1(VALU_DEP_2)
	v_and_b32_e32 v144, 3, v134
	v_or_b32_e32 v9, v9, v134
	v_or3_b32 v8, v135, v8, v144
	s_delay_alu instid0(VALU_DEP_2) | instskip(NEXT) | instid1(VALU_DEP_2)
	v_cmp_ne_u32_e32 vcc_lo, 0, v9
	v_cndmask_b32_e32 v148, 0, v8, vcc_lo
.LBB4_3408:                             ;   in Loop: Header=BB4_3280 Depth=4
	s_or_b32 exec_lo, exec_lo, s38
.LBB4_3409:                             ;   in Loop: Header=BB4_3280 Depth=4
	s_delay_alu instid0(SALU_CYCLE_1) | instskip(SKIP_3) | instid1(VALU_DEP_1)
	s_or_b32 exec_lo, exec_lo, s37
	v_lshrrev_b32_e32 v8, 16, v10
	s_mov_b32 s14, 0
	s_mov_b32 s38, exec_lo
                                        ; implicit-def: $sgpr37
	v_and_b32_e32 v134, 0xff, v8
	s_delay_alu instid0(VALU_DEP_1)
	v_cmpx_lt_i16_e64 0x7f, v134
	s_xor_b32 s38, exec_lo, s38
	s_cbranch_execnz .LBB4_3775
; %bb.3410:                             ;   in Loop: Header=BB4_3280 Depth=4
	s_or_saveexec_b32 s38, s38
	v_mov_b32_e32 v9, s37
	s_xor_b32 exec_lo, exec_lo, s38
	s_cbranch_execnz .LBB4_3778
.LBB4_3411:                             ;   in Loop: Header=BB4_3280 Depth=4
	s_or_b32 exec_lo, exec_lo, s38
	s_and_saveexec_b32 s37, s14
	s_cbranch_execz .LBB4_3413
.LBB4_3412:                             ;   in Loop: Header=BB4_3280 Depth=4
	v_bfe_u32 v9, v10, 16, 2
	v_lshlrev_b32_e32 v144, 8, v10
	s_delay_alu instid0(VALU_DEP_2) | instskip(NEXT) | instid1(VALU_DEP_1)
	v_clz_i32_u32_e32 v134, v9
	v_min_u32_e32 v134, 32, v134
	s_delay_alu instid0(VALU_DEP_1) | instskip(SKIP_1) | instid1(VALU_DEP_2)
	v_subrev_nc_u32_e32 v135, 29, v134
	v_sub_nc_u32_e32 v134, 30, v134
	v_lshlrev_b32_e32 v8, v135, v8
	v_bfe_u32 v135, v10, 18, 5
	s_delay_alu instid0(VALU_DEP_2) | instskip(NEXT) | instid1(VALU_DEP_2)
	v_and_b32_e32 v8, 3, v8
	v_cmp_eq_u32_e32 vcc_lo, 0, v135
	v_cndmask_b32_e32 v134, v135, v134, vcc_lo
	s_delay_alu instid0(VALU_DEP_3) | instskip(SKIP_1) | instid1(VALU_DEP_3)
	v_cndmask_b32_e32 v8, v9, v8, vcc_lo
	v_and_b32_e32 v9, 0x80000000, v144
	v_lshl_add_u32 v134, v134, 23, 0x37800000
	s_delay_alu instid0(VALU_DEP_3) | instskip(NEXT) | instid1(VALU_DEP_1)
	v_lshlrev_b32_e32 v8, 21, v8
	v_or3_b32 v9, v9, v134, v8
.LBB4_3413:                             ;   in Loop: Header=BB4_3280 Depth=4
	s_or_b32 exec_lo, exec_lo, s37
	s_delay_alu instid0(VALU_DEP_1) | instskip(SKIP_1) | instid1(VALU_DEP_1)
	v_dual_mul_f32 v8, s36, v9 :: v_dual_mov_b32 v147, 0x80
	s_mov_b32 s37, exec_lo
	v_and_b32_e32 v9, 0x7f800000, v8
	s_delay_alu instid0(VALU_DEP_1)
	v_cmpx_ne_u32_e32 0x7f800000, v9
	s_cbranch_execz .LBB4_3421
; %bb.3414:                             ;   in Loop: Header=BB4_3280 Depth=4
	v_mov_b32_e32 v147, 0
	s_mov_b32 s38, exec_lo
	v_cmpx_ne_u32_e32 0, v8
	s_cbranch_execz .LBB4_3420
; %bb.3415:                             ;   in Loop: Header=BB4_3280 Depth=4
	v_bfe_u32 v9, v8, 23, 8
	s_delay_alu instid0(VALU_DEP_1) | instskip(SKIP_1) | instid1(VALU_DEP_2)
	v_sub_nc_u32_e32 v135, 0x70, v9
	v_cmp_gt_u32_e32 vcc_lo, 0x71, v9
	v_dual_cndmask_b32 v135, 0, v135 :: v_dual_and_b32 v134, 0x7fffff, v8
	s_delay_alu instid0(VALU_DEP_1) | instskip(SKIP_2) | instid1(VALU_DEP_4)
	v_or_b32_e32 v144, 0x800000, v134
	v_cmp_eq_u32_e32 vcc_lo, 0, v9
	v_add_nc_u32_e32 v9, 0xffffff91, v9
	v_cndmask_b32_e64 v135, v135, 0x6f, vcc_lo
	s_delay_alu instid0(VALU_DEP_4) | instskip(NEXT) | instid1(VALU_DEP_3)
	v_cndmask_b32_e32 v134, v144, v134, vcc_lo
	v_cndmask_b32_e64 v9, v9, 0xffffff92, vcc_lo
	s_delay_alu instid0(VALU_DEP_3) | instskip(NEXT) | instid1(VALU_DEP_3)
	v_lshl_add_u32 v144, 0x200000, v135, -1
	v_lshrrev_b32_e32 v146, v135, v134
	v_lshlrev_b32_e64 v149, v135, 0x100000
	s_delay_alu instid0(VALU_DEP_4) | instskip(NEXT) | instid1(VALU_DEP_4)
	v_add_nc_u32_e32 v135, v135, v9
	v_and_b32_e32 v134, v144, v134
	s_delay_alu instid0(VALU_DEP_4) | instskip(NEXT) | instid1(VALU_DEP_2)
	v_bfe_u32 v147, v146, 21, 1
	v_cmp_eq_u32_e64 s14, v134, v149
	s_delay_alu instid0(VALU_DEP_2) | instskip(NEXT) | instid1(VALU_DEP_1)
	v_add_nc_u32_e32 v144, -1, v147
	v_cndmask_b32_e64 v134, 0, v144, s14
	v_lshrrev_b32_e32 v144, 23, v146
	s_mov_b32 s14, exec_lo
	s_delay_alu instid0(VALU_DEP_2) | instskip(NEXT) | instid1(VALU_DEP_2)
	v_add_nc_u32_e32 v134, v134, v146
	v_xor_b32_e32 v144, 1, v144
	s_delay_alu instid0(VALU_DEP_2) | instskip(NEXT) | instid1(VALU_DEP_1)
	v_and_b32_e32 v9, 0x1fffff, v134
	v_add_nc_u32_e32 v134, v9, v146
                                        ; implicit-def: $vgpr9
	s_delay_alu instid0(VALU_DEP_3)
	v_cmpx_ne_u32_e64 v135, v144
	s_xor_b32 s14, exec_lo, s14
; %bb.3416:                             ;   in Loop: Header=BB4_3280 Depth=4
	s_delay_alu instid0(VALU_DEP_2) | instskip(SKIP_2) | instid1(VALU_DEP_2)
	v_cmp_lt_u32_e32 vcc_lo, 0xffffff, v134
	v_sub_nc_u32_e32 v9, v135, v144
	v_cndmask_b32_e64 v135, 0, 1, vcc_lo
	v_add_co_ci_u32_e32 v9, vcc_lo, 0, v9, vcc_lo
	s_delay_alu instid0(VALU_DEP_2)
	v_lshrrev_b32_e32 v134, v135, v134
; %bb.3417:                             ;   in Loop: Header=BB4_3280 Depth=4
	s_and_not1_saveexec_b32 s14, s14
; %bb.3418:                             ;   in Loop: Header=BB4_3280 Depth=4
	s_delay_alu instid0(VALU_DEP_1)
	v_bfe_u32 v9, v134, 23, 1
; %bb.3419:                             ;   in Loop: Header=BB4_3280 Depth=4
	s_or_b32 exec_lo, exec_lo, s14
	v_lshrrev_b32_e32 v134, 21, v134
	s_delay_alu instid0(VALU_DEP_2) | instskip(SKIP_2) | instid1(VALU_DEP_2)
	v_cmp_gt_i32_e32 vcc_lo, 32, v9
	v_min_i32_e32 v135, 31, v9
	v_lshrrev_b32_e32 v8, 24, v8
	v_dual_cndmask_b32 v134, 3, v134 :: v_dual_lshlrev_b32 v135, 2, v135
	s_delay_alu instid0(VALU_DEP_2) | instskip(NEXT) | instid1(VALU_DEP_2)
	v_and_b32_e32 v8, 0x80, v8
	v_or_b32_e32 v9, v9, v134
	s_delay_alu instid0(VALU_DEP_1) | instskip(SKIP_1) | instid1(VALU_DEP_1)
	v_cmp_ne_u32_e32 vcc_lo, 0, v9
	v_and_b32_e32 v144, 3, v134
	v_or3_b32 v8, v135, v8, v144
	s_delay_alu instid0(VALU_DEP_1)
	v_cndmask_b32_e32 v147, 0, v8, vcc_lo
.LBB4_3420:                             ;   in Loop: Header=BB4_3280 Depth=4
	s_or_b32 exec_lo, exec_lo, s38
.LBB4_3421:                             ;   in Loop: Header=BB4_3280 Depth=4
	s_delay_alu instid0(SALU_CYCLE_1) | instskip(SKIP_3) | instid1(VALU_DEP_1)
	s_or_b32 exec_lo, exec_lo, s37
	v_lshrrev_b32_e32 v8, 24, v10
	s_mov_b32 s14, 0
	s_mov_b32 s38, exec_lo
                                        ; implicit-def: $sgpr37
	v_cmpx_lt_i16_e32 0x7f, v8
	s_xor_b32 s38, exec_lo, s38
	s_cbranch_execnz .LBB4_3779
; %bb.3422:                             ;   in Loop: Header=BB4_3280 Depth=4
	s_or_saveexec_b32 s38, s38
	v_mov_b32_e32 v9, s37
	s_xor_b32 exec_lo, exec_lo, s38
	s_cbranch_execnz .LBB4_3782
.LBB4_3423:                             ;   in Loop: Header=BB4_3280 Depth=4
	s_or_b32 exec_lo, exec_lo, s38
	s_and_saveexec_b32 s37, s14
	s_cbranch_execz .LBB4_3425
.LBB4_3424:                             ;   in Loop: Header=BB4_3280 Depth=4
	v_bfe_u32 v9, v10, 24, 2
	s_delay_alu instid0(VALU_DEP_1) | instskip(NEXT) | instid1(VALU_DEP_1)
	v_clz_i32_u32_e32 v134, v9
	v_min_u32_e32 v134, 32, v134
	s_delay_alu instid0(VALU_DEP_1) | instskip(SKIP_1) | instid1(VALU_DEP_2)
	v_subrev_nc_u32_e32 v135, 29, v134
	v_sub_nc_u32_e32 v134, 30, v134
	v_lshlrev_b32_e32 v8, v135, v8
	v_bfe_u32 v135, v10, 26, 5
	s_delay_alu instid0(VALU_DEP_2) | instskip(NEXT) | instid1(VALU_DEP_2)
	v_and_b32_e32 v8, 3, v8
	v_cmp_eq_u32_e32 vcc_lo, 0, v135
	v_cndmask_b32_e32 v134, v135, v134, vcc_lo
	s_delay_alu instid0(VALU_DEP_3) | instskip(NEXT) | instid1(VALU_DEP_2)
	v_dual_cndmask_b32 v8, v9, v8 :: v_dual_and_b32 v9, 0x80000000, v10
	v_lshl_add_u32 v10, v134, 23, 0x37800000
	s_delay_alu instid0(VALU_DEP_2) | instskip(NEXT) | instid1(VALU_DEP_1)
	v_lshlrev_b32_e32 v8, 21, v8
	v_or3_b32 v9, v9, v10, v8
.LBB4_3425:                             ;   in Loop: Header=BB4_3280 Depth=4
	s_or_b32 exec_lo, exec_lo, s37
	s_delay_alu instid0(VALU_DEP_1) | instskip(SKIP_2) | instid1(VALU_DEP_2)
	v_mul_f32_e32 v8, s36, v9
	v_mov_b32_e32 v144, 0x80
	s_mov_b32 s37, exec_lo
	v_and_b32_e32 v9, 0x7f800000, v8
	s_delay_alu instid0(VALU_DEP_1)
	v_cmpx_ne_u32_e32 0x7f800000, v9
	s_cbranch_execz .LBB4_3433
; %bb.3426:                             ;   in Loop: Header=BB4_3280 Depth=4
	v_mov_b32_e32 v144, 0
	s_mov_b32 s38, exec_lo
	v_cmpx_ne_u32_e32 0, v8
	s_cbranch_execz .LBB4_3432
; %bb.3427:                             ;   in Loop: Header=BB4_3280 Depth=4
	v_bfe_u32 v9, v8, 23, 8
	v_and_b32_e32 v10, 0x7fffff, v8
	s_delay_alu instid0(VALU_DEP_2) | instskip(SKIP_1) | instid1(VALU_DEP_3)
	v_sub_nc_u32_e32 v134, 0x70, v9
	v_cmp_gt_u32_e32 vcc_lo, 0x71, v9
	v_or_b32_e32 v135, 0x800000, v10
	s_delay_alu instid0(VALU_DEP_3) | instskip(SKIP_2) | instid1(VALU_DEP_3)
	v_cndmask_b32_e32 v134, 0, v134, vcc_lo
	v_cmp_eq_u32_e32 vcc_lo, 0, v9
	v_add_nc_u32_e32 v9, 0xffffff91, v9
	v_cndmask_b32_e64 v134, v134, 0x6f, vcc_lo
	v_cndmask_b32_e32 v10, v135, v10, vcc_lo
	s_delay_alu instid0(VALU_DEP_3) | instskip(NEXT) | instid1(VALU_DEP_3)
	v_cndmask_b32_e64 v9, v9, 0xffffff92, vcc_lo
	v_lshl_add_u32 v135, 0x200000, v134, -1
	s_delay_alu instid0(VALU_DEP_3) | instskip(SKIP_1) | instid1(VALU_DEP_4)
	v_lshrrev_b32_e32 v144, v134, v10
	v_lshlrev_b32_e64 v149, v134, 0x100000
	v_add_nc_u32_e32 v134, v134, v9
	s_delay_alu instid0(VALU_DEP_4) | instskip(NEXT) | instid1(VALU_DEP_4)
	v_and_b32_e32 v10, v135, v10
	v_bfe_u32 v146, v144, 21, 1
	s_delay_alu instid0(VALU_DEP_2) | instskip(NEXT) | instid1(VALU_DEP_2)
	v_cmp_eq_u32_e64 s14, v10, v149
	v_add_nc_u32_e32 v135, -1, v146
	s_delay_alu instid0(VALU_DEP_1) | instskip(SKIP_2) | instid1(VALU_DEP_2)
	v_cndmask_b32_e64 v10, 0, v135, s14
	v_lshrrev_b32_e32 v135, 23, v144
	s_mov_b32 s14, exec_lo
	v_add_nc_u32_e32 v10, v10, v144
	s_delay_alu instid0(VALU_DEP_2) | instskip(NEXT) | instid1(VALU_DEP_2)
	v_xor_b32_e32 v135, 1, v135
	v_and_b32_e32 v9, 0x1fffff, v10
	s_delay_alu instid0(VALU_DEP_1) | instskip(NEXT) | instid1(VALU_DEP_3)
	v_add_nc_u32_e32 v10, v9, v144
                                        ; implicit-def: $vgpr9
	v_cmpx_ne_u32_e64 v134, v135
	s_xor_b32 s14, exec_lo, s14
; %bb.3428:                             ;   in Loop: Header=BB4_3280 Depth=4
	s_delay_alu instid0(VALU_DEP_2) | instskip(SKIP_2) | instid1(VALU_DEP_2)
	v_cmp_lt_u32_e32 vcc_lo, 0xffffff, v10
	v_sub_nc_u32_e32 v9, v134, v135
	v_cndmask_b32_e64 v134, 0, 1, vcc_lo
	v_add_co_ci_u32_e32 v9, vcc_lo, 0, v9, vcc_lo
	s_delay_alu instid0(VALU_DEP_2)
	v_lshrrev_b32_e32 v10, v134, v10
; %bb.3429:                             ;   in Loop: Header=BB4_3280 Depth=4
	s_and_not1_saveexec_b32 s14, s14
; %bb.3430:                             ;   in Loop: Header=BB4_3280 Depth=4
	s_delay_alu instid0(VALU_DEP_1)
	v_bfe_u32 v9, v10, 23, 1
; %bb.3431:                             ;   in Loop: Header=BB4_3280 Depth=4
	s_or_b32 exec_lo, exec_lo, s14
	v_lshrrev_b32_e32 v10, 21, v10
	s_delay_alu instid0(VALU_DEP_2) | instskip(SKIP_2) | instid1(VALU_DEP_4)
	v_cmp_gt_i32_e32 vcc_lo, 32, v9
	v_lshrrev_b32_e32 v8, 24, v8
	v_min_i32_e32 v134, 31, v9
	v_cndmask_b32_e32 v10, 3, v10, vcc_lo
	s_delay_alu instid0(VALU_DEP_3) | instskip(NEXT) | instid1(VALU_DEP_3)
	v_and_b32_e32 v8, 0x80, v8
	v_lshlrev_b32_e32 v134, 2, v134
	s_delay_alu instid0(VALU_DEP_3) | instskip(NEXT) | instid1(VALU_DEP_1)
	v_or_b32_e32 v9, v9, v10
	v_cmp_ne_u32_e32 vcc_lo, 0, v9
	v_and_b32_e32 v135, 3, v10
	s_delay_alu instid0(VALU_DEP_1) | instskip(NEXT) | instid1(VALU_DEP_1)
	v_or3_b32 v8, v134, v8, v135
	v_cndmask_b32_e32 v144, 0, v8, vcc_lo
.LBB4_3432:                             ;   in Loop: Header=BB4_3280 Depth=4
	s_or_b32 exec_lo, exec_lo, s38
.LBB4_3433:                             ;   in Loop: Header=BB4_3280 Depth=4
	s_delay_alu instid0(SALU_CYCLE_1) | instskip(SKIP_3) | instid1(VALU_DEP_1)
	s_or_b32 exec_lo, exec_lo, s37
	v_and_b32_e32 v9, 0xff, v11
	s_mov_b32 s14, 0
	s_mov_b32 s38, exec_lo
                                        ; implicit-def: $sgpr37
	v_cmpx_lt_i16_e32 0x7f, v9
	s_xor_b32 s38, exec_lo, s38
	s_cbranch_execnz .LBB4_3783
; %bb.3434:                             ;   in Loop: Header=BB4_3280 Depth=4
	s_or_saveexec_b32 s38, s38
	v_mov_b32_e32 v8, s37
	s_xor_b32 exec_lo, exec_lo, s38
	s_cbranch_execnz .LBB4_3786
.LBB4_3435:                             ;   in Loop: Header=BB4_3280 Depth=4
	s_or_b32 exec_lo, exec_lo, s38
	s_and_saveexec_b32 s37, s14
	s_cbranch_execz .LBB4_3437
.LBB4_3436:                             ;   in Loop: Header=BB4_3280 Depth=4
	v_bfe_u32 v134, v11, 2, 5
	s_delay_alu instid0(VALU_DEP_1) | instskip(SKIP_1) | instid1(VALU_DEP_1)
	v_cmp_eq_u32_e32 vcc_lo, 0, v134
	v_and_b32_e32 v8, 3, v11
	v_clz_i32_u32_e32 v9, v8
	s_delay_alu instid0(VALU_DEP_1) | instskip(NEXT) | instid1(VALU_DEP_1)
	v_min_u32_e32 v9, 32, v9
	v_subrev_nc_u32_e32 v10, 29, v9
	v_sub_nc_u32_e32 v9, 30, v9
	s_delay_alu instid0(VALU_DEP_2) | instskip(NEXT) | instid1(VALU_DEP_1)
	v_lshlrev_b32_e32 v10, v10, v11
	v_dual_cndmask_b32 v9, v134, v9 :: v_dual_and_b32 v10, 3, v10
	v_lshlrev_b32_e32 v135, 24, v11
	s_delay_alu instid0(VALU_DEP_2) | instskip(NEXT) | instid1(VALU_DEP_3)
	v_lshl_add_u32 v9, v9, 23, 0x37800000
	v_cndmask_b32_e32 v8, v8, v10, vcc_lo
	s_delay_alu instid0(VALU_DEP_3) | instskip(NEXT) | instid1(VALU_DEP_2)
	v_and_b32_e32 v10, 0x80000000, v135
	v_lshlrev_b32_e32 v8, 21, v8
	s_delay_alu instid0(VALU_DEP_1)
	v_or3_b32 v8, v10, v9, v8
.LBB4_3437:                             ;   in Loop: Header=BB4_3280 Depth=4
	s_or_b32 exec_lo, exec_lo, s37
	s_delay_alu instid0(VALU_DEP_1) | instskip(SKIP_1) | instid1(VALU_DEP_1)
	v_dual_mul_f32 v8, s36, v8 :: v_dual_mov_b32 v135, 0x80
	s_mov_b32 s37, exec_lo
	v_and_b32_e32 v9, 0x7f800000, v8
	s_delay_alu instid0(VALU_DEP_1)
	v_cmpx_ne_u32_e32 0x7f800000, v9
	s_cbranch_execz .LBB4_3445
; %bb.3438:                             ;   in Loop: Header=BB4_3280 Depth=4
	v_mov_b32_e32 v135, 0
	s_mov_b32 s38, exec_lo
	v_cmpx_ne_u32_e32 0, v8
	s_cbranch_execz .LBB4_3444
; %bb.3439:                             ;   in Loop: Header=BB4_3280 Depth=4
	v_bfe_u32 v9, v8, 23, 8
	v_and_b32_e32 v10, 0x7fffff, v8
	s_delay_alu instid0(VALU_DEP_2) | instskip(SKIP_1) | instid1(VALU_DEP_3)
	v_sub_nc_u32_e32 v134, 0x70, v9
	v_cmp_gt_u32_e32 vcc_lo, 0x71, v9
	v_or_b32_e32 v135, 0x800000, v10
	s_delay_alu instid0(VALU_DEP_3) | instskip(SKIP_2) | instid1(VALU_DEP_3)
	v_cndmask_b32_e32 v134, 0, v134, vcc_lo
	v_cmp_eq_u32_e32 vcc_lo, 0, v9
	v_add_nc_u32_e32 v9, 0xffffff91, v9
	v_cndmask_b32_e64 v134, v134, 0x6f, vcc_lo
	v_cndmask_b32_e32 v10, v135, v10, vcc_lo
	s_delay_alu instid0(VALU_DEP_3) | instskip(NEXT) | instid1(VALU_DEP_3)
	v_cndmask_b32_e64 v9, v9, 0xffffff92, vcc_lo
	v_lshl_add_u32 v135, 0x200000, v134, -1
	s_delay_alu instid0(VALU_DEP_3) | instskip(SKIP_1) | instid1(VALU_DEP_4)
	v_lshrrev_b32_e32 v146, v134, v10
	v_lshlrev_b32_e64 v165, v134, 0x100000
	v_add_nc_u32_e32 v134, v134, v9
	s_delay_alu instid0(VALU_DEP_4) | instskip(NEXT) | instid1(VALU_DEP_4)
	v_and_b32_e32 v10, v135, v10
	v_bfe_u32 v149, v146, 21, 1
	s_delay_alu instid0(VALU_DEP_2) | instskip(NEXT) | instid1(VALU_DEP_2)
	v_cmp_eq_u32_e64 s14, v10, v165
	v_add_nc_u32_e32 v135, -1, v149
	s_delay_alu instid0(VALU_DEP_1) | instskip(SKIP_2) | instid1(VALU_DEP_2)
	v_cndmask_b32_e64 v10, 0, v135, s14
	v_lshrrev_b32_e32 v135, 23, v146
	s_mov_b32 s14, exec_lo
	v_add_nc_u32_e32 v10, v10, v146
	s_delay_alu instid0(VALU_DEP_2) | instskip(NEXT) | instid1(VALU_DEP_2)
	v_xor_b32_e32 v135, 1, v135
	v_and_b32_e32 v9, 0x1fffff, v10
	s_delay_alu instid0(VALU_DEP_1) | instskip(NEXT) | instid1(VALU_DEP_3)
	v_add_nc_u32_e32 v10, v9, v146
                                        ; implicit-def: $vgpr9
	v_cmpx_ne_u32_e64 v134, v135
	s_xor_b32 s14, exec_lo, s14
; %bb.3440:                             ;   in Loop: Header=BB4_3280 Depth=4
	s_delay_alu instid0(VALU_DEP_2) | instskip(SKIP_2) | instid1(VALU_DEP_2)
	v_cmp_lt_u32_e32 vcc_lo, 0xffffff, v10
	v_sub_nc_u32_e32 v9, v134, v135
	v_cndmask_b32_e64 v134, 0, 1, vcc_lo
	v_add_co_ci_u32_e32 v9, vcc_lo, 0, v9, vcc_lo
	s_delay_alu instid0(VALU_DEP_2)
	v_lshrrev_b32_e32 v10, v134, v10
; %bb.3441:                             ;   in Loop: Header=BB4_3280 Depth=4
	s_and_not1_saveexec_b32 s14, s14
; %bb.3442:                             ;   in Loop: Header=BB4_3280 Depth=4
	s_delay_alu instid0(VALU_DEP_1)
	v_bfe_u32 v9, v10, 23, 1
; %bb.3443:                             ;   in Loop: Header=BB4_3280 Depth=4
	s_or_b32 exec_lo, exec_lo, s14
	v_lshrrev_b32_e32 v10, 21, v10
	s_delay_alu instid0(VALU_DEP_2) | instskip(SKIP_2) | instid1(VALU_DEP_3)
	v_min_i32_e32 v134, 31, v9
	v_cmp_gt_i32_e32 vcc_lo, 32, v9
	v_lshrrev_b32_e32 v8, 24, v8
	v_lshlrev_b32_e32 v134, 2, v134
	v_cndmask_b32_e32 v10, 3, v10, vcc_lo
	s_delay_alu instid0(VALU_DEP_3) | instskip(NEXT) | instid1(VALU_DEP_3)
	v_and_b32_e32 v8, 0x80, v8
	v_and_b32_e32 v134, 0xfc, v134
	s_delay_alu instid0(VALU_DEP_3) | instskip(SKIP_1) | instid1(VALU_DEP_2)
	v_and_b32_e32 v135, 3, v10
	v_or_b32_e32 v9, v9, v10
	v_or3_b32 v8, v134, v8, v135
	s_delay_alu instid0(VALU_DEP_2) | instskip(NEXT) | instid1(VALU_DEP_2)
	v_cmp_ne_u32_e32 vcc_lo, 0, v9
	v_cndmask_b32_e32 v135, 0, v8, vcc_lo
.LBB4_3444:                             ;   in Loop: Header=BB4_3280 Depth=4
	s_or_b32 exec_lo, exec_lo, s38
.LBB4_3445:                             ;   in Loop: Header=BB4_3280 Depth=4
	s_delay_alu instid0(SALU_CYCLE_1) | instskip(SKIP_3) | instid1(VALU_DEP_1)
	s_or_b32 exec_lo, exec_lo, s37
	v_lshrrev_b16 v8, 8, v11
	s_mov_b32 s14, 0
	s_mov_b32 s38, exec_lo
                                        ; implicit-def: $sgpr37
	v_cmpx_lt_i16_e32 0x7f, v8
	s_xor_b32 s38, exec_lo, s38
	s_cbranch_execnz .LBB4_3787
; %bb.3446:                             ;   in Loop: Header=BB4_3280 Depth=4
	s_or_saveexec_b32 s38, s38
	v_mov_b32_e32 v9, s37
	s_xor_b32 exec_lo, exec_lo, s38
	s_cbranch_execnz .LBB4_3790
.LBB4_3447:                             ;   in Loop: Header=BB4_3280 Depth=4
	s_or_b32 exec_lo, exec_lo, s38
	s_and_saveexec_b32 s37, s14
	s_cbranch_execz .LBB4_3449
.LBB4_3448:                             ;   in Loop: Header=BB4_3280 Depth=4
	v_and_b32_e32 v9, 0xffff, v8
	v_lshlrev_b32_e32 v8, 24, v8
	s_delay_alu instid0(VALU_DEP_2) | instskip(NEXT) | instid1(VALU_DEP_2)
	v_and_b32_e32 v10, 3, v9
	v_and_b32_e32 v8, 0x80000000, v8
	s_delay_alu instid0(VALU_DEP_2) | instskip(NEXT) | instid1(VALU_DEP_1)
	v_clz_i32_u32_e32 v134, v10
	v_min_u32_e32 v134, 32, v134
	s_delay_alu instid0(VALU_DEP_1) | instskip(SKIP_1) | instid1(VALU_DEP_2)
	v_subrev_nc_u32_e32 v146, 29, v134
	v_sub_nc_u32_e32 v134, 30, v134
	v_lshlrev_b32_e32 v146, v146, v9
	v_bfe_u32 v9, v9, 2, 5
	s_delay_alu instid0(VALU_DEP_2) | instskip(NEXT) | instid1(VALU_DEP_2)
	v_and_b32_e32 v146, 3, v146
	v_cmp_eq_u32_e32 vcc_lo, 0, v9
	v_cndmask_b32_e32 v9, v9, v134, vcc_lo
	s_delay_alu instid0(VALU_DEP_3) | instskip(NEXT) | instid1(VALU_DEP_2)
	v_cndmask_b32_e32 v10, v10, v146, vcc_lo
	v_lshl_add_u32 v9, v9, 23, 0x37800000
	s_delay_alu instid0(VALU_DEP_2) | instskip(NEXT) | instid1(VALU_DEP_1)
	v_lshlrev_b32_e32 v10, 21, v10
	v_or3_b32 v9, v8, v9, v10
.LBB4_3449:                             ;   in Loop: Header=BB4_3280 Depth=4
	s_or_b32 exec_lo, exec_lo, s37
	s_delay_alu instid0(VALU_DEP_1) | instskip(SKIP_1) | instid1(VALU_DEP_1)
	v_dual_mul_f32 v8, s36, v9 :: v_dual_mov_b32 v149, 0x8000
	s_mov_b32 s37, exec_lo
	v_and_b32_e32 v9, 0x7f800000, v8
	s_delay_alu instid0(VALU_DEP_1)
	v_cmpx_ne_u32_e32 0x7f800000, v9
	s_cbranch_execz .LBB4_3457
; %bb.3450:                             ;   in Loop: Header=BB4_3280 Depth=4
	v_mov_b32_e32 v149, 0
	s_mov_b32 s38, exec_lo
	v_cmpx_ne_u32_e32 0, v8
	s_cbranch_execz .LBB4_3456
; %bb.3451:                             ;   in Loop: Header=BB4_3280 Depth=4
	v_bfe_u32 v9, v8, 23, 8
	v_and_b32_e32 v10, 0x7fffff, v8
	s_delay_alu instid0(VALU_DEP_2) | instskip(SKIP_1) | instid1(VALU_DEP_3)
	v_sub_nc_u32_e32 v134, 0x70, v9
	v_cmp_gt_u32_e32 vcc_lo, 0x71, v9
	v_or_b32_e32 v146, 0x800000, v10
	s_delay_alu instid0(VALU_DEP_3) | instskip(SKIP_2) | instid1(VALU_DEP_3)
	v_cndmask_b32_e32 v134, 0, v134, vcc_lo
	v_cmp_eq_u32_e32 vcc_lo, 0, v9
	v_add_nc_u32_e32 v9, 0xffffff91, v9
	v_cndmask_b32_e64 v134, v134, 0x6f, vcc_lo
	v_cndmask_b32_e32 v10, v146, v10, vcc_lo
	s_delay_alu instid0(VALU_DEP_3) | instskip(NEXT) | instid1(VALU_DEP_3)
	v_cndmask_b32_e64 v9, v9, 0xffffff92, vcc_lo
	v_lshl_add_u32 v146, 0x200000, v134, -1
	s_delay_alu instid0(VALU_DEP_3) | instskip(SKIP_1) | instid1(VALU_DEP_4)
	v_lshrrev_b32_e32 v149, v134, v10
	v_lshlrev_b32_e64 v166, v134, 0x100000
	v_add_nc_u32_e32 v134, v134, v9
	s_delay_alu instid0(VALU_DEP_4) | instskip(NEXT) | instid1(VALU_DEP_4)
	v_and_b32_e32 v10, v146, v10
	v_bfe_u32 v165, v149, 21, 1
	s_delay_alu instid0(VALU_DEP_2) | instskip(NEXT) | instid1(VALU_DEP_2)
	v_cmp_eq_u32_e64 s14, v10, v166
	v_add_nc_u32_e32 v146, -1, v165
	s_delay_alu instid0(VALU_DEP_1) | instskip(SKIP_2) | instid1(VALU_DEP_2)
	v_cndmask_b32_e64 v10, 0, v146, s14
	v_lshrrev_b32_e32 v146, 23, v149
	s_mov_b32 s14, exec_lo
	v_add_nc_u32_e32 v10, v10, v149
	s_delay_alu instid0(VALU_DEP_2) | instskip(NEXT) | instid1(VALU_DEP_2)
	v_xor_b32_e32 v146, 1, v146
	v_and_b32_e32 v9, 0x1fffff, v10
	s_delay_alu instid0(VALU_DEP_1) | instskip(NEXT) | instid1(VALU_DEP_3)
	v_add_nc_u32_e32 v10, v9, v149
                                        ; implicit-def: $vgpr9
	v_cmpx_ne_u32_e64 v134, v146
	s_xor_b32 s14, exec_lo, s14
; %bb.3452:                             ;   in Loop: Header=BB4_3280 Depth=4
	s_delay_alu instid0(VALU_DEP_2) | instskip(SKIP_2) | instid1(VALU_DEP_2)
	v_cmp_lt_u32_e32 vcc_lo, 0xffffff, v10
	v_sub_nc_u32_e32 v9, v134, v146
	v_cndmask_b32_e64 v134, 0, 1, vcc_lo
	v_add_co_ci_u32_e32 v9, vcc_lo, 0, v9, vcc_lo
	s_delay_alu instid0(VALU_DEP_2)
	v_lshrrev_b32_e32 v10, v134, v10
; %bb.3453:                             ;   in Loop: Header=BB4_3280 Depth=4
	s_and_not1_saveexec_b32 s14, s14
; %bb.3454:                             ;   in Loop: Header=BB4_3280 Depth=4
	s_delay_alu instid0(VALU_DEP_1)
	v_bfe_u32 v9, v10, 23, 1
; %bb.3455:                             ;   in Loop: Header=BB4_3280 Depth=4
	s_or_b32 exec_lo, exec_lo, s14
	v_lshrrev_b32_e32 v10, 21, v10
	s_delay_alu instid0(VALU_DEP_2) | instskip(SKIP_2) | instid1(VALU_DEP_3)
	v_min_i32_e32 v134, 31, v9
	v_cmp_gt_i32_e32 vcc_lo, 32, v9
	v_lshrrev_b32_e32 v8, 24, v8
	v_lshlrev_b32_e32 v134, 2, v134
	v_cndmask_b32_e32 v10, 3, v10, vcc_lo
	s_delay_alu instid0(VALU_DEP_3) | instskip(NEXT) | instid1(VALU_DEP_3)
	v_and_b32_e32 v8, 0x80, v8
	v_and_b32_e32 v134, 0xfc, v134
	s_delay_alu instid0(VALU_DEP_3) | instskip(SKIP_1) | instid1(VALU_DEP_2)
	v_and_b32_e32 v146, 3, v10
	v_or_b32_e32 v9, v9, v10
	v_or3_b32 v8, v8, v134, v146
	s_delay_alu instid0(VALU_DEP_2) | instskip(NEXT) | instid1(VALU_DEP_2)
	v_cmp_ne_u32_e32 vcc_lo, 0, v9
	v_lshlrev_b32_e32 v8, 8, v8
	s_delay_alu instid0(VALU_DEP_1)
	v_cndmask_b32_e32 v149, 0, v8, vcc_lo
.LBB4_3456:                             ;   in Loop: Header=BB4_3280 Depth=4
	s_or_b32 exec_lo, exec_lo, s38
.LBB4_3457:                             ;   in Loop: Header=BB4_3280 Depth=4
	s_delay_alu instid0(SALU_CYCLE_1) | instskip(SKIP_3) | instid1(VALU_DEP_1)
	s_or_b32 exec_lo, exec_lo, s37
	v_lshrrev_b32_e32 v8, 16, v11
	s_mov_b32 s14, 0
	s_mov_b32 s38, exec_lo
                                        ; implicit-def: $sgpr37
	v_and_b32_e32 v10, 0xff, v8
	s_delay_alu instid0(VALU_DEP_1)
	v_cmpx_lt_i16_e32 0x7f, v10
	s_xor_b32 s38, exec_lo, s38
	s_cbranch_execnz .LBB4_3791
; %bb.3458:                             ;   in Loop: Header=BB4_3280 Depth=4
	s_or_saveexec_b32 s38, s38
	v_mov_b32_e32 v9, s37
	s_xor_b32 exec_lo, exec_lo, s38
	s_cbranch_execnz .LBB4_3794
.LBB4_3459:                             ;   in Loop: Header=BB4_3280 Depth=4
	s_or_b32 exec_lo, exec_lo, s38
	s_and_saveexec_b32 s37, s14
	s_cbranch_execz .LBB4_3461
.LBB4_3460:                             ;   in Loop: Header=BB4_3280 Depth=4
	v_bfe_u32 v9, v11, 16, 2
	v_lshlrev_b32_e32 v146, 8, v11
	s_delay_alu instid0(VALU_DEP_2) | instskip(NEXT) | instid1(VALU_DEP_1)
	v_clz_i32_u32_e32 v10, v9
	v_min_u32_e32 v10, 32, v10
	s_delay_alu instid0(VALU_DEP_1) | instskip(SKIP_1) | instid1(VALU_DEP_2)
	v_subrev_nc_u32_e32 v134, 29, v10
	v_sub_nc_u32_e32 v10, 30, v10
	v_lshlrev_b32_e32 v8, v134, v8
	v_bfe_u32 v134, v11, 18, 5
	s_delay_alu instid0(VALU_DEP_2) | instskip(NEXT) | instid1(VALU_DEP_2)
	v_and_b32_e32 v8, 3, v8
	v_cmp_eq_u32_e32 vcc_lo, 0, v134
	v_cndmask_b32_e32 v10, v134, v10, vcc_lo
	s_delay_alu instid0(VALU_DEP_3) | instskip(NEXT) | instid1(VALU_DEP_2)
	v_dual_cndmask_b32 v8, v9, v8 :: v_dual_and_b32 v9, 0x80000000, v146
	v_lshl_add_u32 v10, v10, 23, 0x37800000
	s_delay_alu instid0(VALU_DEP_2) | instskip(NEXT) | instid1(VALU_DEP_1)
	v_lshlrev_b32_e32 v8, 21, v8
	v_or3_b32 v9, v9, v10, v8
.LBB4_3461:                             ;   in Loop: Header=BB4_3280 Depth=4
	s_or_b32 exec_lo, exec_lo, s37
	s_delay_alu instid0(VALU_DEP_1) | instskip(SKIP_2) | instid1(VALU_DEP_2)
	v_mul_f32_e32 v8, s36, v9
	v_mov_b32_e32 v134, 0x80
	s_mov_b32 s37, exec_lo
	v_and_b32_e32 v9, 0x7f800000, v8
	s_delay_alu instid0(VALU_DEP_1)
	v_cmpx_ne_u32_e32 0x7f800000, v9
	s_cbranch_execz .LBB4_3469
; %bb.3462:                             ;   in Loop: Header=BB4_3280 Depth=4
	v_mov_b32_e32 v134, 0
	s_mov_b32 s38, exec_lo
	v_cmpx_ne_u32_e32 0, v8
	s_cbranch_execz .LBB4_3468
; %bb.3463:                             ;   in Loop: Header=BB4_3280 Depth=4
	v_bfe_u32 v9, v8, 23, 8
	v_and_b32_e32 v10, 0x7fffff, v8
	s_delay_alu instid0(VALU_DEP_2) | instskip(SKIP_1) | instid1(VALU_DEP_3)
	v_sub_nc_u32_e32 v134, 0x70, v9
	v_cmp_gt_u32_e32 vcc_lo, 0x71, v9
	v_or_b32_e32 v146, 0x800000, v10
	s_delay_alu instid0(VALU_DEP_3) | instskip(SKIP_2) | instid1(VALU_DEP_3)
	v_cndmask_b32_e32 v134, 0, v134, vcc_lo
	v_cmp_eq_u32_e32 vcc_lo, 0, v9
	v_add_nc_u32_e32 v9, 0xffffff91, v9
	v_cndmask_b32_e64 v134, v134, 0x6f, vcc_lo
	v_cndmask_b32_e32 v10, v146, v10, vcc_lo
	s_delay_alu instid0(VALU_DEP_3) | instskip(NEXT) | instid1(VALU_DEP_3)
	v_cndmask_b32_e64 v9, v9, 0xffffff92, vcc_lo
	v_lshl_add_u32 v146, 0x200000, v134, -1
	s_delay_alu instid0(VALU_DEP_3) | instskip(SKIP_1) | instid1(VALU_DEP_4)
	v_lshrrev_b32_e32 v165, v134, v10
	v_lshlrev_b32_e64 v167, v134, 0x100000
	v_add_nc_u32_e32 v134, v134, v9
	s_delay_alu instid0(VALU_DEP_4) | instskip(NEXT) | instid1(VALU_DEP_4)
	v_and_b32_e32 v10, v146, v10
	v_bfe_u32 v166, v165, 21, 1
	s_delay_alu instid0(VALU_DEP_2) | instskip(NEXT) | instid1(VALU_DEP_2)
	v_cmp_eq_u32_e64 s14, v10, v167
	v_add_nc_u32_e32 v146, -1, v166
	s_delay_alu instid0(VALU_DEP_1) | instskip(SKIP_2) | instid1(VALU_DEP_2)
	v_cndmask_b32_e64 v10, 0, v146, s14
	v_lshrrev_b32_e32 v146, 23, v165
	s_mov_b32 s14, exec_lo
	v_add_nc_u32_e32 v10, v10, v165
	s_delay_alu instid0(VALU_DEP_2) | instskip(NEXT) | instid1(VALU_DEP_2)
	v_xor_b32_e32 v146, 1, v146
	v_and_b32_e32 v9, 0x1fffff, v10
	s_delay_alu instid0(VALU_DEP_1) | instskip(NEXT) | instid1(VALU_DEP_3)
	v_add_nc_u32_e32 v10, v9, v165
                                        ; implicit-def: $vgpr9
	v_cmpx_ne_u32_e64 v134, v146
	s_xor_b32 s14, exec_lo, s14
; %bb.3464:                             ;   in Loop: Header=BB4_3280 Depth=4
	s_delay_alu instid0(VALU_DEP_2) | instskip(SKIP_2) | instid1(VALU_DEP_2)
	v_cmp_lt_u32_e32 vcc_lo, 0xffffff, v10
	v_sub_nc_u32_e32 v9, v134, v146
	v_cndmask_b32_e64 v134, 0, 1, vcc_lo
	v_add_co_ci_u32_e32 v9, vcc_lo, 0, v9, vcc_lo
	s_delay_alu instid0(VALU_DEP_2)
	v_lshrrev_b32_e32 v10, v134, v10
; %bb.3465:                             ;   in Loop: Header=BB4_3280 Depth=4
	s_and_not1_saveexec_b32 s14, s14
; %bb.3466:                             ;   in Loop: Header=BB4_3280 Depth=4
	s_delay_alu instid0(VALU_DEP_1)
	v_bfe_u32 v9, v10, 23, 1
; %bb.3467:                             ;   in Loop: Header=BB4_3280 Depth=4
	s_or_b32 exec_lo, exec_lo, s14
	v_lshrrev_b32_e32 v10, 21, v10
	s_delay_alu instid0(VALU_DEP_2) | instskip(SKIP_2) | instid1(VALU_DEP_3)
	v_min_i32_e32 v134, 31, v9
	v_cmp_gt_i32_e32 vcc_lo, 32, v9
	v_lshrrev_b32_e32 v8, 24, v8
	v_lshlrev_b32_e32 v134, 2, v134
	v_cndmask_b32_e32 v10, 3, v10, vcc_lo
	s_delay_alu instid0(VALU_DEP_3) | instskip(NEXT) | instid1(VALU_DEP_3)
	v_and_b32_e32 v8, 0x80, v8
	v_and_b32_e32 v134, 0xfc, v134
	s_delay_alu instid0(VALU_DEP_3) | instskip(SKIP_1) | instid1(VALU_DEP_2)
	v_and_b32_e32 v146, 3, v10
	v_or_b32_e32 v9, v9, v10
	v_or3_b32 v8, v134, v8, v146
	s_delay_alu instid0(VALU_DEP_2) | instskip(NEXT) | instid1(VALU_DEP_2)
	v_cmp_ne_u32_e32 vcc_lo, 0, v9
	v_cndmask_b32_e32 v134, 0, v8, vcc_lo
.LBB4_3468:                             ;   in Loop: Header=BB4_3280 Depth=4
	s_or_b32 exec_lo, exec_lo, s38
.LBB4_3469:                             ;   in Loop: Header=BB4_3280 Depth=4
	s_delay_alu instid0(SALU_CYCLE_1) | instskip(SKIP_3) | instid1(VALU_DEP_1)
	s_or_b32 exec_lo, exec_lo, s37
	v_lshrrev_b32_e32 v8, 24, v11
	s_mov_b32 s14, 0
	s_mov_b32 s38, exec_lo
                                        ; implicit-def: $sgpr37
	v_cmpx_lt_i16_e32 0x7f, v8
	s_xor_b32 s38, exec_lo, s38
	s_cbranch_execnz .LBB4_3795
; %bb.3470:                             ;   in Loop: Header=BB4_3280 Depth=4
	s_or_saveexec_b32 s38, s38
	v_mov_b32_e32 v9, s37
	s_xor_b32 exec_lo, exec_lo, s38
	s_cbranch_execnz .LBB4_3798
.LBB4_3471:                             ;   in Loop: Header=BB4_3280 Depth=4
	s_or_b32 exec_lo, exec_lo, s38
	s_and_saveexec_b32 s37, s14
	s_cbranch_execz .LBB4_3473
.LBB4_3472:                             ;   in Loop: Header=BB4_3280 Depth=4
	v_bfe_u32 v9, v11, 24, 2
	s_delay_alu instid0(VALU_DEP_1) | instskip(NEXT) | instid1(VALU_DEP_1)
	v_clz_i32_u32_e32 v10, v9
	v_min_u32_e32 v10, 32, v10
	s_delay_alu instid0(VALU_DEP_1) | instskip(SKIP_1) | instid1(VALU_DEP_2)
	v_subrev_nc_u32_e32 v146, 29, v10
	v_sub_nc_u32_e32 v10, 30, v10
	v_lshlrev_b32_e32 v8, v146, v8
	v_bfe_u32 v146, v11, 26, 5
	s_delay_alu instid0(VALU_DEP_2) | instskip(NEXT) | instid1(VALU_DEP_2)
	v_and_b32_e32 v8, 3, v8
	v_cmp_eq_u32_e32 vcc_lo, 0, v146
	v_cndmask_b32_e32 v10, v146, v10, vcc_lo
	s_delay_alu instid0(VALU_DEP_3) | instskip(NEXT) | instid1(VALU_DEP_2)
	v_dual_cndmask_b32 v8, v9, v8 :: v_dual_and_b32 v9, 0x80000000, v11
	v_lshl_add_u32 v10, v10, 23, 0x37800000
	s_delay_alu instid0(VALU_DEP_2) | instskip(NEXT) | instid1(VALU_DEP_1)
	v_lshlrev_b32_e32 v8, 21, v8
	v_or3_b32 v9, v9, v10, v8
.LBB4_3473:                             ;   in Loop: Header=BB4_3280 Depth=4
	s_or_b32 exec_lo, exec_lo, s37
	s_delay_alu instid0(VALU_DEP_1) | instskip(SKIP_2) | instid1(VALU_DEP_2)
	v_mul_f32_e32 v8, s36, v9
	v_mov_b32_e32 v146, 0x8000
	s_mov_b32 s36, exec_lo
	v_and_b32_e32 v9, 0x7f800000, v8
	s_delay_alu instid0(VALU_DEP_1)
	v_cmpx_ne_u32_e32 0x7f800000, v9
	s_cbranch_execz .LBB4_3481
; %bb.3474:                             ;   in Loop: Header=BB4_3280 Depth=4
	v_mov_b32_e32 v146, 0
	s_mov_b32 s37, exec_lo
	v_cmpx_ne_u32_e32 0, v8
	s_cbranch_execz .LBB4_3480
; %bb.3475:                             ;   in Loop: Header=BB4_3280 Depth=4
	v_bfe_u32 v9, v8, 23, 8
	s_delay_alu instid0(VALU_DEP_1) | instskip(SKIP_1) | instid1(VALU_DEP_2)
	v_sub_nc_u32_e32 v11, 0x70, v9
	v_cmp_gt_u32_e32 vcc_lo, 0x71, v9
	v_dual_cndmask_b32 v11, 0, v11 :: v_dual_and_b32 v10, 0x7fffff, v8
	s_delay_alu instid0(VALU_DEP_1) | instskip(SKIP_2) | instid1(VALU_DEP_4)
	v_or_b32_e32 v146, 0x800000, v10
	v_cmp_eq_u32_e32 vcc_lo, 0, v9
	v_add_nc_u32_e32 v9, 0xffffff91, v9
	v_cndmask_b32_e64 v11, v11, 0x6f, vcc_lo
	s_delay_alu instid0(VALU_DEP_4) | instskip(NEXT) | instid1(VALU_DEP_3)
	v_cndmask_b32_e32 v10, v146, v10, vcc_lo
	v_cndmask_b32_e64 v9, v9, 0xffffff92, vcc_lo
	s_delay_alu instid0(VALU_DEP_3) | instskip(NEXT) | instid1(VALU_DEP_3)
	v_lshl_add_u32 v146, 0x200000, v11, -1
	v_lshrrev_b32_e32 v165, v11, v10
	v_lshlrev_b32_e64 v167, v11, 0x100000
	s_delay_alu instid0(VALU_DEP_4) | instskip(NEXT) | instid1(VALU_DEP_4)
	v_add_nc_u32_e32 v11, v11, v9
	v_and_b32_e32 v10, v146, v10
	s_delay_alu instid0(VALU_DEP_4) | instskip(NEXT) | instid1(VALU_DEP_2)
	v_bfe_u32 v166, v165, 21, 1
	v_cmp_eq_u32_e64 s14, v10, v167
	s_delay_alu instid0(VALU_DEP_2) | instskip(NEXT) | instid1(VALU_DEP_1)
	v_add_nc_u32_e32 v146, -1, v166
	v_cndmask_b32_e64 v10, 0, v146, s14
	v_lshrrev_b32_e32 v146, 23, v165
	s_mov_b32 s14, exec_lo
	s_delay_alu instid0(VALU_DEP_2) | instskip(NEXT) | instid1(VALU_DEP_2)
	v_add_nc_u32_e32 v10, v10, v165
	v_xor_b32_e32 v146, 1, v146
	s_delay_alu instid0(VALU_DEP_2) | instskip(NEXT) | instid1(VALU_DEP_1)
	v_and_b32_e32 v9, 0x1fffff, v10
	v_add_nc_u32_e32 v10, v9, v165
                                        ; implicit-def: $vgpr9
	s_delay_alu instid0(VALU_DEP_3)
	v_cmpx_ne_u32_e64 v11, v146
	s_xor_b32 s14, exec_lo, s14
; %bb.3476:                             ;   in Loop: Header=BB4_3280 Depth=4
	s_delay_alu instid0(VALU_DEP_2) | instskip(SKIP_2) | instid1(VALU_DEP_2)
	v_cmp_lt_u32_e32 vcc_lo, 0xffffff, v10
	v_sub_nc_u32_e32 v9, v11, v146
	v_cndmask_b32_e64 v11, 0, 1, vcc_lo
	v_add_co_ci_u32_e32 v9, vcc_lo, 0, v9, vcc_lo
	s_delay_alu instid0(VALU_DEP_2)
	v_lshrrev_b32_e32 v10, v11, v10
; %bb.3477:                             ;   in Loop: Header=BB4_3280 Depth=4
	s_and_not1_saveexec_b32 s14, s14
; %bb.3478:                             ;   in Loop: Header=BB4_3280 Depth=4
	s_delay_alu instid0(VALU_DEP_1)
	v_bfe_u32 v9, v10, 23, 1
; %bb.3479:                             ;   in Loop: Header=BB4_3280 Depth=4
	s_or_b32 exec_lo, exec_lo, s14
	v_lshrrev_b32_e32 v10, 21, v10
	s_delay_alu instid0(VALU_DEP_2) | instskip(SKIP_2) | instid1(VALU_DEP_2)
	v_cmp_gt_i32_e32 vcc_lo, 32, v9
	v_min_i32_e32 v11, 31, v9
	v_lshrrev_b32_e32 v8, 24, v8
	v_dual_cndmask_b32 v10, 3, v10 :: v_dual_lshlrev_b32 v11, 2, v11
	s_delay_alu instid0(VALU_DEP_2) | instskip(NEXT) | instid1(VALU_DEP_2)
	v_and_b32_e32 v8, 0x80, v8
	v_or_b32_e32 v9, v9, v10
	v_and_b32_e32 v146, 3, v10
	s_delay_alu instid0(VALU_DEP_2) | instskip(SKIP_1) | instid1(VALU_DEP_1)
	v_cmp_ne_u32_e32 vcc_lo, 0, v9
	v_and_b32_e32 v11, 0xfc, v11
	v_or3_b32 v8, v8, v11, v146
	s_delay_alu instid0(VALU_DEP_1) | instskip(NEXT) | instid1(VALU_DEP_1)
	v_lshlrev_b32_e32 v8, 8, v8
	v_cndmask_b32_e32 v146, 0, v8, vcc_lo
.LBB4_3480:                             ;   in Loop: Header=BB4_3280 Depth=4
	s_or_b32 exec_lo, exec_lo, s37
.LBB4_3481:                             ;   in Loop: Header=BB4_3280 Depth=4
	s_delay_alu instid0(SALU_CYCLE_1) | instskip(SKIP_4) | instid1(VALU_DEP_1)
	s_or_b32 exec_lo, exec_lo, s36
	global_load_b128 v[8:11], v[14:15], off slc dlc
	v_and_b32_e32 v166, 0xff, v133
	s_mov_b32 s14, 0
	s_mov_b32 s37, exec_lo
                                        ; implicit-def: $sgpr36
	v_cmpx_lt_i16_e64 0x7f, v166
	s_xor_b32 s37, exec_lo, s37
	s_cbranch_execnz .LBB4_3799
; %bb.3482:                             ;   in Loop: Header=BB4_3280 Depth=4
	s_or_saveexec_b32 s37, s37
	v_mov_b32_e32 v165, s36
	s_xor_b32 exec_lo, exec_lo, s37
	s_cbranch_execnz .LBB4_3802
.LBB4_3483:                             ;   in Loop: Header=BB4_3280 Depth=4
	s_or_b32 exec_lo, exec_lo, s37
	s_and_saveexec_b32 s36, s14
	s_cbranch_execz .LBB4_3485
.LBB4_3484:                             ;   in Loop: Header=BB4_3280 Depth=4
	v_bfe_u32 v176, v133, 2, 5
	s_delay_alu instid0(VALU_DEP_1) | instskip(SKIP_1) | instid1(VALU_DEP_1)
	v_cmp_eq_u32_e32 vcc_lo, 0, v176
	v_and_b32_e32 v165, 3, v133
	v_clz_i32_u32_e32 v166, v165
	s_delay_alu instid0(VALU_DEP_1) | instskip(NEXT) | instid1(VALU_DEP_1)
	v_min_u32_e32 v166, 32, v166
	v_subrev_nc_u32_e32 v167, 29, v166
	v_sub_nc_u32_e32 v166, 30, v166
	s_delay_alu instid0(VALU_DEP_1) | instskip(SKIP_1) | instid1(VALU_DEP_2)
	v_dual_cndmask_b32 v166, v176, v166 :: v_dual_lshlrev_b32 v167, v167, v133
	v_lshlrev_b32_e32 v133, 24, v133
	v_and_b32_e32 v167, 3, v167
	s_delay_alu instid0(VALU_DEP_3) | instskip(NEXT) | instid1(VALU_DEP_3)
	v_lshl_add_u32 v166, v166, 23, 0x37800000
	v_and_b32_e32 v133, 0x80000000, v133
	s_delay_alu instid0(VALU_DEP_3) | instskip(NEXT) | instid1(VALU_DEP_1)
	v_cndmask_b32_e32 v165, v165, v167, vcc_lo
	v_lshlrev_b32_e32 v165, 21, v165
	s_delay_alu instid0(VALU_DEP_1)
	v_or3_b32 v165, v133, v166, v165
.LBB4_3485:                             ;   in Loop: Header=BB4_3280 Depth=4
	s_or_b32 exec_lo, exec_lo, s36
	s_waitcnt vmcnt(0)
	v_and_b32_e32 v166, 0xff, v8
	s_mov_b32 s14, 0
	s_mov_b32 s37, exec_lo
                                        ; implicit-def: $sgpr36
	s_delay_alu instid0(VALU_DEP_1)
	v_cmpx_lt_i16_e64 0x7f, v166
	s_xor_b32 s37, exec_lo, s37
	s_cbranch_execnz .LBB4_3803
; %bb.3486:                             ;   in Loop: Header=BB4_3280 Depth=4
	s_or_saveexec_b32 s37, s37
	v_mov_b32_e32 v133, s36
	s_xor_b32 exec_lo, exec_lo, s37
	s_cbranch_execnz .LBB4_3806
.LBB4_3487:                             ;   in Loop: Header=BB4_3280 Depth=4
	s_or_b32 exec_lo, exec_lo, s37
	s_and_saveexec_b32 s36, s14
	s_cbranch_execz .LBB4_3489
.LBB4_3488:                             ;   in Loop: Header=BB4_3280 Depth=4
	v_bfe_u32 v176, v8, 2, 5
	v_lshlrev_b32_e32 v177, 24, v8
	s_delay_alu instid0(VALU_DEP_2) | instskip(SKIP_1) | instid1(VALU_DEP_1)
	v_cmp_eq_u32_e32 vcc_lo, 0, v176
	v_and_b32_e32 v133, 3, v8
	v_clz_i32_u32_e32 v166, v133
	s_delay_alu instid0(VALU_DEP_1) | instskip(NEXT) | instid1(VALU_DEP_1)
	v_min_u32_e32 v166, 32, v166
	v_subrev_nc_u32_e32 v167, 29, v166
	v_sub_nc_u32_e32 v166, 30, v166
	s_delay_alu instid0(VALU_DEP_1) | instskip(NEXT) | instid1(VALU_DEP_1)
	v_dual_cndmask_b32 v166, v176, v166 :: v_dual_lshlrev_b32 v167, v167, v8
	v_and_b32_e32 v167, 3, v167
	s_delay_alu instid0(VALU_DEP_2) | instskip(NEXT) | instid1(VALU_DEP_2)
	v_lshl_add_u32 v166, v166, 23, 0x37800000
	v_cndmask_b32_e32 v133, v133, v167, vcc_lo
	v_and_b32_e32 v167, 0x80000000, v177
	s_delay_alu instid0(VALU_DEP_2) | instskip(NEXT) | instid1(VALU_DEP_1)
	v_lshlrev_b32_e32 v133, 21, v133
	v_or3_b32 v133, v167, v166, v133
.LBB4_3489:                             ;   in Loop: Header=BB4_3280 Depth=4
	s_or_b32 exec_lo, exec_lo, s36
	s_delay_alu instid0(VALU_DEP_1) | instskip(NEXT) | instid1(VALU_DEP_1)
	v_add_f32_e32 v165, v165, v133
	v_and_b32_e32 v133, 0x7f800000, v165
	s_delay_alu instid0(VALU_DEP_1)
	v_cmp_ne_u32_e32 vcc_lo, 0x7f800000, v133
	v_mov_b32_e32 v133, 0x80
	s_and_saveexec_b32 s36, vcc_lo
	s_cbranch_execz .LBB4_3497
; %bb.3490:                             ;   in Loop: Header=BB4_3280 Depth=4
	v_mov_b32_e32 v133, 0
	s_mov_b32 s37, exec_lo
	v_cmpx_ne_u32_e32 0, v165
	s_cbranch_execz .LBB4_3496
; %bb.3491:                             ;   in Loop: Header=BB4_3280 Depth=4
	v_bfe_u32 v133, v165, 23, 8
	s_delay_alu instid0(VALU_DEP_1) | instskip(SKIP_1) | instid1(VALU_DEP_2)
	v_sub_nc_u32_e32 v167, 0x70, v133
	v_cmp_gt_u32_e32 vcc_lo, 0x71, v133
	v_dual_cndmask_b32 v167, 0, v167 :: v_dual_and_b32 v166, 0x7fffff, v165
	s_delay_alu instid0(VALU_DEP_1) | instskip(SKIP_2) | instid1(VALU_DEP_4)
	v_or_b32_e32 v176, 0x800000, v166
	v_cmp_eq_u32_e32 vcc_lo, 0, v133
	v_add_nc_u32_e32 v133, 0xffffff91, v133
	v_cndmask_b32_e64 v167, v167, 0x6f, vcc_lo
	s_delay_alu instid0(VALU_DEP_4) | instskip(NEXT) | instid1(VALU_DEP_3)
	v_cndmask_b32_e32 v166, v176, v166, vcc_lo
	v_cndmask_b32_e64 v133, v133, 0xffffff92, vcc_lo
	s_delay_alu instid0(VALU_DEP_3) | instskip(NEXT) | instid1(VALU_DEP_3)
	v_lshl_add_u32 v176, 0x200000, v167, -1
	v_lshrrev_b32_e32 v177, v167, v166
	v_lshlrev_b32_e64 v179, v167, 0x100000
	s_delay_alu instid0(VALU_DEP_4) | instskip(NEXT) | instid1(VALU_DEP_4)
	v_add_nc_u32_e32 v167, v167, v133
	v_and_b32_e32 v166, v176, v166
	s_delay_alu instid0(VALU_DEP_4) | instskip(NEXT) | instid1(VALU_DEP_2)
	v_bfe_u32 v178, v177, 21, 1
	v_cmp_eq_u32_e64 s14, v166, v179
	s_delay_alu instid0(VALU_DEP_2) | instskip(NEXT) | instid1(VALU_DEP_1)
	v_add_nc_u32_e32 v176, -1, v178
	v_cndmask_b32_e64 v166, 0, v176, s14
	v_lshrrev_b32_e32 v176, 23, v177
	s_mov_b32 s14, exec_lo
	s_delay_alu instid0(VALU_DEP_2) | instskip(NEXT) | instid1(VALU_DEP_2)
	v_add_nc_u32_e32 v166, v166, v177
	v_xor_b32_e32 v176, 1, v176
	s_delay_alu instid0(VALU_DEP_2) | instskip(NEXT) | instid1(VALU_DEP_1)
	v_and_b32_e32 v133, 0x1fffff, v166
	v_add_nc_u32_e32 v166, v133, v177
                                        ; implicit-def: $vgpr133
	s_delay_alu instid0(VALU_DEP_3)
	v_cmpx_ne_u32_e64 v167, v176
	s_xor_b32 s14, exec_lo, s14
; %bb.3492:                             ;   in Loop: Header=BB4_3280 Depth=4
	s_delay_alu instid0(VALU_DEP_2) | instskip(SKIP_2) | instid1(VALU_DEP_2)
	v_cmp_lt_u32_e32 vcc_lo, 0xffffff, v166
	v_sub_nc_u32_e32 v133, v167, v176
	v_cndmask_b32_e64 v167, 0, 1, vcc_lo
	v_add_co_ci_u32_e32 v133, vcc_lo, 0, v133, vcc_lo
	s_delay_alu instid0(VALU_DEP_2)
	v_lshrrev_b32_e32 v166, v167, v166
; %bb.3493:                             ;   in Loop: Header=BB4_3280 Depth=4
	s_and_not1_saveexec_b32 s14, s14
; %bb.3494:                             ;   in Loop: Header=BB4_3280 Depth=4
	s_delay_alu instid0(VALU_DEP_1)
	v_bfe_u32 v133, v166, 23, 1
; %bb.3495:                             ;   in Loop: Header=BB4_3280 Depth=4
	s_or_b32 exec_lo, exec_lo, s14
	v_lshrrev_b32_e32 v166, 21, v166
	s_delay_alu instid0(VALU_DEP_2) | instskip(SKIP_2) | instid1(VALU_DEP_2)
	v_cmp_gt_i32_e32 vcc_lo, 32, v133
	v_lshrrev_b32_e32 v165, 24, v165
	v_min_i32_e32 v167, 31, v133
	v_dual_cndmask_b32 v166, 3, v166 :: v_dual_and_b32 v165, 0x80, v165
	s_delay_alu instid0(VALU_DEP_2) | instskip(NEXT) | instid1(VALU_DEP_2)
	v_lshlrev_b32_e32 v167, 2, v167
	v_or_b32_e32 v133, v133, v166
	s_delay_alu instid0(VALU_DEP_1) | instskip(SKIP_1) | instid1(VALU_DEP_1)
	v_cmp_ne_u32_e32 vcc_lo, 0, v133
	v_and_b32_e32 v176, 3, v166
	v_or3_b32 v165, v167, v165, v176
	s_delay_alu instid0(VALU_DEP_1)
	v_cndmask_b32_e32 v133, 0, v165, vcc_lo
.LBB4_3496:                             ;   in Loop: Header=BB4_3280 Depth=4
	s_or_b32 exec_lo, exec_lo, s37
.LBB4_3497:                             ;   in Loop: Header=BB4_3280 Depth=4
	s_delay_alu instid0(SALU_CYCLE_1) | instskip(SKIP_3) | instid1(VALU_DEP_1)
	s_or_b32 exec_lo, exec_lo, s36
	v_and_b32_e32 v166, 0xff, v145
	s_mov_b32 s14, 0
	s_mov_b32 s37, exec_lo
                                        ; implicit-def: $sgpr36
	v_cmpx_lt_i16_e64 0x7f, v166
	s_xor_b32 s37, exec_lo, s37
	s_cbranch_execnz .LBB4_3807
; %bb.3498:                             ;   in Loop: Header=BB4_3280 Depth=4
	s_or_saveexec_b32 s37, s37
	v_mov_b32_e32 v165, s36
	s_xor_b32 exec_lo, exec_lo, s37
	s_cbranch_execnz .LBB4_3810
.LBB4_3499:                             ;   in Loop: Header=BB4_3280 Depth=4
	s_or_b32 exec_lo, exec_lo, s37
	s_and_saveexec_b32 s36, s14
	s_cbranch_execz .LBB4_3501
.LBB4_3500:                             ;   in Loop: Header=BB4_3280 Depth=4
	v_bfe_u32 v176, v145, 2, 5
	s_delay_alu instid0(VALU_DEP_1) | instskip(SKIP_1) | instid1(VALU_DEP_1)
	v_cmp_eq_u32_e32 vcc_lo, 0, v176
	v_and_b32_e32 v165, 3, v145
	v_clz_i32_u32_e32 v166, v165
	s_delay_alu instid0(VALU_DEP_1) | instskip(NEXT) | instid1(VALU_DEP_1)
	v_min_u32_e32 v166, 32, v166
	v_subrev_nc_u32_e32 v167, 29, v166
	v_sub_nc_u32_e32 v166, 30, v166
	s_delay_alu instid0(VALU_DEP_1) | instskip(SKIP_1) | instid1(VALU_DEP_2)
	v_dual_cndmask_b32 v166, v176, v166 :: v_dual_lshlrev_b32 v167, v167, v145
	v_lshlrev_b32_e32 v145, 24, v145
	v_and_b32_e32 v167, 3, v167
	s_delay_alu instid0(VALU_DEP_3) | instskip(NEXT) | instid1(VALU_DEP_3)
	v_lshl_add_u32 v166, v166, 23, 0x37800000
	v_and_b32_e32 v145, 0x80000000, v145
	s_delay_alu instid0(VALU_DEP_3) | instskip(NEXT) | instid1(VALU_DEP_1)
	v_cndmask_b32_e32 v165, v165, v167, vcc_lo
	v_lshlrev_b32_e32 v165, 21, v165
	s_delay_alu instid0(VALU_DEP_1)
	v_or3_b32 v165, v145, v166, v165
.LBB4_3501:                             ;   in Loop: Header=BB4_3280 Depth=4
	s_or_b32 exec_lo, exec_lo, s36
	v_lshrrev_b16 v145, 8, v8
	s_mov_b32 s14, 0
	s_mov_b32 s37, exec_lo
                                        ; implicit-def: $sgpr36
	s_delay_alu instid0(VALU_DEP_1)
	v_cmpx_lt_i16_e64 0x7f, v145
	s_xor_b32 s37, exec_lo, s37
	s_cbranch_execnz .LBB4_3811
; %bb.3502:                             ;   in Loop: Header=BB4_3280 Depth=4
	s_or_saveexec_b32 s37, s37
	v_mov_b32_e32 v166, s36
	s_xor_b32 exec_lo, exec_lo, s37
	s_cbranch_execnz .LBB4_3814
.LBB4_3503:                             ;   in Loop: Header=BB4_3280 Depth=4
	s_or_b32 exec_lo, exec_lo, s37
	s_and_saveexec_b32 s36, s14
	s_cbranch_execz .LBB4_3505
.LBB4_3504:                             ;   in Loop: Header=BB4_3280 Depth=4
	v_and_b32_e32 v166, 0xffff, v145
	v_lshlrev_b32_e32 v145, 24, v145
	s_delay_alu instid0(VALU_DEP_2) | instskip(NEXT) | instid1(VALU_DEP_2)
	v_and_b32_e32 v167, 3, v166
	v_and_b32_e32 v145, 0x80000000, v145
	s_delay_alu instid0(VALU_DEP_2) | instskip(NEXT) | instid1(VALU_DEP_1)
	v_clz_i32_u32_e32 v176, v167
	v_min_u32_e32 v176, 32, v176
	s_delay_alu instid0(VALU_DEP_1) | instskip(SKIP_1) | instid1(VALU_DEP_2)
	v_subrev_nc_u32_e32 v177, 29, v176
	v_sub_nc_u32_e32 v176, 30, v176
	v_lshlrev_b32_e32 v177, v177, v166
	v_bfe_u32 v166, v166, 2, 5
	s_delay_alu instid0(VALU_DEP_2) | instskip(NEXT) | instid1(VALU_DEP_2)
	v_and_b32_e32 v177, 3, v177
	v_cmp_eq_u32_e32 vcc_lo, 0, v166
	s_delay_alu instid0(VALU_DEP_2) | instskip(NEXT) | instid1(VALU_DEP_1)
	v_dual_cndmask_b32 v166, v166, v176 :: v_dual_cndmask_b32 v167, v167, v177
	v_lshl_add_u32 v166, v166, 23, 0x37800000
	s_delay_alu instid0(VALU_DEP_2) | instskip(NEXT) | instid1(VALU_DEP_1)
	v_lshlrev_b32_e32 v167, 21, v167
	v_or3_b32 v166, v145, v166, v167
.LBB4_3505:                             ;   in Loop: Header=BB4_3280 Depth=4
	s_or_b32 exec_lo, exec_lo, s36
	s_delay_alu instid0(VALU_DEP_1) | instskip(NEXT) | instid1(VALU_DEP_1)
	v_add_f32_e32 v165, v165, v166
	v_and_b32_e32 v145, 0x7f800000, v165
	s_delay_alu instid0(VALU_DEP_1)
	v_cmp_ne_u32_e32 vcc_lo, 0x7f800000, v145
	v_mov_b32_e32 v145, 0x80
	s_and_saveexec_b32 s36, vcc_lo
	s_cbranch_execz .LBB4_3513
; %bb.3506:                             ;   in Loop: Header=BB4_3280 Depth=4
	v_mov_b32_e32 v145, 0
	s_mov_b32 s37, exec_lo
	v_cmpx_ne_u32_e32 0, v165
	s_cbranch_execz .LBB4_3512
; %bb.3507:                             ;   in Loop: Header=BB4_3280 Depth=4
	v_bfe_u32 v145, v165, 23, 8
	s_delay_alu instid0(VALU_DEP_1) | instskip(SKIP_1) | instid1(VALU_DEP_2)
	v_sub_nc_u32_e32 v167, 0x70, v145
	v_cmp_gt_u32_e32 vcc_lo, 0x71, v145
	v_dual_cndmask_b32 v167, 0, v167 :: v_dual_and_b32 v166, 0x7fffff, v165
	s_delay_alu instid0(VALU_DEP_1) | instskip(SKIP_2) | instid1(VALU_DEP_4)
	v_or_b32_e32 v176, 0x800000, v166
	v_cmp_eq_u32_e32 vcc_lo, 0, v145
	v_add_nc_u32_e32 v145, 0xffffff91, v145
	v_cndmask_b32_e64 v167, v167, 0x6f, vcc_lo
	s_delay_alu instid0(VALU_DEP_4) | instskip(NEXT) | instid1(VALU_DEP_3)
	v_cndmask_b32_e32 v166, v176, v166, vcc_lo
	v_cndmask_b32_e64 v145, v145, 0xffffff92, vcc_lo
	s_delay_alu instid0(VALU_DEP_3) | instskip(NEXT) | instid1(VALU_DEP_3)
	v_lshl_add_u32 v176, 0x200000, v167, -1
	v_lshrrev_b32_e32 v177, v167, v166
	v_lshlrev_b32_e64 v179, v167, 0x100000
	s_delay_alu instid0(VALU_DEP_4) | instskip(NEXT) | instid1(VALU_DEP_4)
	v_add_nc_u32_e32 v167, v167, v145
	v_and_b32_e32 v166, v176, v166
	s_delay_alu instid0(VALU_DEP_4) | instskip(NEXT) | instid1(VALU_DEP_2)
	v_bfe_u32 v178, v177, 21, 1
	v_cmp_eq_u32_e64 s14, v166, v179
	s_delay_alu instid0(VALU_DEP_2) | instskip(NEXT) | instid1(VALU_DEP_1)
	v_add_nc_u32_e32 v176, -1, v178
	v_cndmask_b32_e64 v166, 0, v176, s14
	v_lshrrev_b32_e32 v176, 23, v177
	s_mov_b32 s14, exec_lo
	s_delay_alu instid0(VALU_DEP_2) | instskip(NEXT) | instid1(VALU_DEP_2)
	v_add_nc_u32_e32 v166, v166, v177
	v_xor_b32_e32 v176, 1, v176
	s_delay_alu instid0(VALU_DEP_2) | instskip(NEXT) | instid1(VALU_DEP_1)
	v_and_b32_e32 v145, 0x1fffff, v166
	v_add_nc_u32_e32 v166, v145, v177
                                        ; implicit-def: $vgpr145
	s_delay_alu instid0(VALU_DEP_3)
	v_cmpx_ne_u32_e64 v167, v176
	s_xor_b32 s14, exec_lo, s14
; %bb.3508:                             ;   in Loop: Header=BB4_3280 Depth=4
	s_delay_alu instid0(VALU_DEP_2) | instskip(SKIP_2) | instid1(VALU_DEP_2)
	v_cmp_lt_u32_e32 vcc_lo, 0xffffff, v166
	v_sub_nc_u32_e32 v145, v167, v176
	v_cndmask_b32_e64 v167, 0, 1, vcc_lo
	v_add_co_ci_u32_e32 v145, vcc_lo, 0, v145, vcc_lo
	s_delay_alu instid0(VALU_DEP_2)
	v_lshrrev_b32_e32 v166, v167, v166
; %bb.3509:                             ;   in Loop: Header=BB4_3280 Depth=4
	s_and_not1_saveexec_b32 s14, s14
; %bb.3510:                             ;   in Loop: Header=BB4_3280 Depth=4
	s_delay_alu instid0(VALU_DEP_1)
	v_bfe_u32 v145, v166, 23, 1
; %bb.3511:                             ;   in Loop: Header=BB4_3280 Depth=4
	s_or_b32 exec_lo, exec_lo, s14
	v_lshrrev_b32_e32 v166, 21, v166
	s_delay_alu instid0(VALU_DEP_2) | instskip(SKIP_2) | instid1(VALU_DEP_2)
	v_cmp_gt_i32_e32 vcc_lo, 32, v145
	v_lshrrev_b32_e32 v165, 24, v165
	v_min_i32_e32 v167, 31, v145
	v_dual_cndmask_b32 v166, 3, v166 :: v_dual_and_b32 v165, 0x80, v165
	s_delay_alu instid0(VALU_DEP_2) | instskip(NEXT) | instid1(VALU_DEP_2)
	v_lshlrev_b32_e32 v167, 2, v167
	v_or_b32_e32 v145, v145, v166
	s_delay_alu instid0(VALU_DEP_1) | instskip(SKIP_1) | instid1(VALU_DEP_1)
	v_cmp_ne_u32_e32 vcc_lo, 0, v145
	v_and_b32_e32 v176, 3, v166
	v_or3_b32 v165, v167, v165, v176
	s_delay_alu instid0(VALU_DEP_1)
	v_cndmask_b32_e32 v145, 0, v165, vcc_lo
.LBB4_3512:                             ;   in Loop: Header=BB4_3280 Depth=4
	s_or_b32 exec_lo, exec_lo, s37
.LBB4_3513:                             ;   in Loop: Header=BB4_3280 Depth=4
	s_delay_alu instid0(SALU_CYCLE_1) | instskip(SKIP_3) | instid1(VALU_DEP_1)
	s_or_b32 exec_lo, exec_lo, s36
	v_and_b32_e32 v166, 0xff, v151
	s_mov_b32 s14, 0
	s_mov_b32 s37, exec_lo
                                        ; implicit-def: $sgpr36
	v_cmpx_lt_i16_e64 0x7f, v166
	s_xor_b32 s37, exec_lo, s37
	s_cbranch_execnz .LBB4_3815
; %bb.3514:                             ;   in Loop: Header=BB4_3280 Depth=4
	s_or_saveexec_b32 s37, s37
	v_mov_b32_e32 v165, s36
	s_xor_b32 exec_lo, exec_lo, s37
	s_cbranch_execnz .LBB4_3818
.LBB4_3515:                             ;   in Loop: Header=BB4_3280 Depth=4
	s_or_b32 exec_lo, exec_lo, s37
	s_and_saveexec_b32 s36, s14
	s_cbranch_execz .LBB4_3517
.LBB4_3516:                             ;   in Loop: Header=BB4_3280 Depth=4
	v_bfe_u32 v176, v151, 2, 5
	s_delay_alu instid0(VALU_DEP_1) | instskip(SKIP_1) | instid1(VALU_DEP_1)
	v_cmp_eq_u32_e32 vcc_lo, 0, v176
	v_and_b32_e32 v165, 3, v151
	v_clz_i32_u32_e32 v166, v165
	s_delay_alu instid0(VALU_DEP_1) | instskip(NEXT) | instid1(VALU_DEP_1)
	v_min_u32_e32 v166, 32, v166
	v_subrev_nc_u32_e32 v167, 29, v166
	v_sub_nc_u32_e32 v166, 30, v166
	s_delay_alu instid0(VALU_DEP_1) | instskip(SKIP_1) | instid1(VALU_DEP_2)
	v_dual_cndmask_b32 v166, v176, v166 :: v_dual_lshlrev_b32 v167, v167, v151
	v_lshlrev_b32_e32 v151, 24, v151
	v_and_b32_e32 v167, 3, v167
	s_delay_alu instid0(VALU_DEP_3) | instskip(NEXT) | instid1(VALU_DEP_3)
	v_lshl_add_u32 v166, v166, 23, 0x37800000
	v_and_b32_e32 v151, 0x80000000, v151
	s_delay_alu instid0(VALU_DEP_3) | instskip(NEXT) | instid1(VALU_DEP_1)
	v_cndmask_b32_e32 v165, v165, v167, vcc_lo
	v_lshlrev_b32_e32 v165, 21, v165
	s_delay_alu instid0(VALU_DEP_1)
	v_or3_b32 v165, v151, v166, v165
.LBB4_3517:                             ;   in Loop: Header=BB4_3280 Depth=4
	s_or_b32 exec_lo, exec_lo, s36
	v_lshrrev_b32_e32 v151, 16, v8
	s_mov_b32 s14, 0
	s_mov_b32 s37, exec_lo
                                        ; implicit-def: $sgpr36
	s_delay_alu instid0(VALU_DEP_1) | instskip(NEXT) | instid1(VALU_DEP_1)
	v_and_b32_e32 v167, 0xff, v151
	v_cmpx_lt_i16_e64 0x7f, v167
	s_xor_b32 s37, exec_lo, s37
	s_cbranch_execnz .LBB4_3819
; %bb.3518:                             ;   in Loop: Header=BB4_3280 Depth=4
	s_or_saveexec_b32 s37, s37
	v_mov_b32_e32 v166, s36
	s_xor_b32 exec_lo, exec_lo, s37
	s_cbranch_execnz .LBB4_3822
.LBB4_3519:                             ;   in Loop: Header=BB4_3280 Depth=4
	s_or_b32 exec_lo, exec_lo, s37
	s_and_saveexec_b32 s36, s14
	s_cbranch_execz .LBB4_3521
.LBB4_3520:                             ;   in Loop: Header=BB4_3280 Depth=4
	v_bfe_u32 v166, v8, 16, 2
	v_lshlrev_b32_e32 v177, 8, v8
	s_delay_alu instid0(VALU_DEP_2) | instskip(NEXT) | instid1(VALU_DEP_1)
	v_clz_i32_u32_e32 v167, v166
	v_min_u32_e32 v167, 32, v167
	s_delay_alu instid0(VALU_DEP_1) | instskip(SKIP_1) | instid1(VALU_DEP_2)
	v_subrev_nc_u32_e32 v176, 29, v167
	v_sub_nc_u32_e32 v167, 30, v167
	v_lshlrev_b32_e32 v151, v176, v151
	v_bfe_u32 v176, v8, 18, 5
	s_delay_alu instid0(VALU_DEP_2) | instskip(NEXT) | instid1(VALU_DEP_2)
	v_and_b32_e32 v151, 3, v151
	v_cmp_eq_u32_e32 vcc_lo, 0, v176
	v_cndmask_b32_e32 v167, v176, v167, vcc_lo
	s_delay_alu instid0(VALU_DEP_3) | instskip(NEXT) | instid1(VALU_DEP_2)
	v_dual_cndmask_b32 v151, v166, v151 :: v_dual_and_b32 v166, 0x80000000, v177
	v_lshl_add_u32 v167, v167, 23, 0x37800000
	s_delay_alu instid0(VALU_DEP_2) | instskip(NEXT) | instid1(VALU_DEP_1)
	v_lshlrev_b32_e32 v151, 21, v151
	v_or3_b32 v166, v166, v167, v151
.LBB4_3521:                             ;   in Loop: Header=BB4_3280 Depth=4
	s_or_b32 exec_lo, exec_lo, s36
	s_delay_alu instid0(VALU_DEP_1) | instskip(NEXT) | instid1(VALU_DEP_1)
	v_add_f32_e32 v165, v165, v166
	v_and_b32_e32 v151, 0x7f800000, v165
	s_delay_alu instid0(VALU_DEP_1)
	v_cmp_ne_u32_e32 vcc_lo, 0x7f800000, v151
	v_mov_b32_e32 v151, 0x80
	s_and_saveexec_b32 s36, vcc_lo
	s_cbranch_execz .LBB4_3529
; %bb.3522:                             ;   in Loop: Header=BB4_3280 Depth=4
	v_mov_b32_e32 v151, 0
	s_mov_b32 s37, exec_lo
	v_cmpx_ne_u32_e32 0, v165
	s_cbranch_execz .LBB4_3528
; %bb.3523:                             ;   in Loop: Header=BB4_3280 Depth=4
	v_bfe_u32 v151, v165, 23, 8
	s_delay_alu instid0(VALU_DEP_1) | instskip(SKIP_1) | instid1(VALU_DEP_2)
	v_sub_nc_u32_e32 v167, 0x70, v151
	v_cmp_gt_u32_e32 vcc_lo, 0x71, v151
	v_dual_cndmask_b32 v167, 0, v167 :: v_dual_and_b32 v166, 0x7fffff, v165
	s_delay_alu instid0(VALU_DEP_1) | instskip(SKIP_2) | instid1(VALU_DEP_4)
	v_or_b32_e32 v176, 0x800000, v166
	v_cmp_eq_u32_e32 vcc_lo, 0, v151
	v_add_nc_u32_e32 v151, 0xffffff91, v151
	v_cndmask_b32_e64 v167, v167, 0x6f, vcc_lo
	s_delay_alu instid0(VALU_DEP_4) | instskip(NEXT) | instid1(VALU_DEP_3)
	v_cndmask_b32_e32 v166, v176, v166, vcc_lo
	v_cndmask_b32_e64 v151, v151, 0xffffff92, vcc_lo
	s_delay_alu instid0(VALU_DEP_3) | instskip(NEXT) | instid1(VALU_DEP_3)
	v_lshl_add_u32 v176, 0x200000, v167, -1
	v_lshrrev_b32_e32 v177, v167, v166
	v_lshlrev_b32_e64 v179, v167, 0x100000
	s_delay_alu instid0(VALU_DEP_4) | instskip(NEXT) | instid1(VALU_DEP_4)
	v_add_nc_u32_e32 v167, v167, v151
	v_and_b32_e32 v166, v176, v166
	s_delay_alu instid0(VALU_DEP_4) | instskip(NEXT) | instid1(VALU_DEP_2)
	v_bfe_u32 v178, v177, 21, 1
	v_cmp_eq_u32_e64 s14, v166, v179
	s_delay_alu instid0(VALU_DEP_2) | instskip(NEXT) | instid1(VALU_DEP_1)
	v_add_nc_u32_e32 v176, -1, v178
	v_cndmask_b32_e64 v166, 0, v176, s14
	v_lshrrev_b32_e32 v176, 23, v177
	s_mov_b32 s14, exec_lo
	s_delay_alu instid0(VALU_DEP_2) | instskip(NEXT) | instid1(VALU_DEP_2)
	v_add_nc_u32_e32 v166, v166, v177
	v_xor_b32_e32 v176, 1, v176
	s_delay_alu instid0(VALU_DEP_2) | instskip(NEXT) | instid1(VALU_DEP_1)
	v_and_b32_e32 v151, 0x1fffff, v166
	v_add_nc_u32_e32 v166, v151, v177
                                        ; implicit-def: $vgpr151
	s_delay_alu instid0(VALU_DEP_3)
	v_cmpx_ne_u32_e64 v167, v176
	s_xor_b32 s14, exec_lo, s14
; %bb.3524:                             ;   in Loop: Header=BB4_3280 Depth=4
	s_delay_alu instid0(VALU_DEP_2) | instskip(SKIP_2) | instid1(VALU_DEP_2)
	v_cmp_lt_u32_e32 vcc_lo, 0xffffff, v166
	v_sub_nc_u32_e32 v151, v167, v176
	v_cndmask_b32_e64 v167, 0, 1, vcc_lo
	v_add_co_ci_u32_e32 v151, vcc_lo, 0, v151, vcc_lo
	s_delay_alu instid0(VALU_DEP_2)
	v_lshrrev_b32_e32 v166, v167, v166
; %bb.3525:                             ;   in Loop: Header=BB4_3280 Depth=4
	s_and_not1_saveexec_b32 s14, s14
; %bb.3526:                             ;   in Loop: Header=BB4_3280 Depth=4
	s_delay_alu instid0(VALU_DEP_1)
	v_bfe_u32 v151, v166, 23, 1
; %bb.3527:                             ;   in Loop: Header=BB4_3280 Depth=4
	s_or_b32 exec_lo, exec_lo, s14
	v_lshrrev_b32_e32 v166, 21, v166
	s_delay_alu instid0(VALU_DEP_2) | instskip(SKIP_2) | instid1(VALU_DEP_2)
	v_cmp_gt_i32_e32 vcc_lo, 32, v151
	v_lshrrev_b32_e32 v165, 24, v165
	v_min_i32_e32 v167, 31, v151
	v_dual_cndmask_b32 v166, 3, v166 :: v_dual_and_b32 v165, 0x80, v165
	s_delay_alu instid0(VALU_DEP_2) | instskip(NEXT) | instid1(VALU_DEP_2)
	v_lshlrev_b32_e32 v167, 2, v167
	v_or_b32_e32 v151, v151, v166
	s_delay_alu instid0(VALU_DEP_1) | instskip(SKIP_1) | instid1(VALU_DEP_1)
	v_cmp_ne_u32_e32 vcc_lo, 0, v151
	v_and_b32_e32 v176, 3, v166
	v_or3_b32 v165, v167, v165, v176
	s_delay_alu instid0(VALU_DEP_1)
	v_cndmask_b32_e32 v151, 0, v165, vcc_lo
.LBB4_3528:                             ;   in Loop: Header=BB4_3280 Depth=4
	s_or_b32 exec_lo, exec_lo, s37
.LBB4_3529:                             ;   in Loop: Header=BB4_3280 Depth=4
	s_delay_alu instid0(SALU_CYCLE_1) | instskip(SKIP_3) | instid1(VALU_DEP_1)
	s_or_b32 exec_lo, exec_lo, s36
	v_and_b32_e32 v166, 0xff, v162
	s_mov_b32 s14, 0
	s_mov_b32 s37, exec_lo
                                        ; implicit-def: $sgpr36
	v_cmpx_lt_i16_e64 0x7f, v166
	s_xor_b32 s37, exec_lo, s37
	s_cbranch_execnz .LBB4_3823
; %bb.3530:                             ;   in Loop: Header=BB4_3280 Depth=4
	s_or_saveexec_b32 s37, s37
	v_mov_b32_e32 v165, s36
	s_xor_b32 exec_lo, exec_lo, s37
	s_cbranch_execnz .LBB4_3826
.LBB4_3531:                             ;   in Loop: Header=BB4_3280 Depth=4
	s_or_b32 exec_lo, exec_lo, s37
	s_and_saveexec_b32 s36, s14
	s_cbranch_execz .LBB4_3533
.LBB4_3532:                             ;   in Loop: Header=BB4_3280 Depth=4
	v_lshlrev_b32_e32 v162, 8, v162
	s_delay_alu instid0(VALU_DEP_1) | instskip(SKIP_1) | instid1(VALU_DEP_2)
	v_and_b32_e32 v165, 0xff00, v162
	v_bfe_u32 v162, v162, 10, 5
	v_bfe_u32 v167, v165, 8, 2
	s_delay_alu instid0(VALU_DEP_2) | instskip(NEXT) | instid1(VALU_DEP_2)
	v_cmp_eq_u32_e32 vcc_lo, 0, v162
	v_clz_i32_u32_e32 v176, v167
	s_delay_alu instid0(VALU_DEP_1) | instskip(NEXT) | instid1(VALU_DEP_1)
	v_min_u32_e32 v176, 32, v176
	v_subrev_nc_u32_e32 v177, 29, v176
	v_sub_nc_u32_e32 v176, 30, v176
	s_delay_alu instid0(VALU_DEP_2) | instskip(NEXT) | instid1(VALU_DEP_2)
	v_lshlrev_b32_e32 v166, v177, v166
	v_cndmask_b32_e32 v162, v162, v176, vcc_lo
	s_delay_alu instid0(VALU_DEP_2) | instskip(SKIP_1) | instid1(VALU_DEP_3)
	v_and_b32_e32 v166, 3, v166
	v_lshlrev_b32_e32 v165, 16, v165
	v_lshl_add_u32 v162, v162, 23, 0x37800000
	s_delay_alu instid0(VALU_DEP_2) | instskip(NEXT) | instid1(VALU_DEP_1)
	v_dual_cndmask_b32 v166, v167, v166 :: v_dual_and_b32 v165, 0x80000000, v165
	v_lshlrev_b32_e32 v166, 21, v166
	s_delay_alu instid0(VALU_DEP_1)
	v_or3_b32 v165, v165, v162, v166
.LBB4_3533:                             ;   in Loop: Header=BB4_3280 Depth=4
	s_or_b32 exec_lo, exec_lo, s36
	v_lshrrev_b32_e32 v162, 24, v8
	s_mov_b32 s14, 0
	s_mov_b32 s37, exec_lo
                                        ; implicit-def: $sgpr36
	s_delay_alu instid0(VALU_DEP_1)
	v_cmpx_lt_i16_e64 0x7f, v162
	s_xor_b32 s37, exec_lo, s37
	s_cbranch_execnz .LBB4_3827
; %bb.3534:                             ;   in Loop: Header=BB4_3280 Depth=4
	s_or_saveexec_b32 s37, s37
	v_mov_b32_e32 v166, s36
	s_xor_b32 exec_lo, exec_lo, s37
	s_cbranch_execnz .LBB4_3830
.LBB4_3535:                             ;   in Loop: Header=BB4_3280 Depth=4
	s_or_b32 exec_lo, exec_lo, s37
	s_and_saveexec_b32 s36, s14
	s_cbranch_execz .LBB4_3537
.LBB4_3536:                             ;   in Loop: Header=BB4_3280 Depth=4
	v_bfe_u32 v166, v8, 24, 2
	s_delay_alu instid0(VALU_DEP_1) | instskip(NEXT) | instid1(VALU_DEP_1)
	v_clz_i32_u32_e32 v167, v166
	v_min_u32_e32 v167, 32, v167
	s_delay_alu instid0(VALU_DEP_1) | instskip(SKIP_1) | instid1(VALU_DEP_2)
	v_subrev_nc_u32_e32 v176, 29, v167
	v_sub_nc_u32_e32 v167, 30, v167
	v_lshlrev_b32_e32 v162, v176, v162
	v_bfe_u32 v176, v8, 26, 5
	v_and_b32_e32 v8, 0x80000000, v8
	s_delay_alu instid0(VALU_DEP_2) | instskip(NEXT) | instid1(VALU_DEP_4)
	v_cmp_eq_u32_e32 vcc_lo, 0, v176
	v_dual_cndmask_b32 v167, v176, v167 :: v_dual_and_b32 v162, 3, v162
	s_delay_alu instid0(VALU_DEP_1) | instskip(NEXT) | instid1(VALU_DEP_2)
	v_cndmask_b32_e32 v162, v166, v162, vcc_lo
	v_lshl_add_u32 v166, v167, 23, 0x37800000
	s_delay_alu instid0(VALU_DEP_2) | instskip(NEXT) | instid1(VALU_DEP_1)
	v_lshlrev_b32_e32 v162, 21, v162
	v_or3_b32 v166, v8, v166, v162
.LBB4_3537:                             ;   in Loop: Header=BB4_3280 Depth=4
	s_or_b32 exec_lo, exec_lo, s36
	s_delay_alu instid0(VALU_DEP_1) | instskip(NEXT) | instid1(VALU_DEP_1)
	v_add_f32_e32 v162, v165, v166
	v_and_b32_e32 v8, 0x7f800000, v162
	s_delay_alu instid0(VALU_DEP_1)
	v_cmp_ne_u32_e32 vcc_lo, 0x7f800000, v8
	v_mov_b32_e32 v8, 0x80
	s_and_saveexec_b32 s36, vcc_lo
	s_cbranch_execz .LBB4_3545
; %bb.3538:                             ;   in Loop: Header=BB4_3280 Depth=4
	v_mov_b32_e32 v8, 0
	s_mov_b32 s37, exec_lo
	v_cmpx_ne_u32_e32 0, v162
	s_cbranch_execz .LBB4_3544
; %bb.3539:                             ;   in Loop: Header=BB4_3280 Depth=4
	v_bfe_u32 v8, v162, 23, 8
	v_and_b32_e32 v165, 0x7fffff, v162
	s_delay_alu instid0(VALU_DEP_2) | instskip(SKIP_1) | instid1(VALU_DEP_3)
	v_sub_nc_u32_e32 v166, 0x70, v8
	v_cmp_gt_u32_e32 vcc_lo, 0x71, v8
	v_or_b32_e32 v167, 0x800000, v165
	s_delay_alu instid0(VALU_DEP_3) | instskip(SKIP_1) | instid1(VALU_DEP_3)
	v_cndmask_b32_e32 v166, 0, v166, vcc_lo
	v_cmp_eq_u32_e32 vcc_lo, 0, v8
	v_dual_cndmask_b32 v165, v167, v165 :: v_dual_add_nc_u32 v8, 0xffffff91, v8
	s_delay_alu instid0(VALU_DEP_3) | instskip(NEXT) | instid1(VALU_DEP_2)
	v_cndmask_b32_e64 v166, v166, 0x6f, vcc_lo
	v_cndmask_b32_e64 v8, v8, 0xffffff92, vcc_lo
	s_delay_alu instid0(VALU_DEP_2) | instskip(SKIP_2) | instid1(VALU_DEP_4)
	v_lshrrev_b32_e32 v176, v166, v165
	v_lshl_add_u32 v167, 0x200000, v166, -1
	v_lshlrev_b32_e64 v178, v166, 0x100000
	v_add_nc_u32_e32 v166, v166, v8
	s_delay_alu instid0(VALU_DEP_4) | instskip(NEXT) | instid1(VALU_DEP_4)
	v_bfe_u32 v177, v176, 21, 1
	v_and_b32_e32 v165, v167, v165
	s_delay_alu instid0(VALU_DEP_2) | instskip(NEXT) | instid1(VALU_DEP_2)
	v_add_nc_u32_e32 v167, -1, v177
	v_cmp_eq_u32_e64 s14, v165, v178
	s_delay_alu instid0(VALU_DEP_1) | instskip(SKIP_2) | instid1(VALU_DEP_2)
	v_cndmask_b32_e64 v165, 0, v167, s14
	v_lshrrev_b32_e32 v167, 23, v176
	s_mov_b32 s14, exec_lo
	v_add_nc_u32_e32 v165, v165, v176
	s_delay_alu instid0(VALU_DEP_2) | instskip(NEXT) | instid1(VALU_DEP_2)
	v_xor_b32_e32 v167, 1, v167
	v_and_b32_e32 v8, 0x1fffff, v165
	s_delay_alu instid0(VALU_DEP_1) | instskip(NEXT) | instid1(VALU_DEP_3)
	v_add_nc_u32_e32 v165, v8, v176
                                        ; implicit-def: $vgpr8
	v_cmpx_ne_u32_e64 v166, v167
	s_xor_b32 s14, exec_lo, s14
; %bb.3540:                             ;   in Loop: Header=BB4_3280 Depth=4
	s_delay_alu instid0(VALU_DEP_2) | instskip(SKIP_2) | instid1(VALU_DEP_2)
	v_cmp_lt_u32_e32 vcc_lo, 0xffffff, v165
	v_sub_nc_u32_e32 v8, v166, v167
	v_cndmask_b32_e64 v166, 0, 1, vcc_lo
	v_add_co_ci_u32_e32 v8, vcc_lo, 0, v8, vcc_lo
	s_delay_alu instid0(VALU_DEP_2)
	v_lshrrev_b32_e32 v165, v166, v165
; %bb.3541:                             ;   in Loop: Header=BB4_3280 Depth=4
	s_and_not1_saveexec_b32 s14, s14
; %bb.3542:                             ;   in Loop: Header=BB4_3280 Depth=4
	s_delay_alu instid0(VALU_DEP_1)
	v_bfe_u32 v8, v165, 23, 1
; %bb.3543:                             ;   in Loop: Header=BB4_3280 Depth=4
	s_or_b32 exec_lo, exec_lo, s14
	v_lshrrev_b32_e32 v165, 21, v165
	s_delay_alu instid0(VALU_DEP_2) | instskip(SKIP_2) | instid1(VALU_DEP_2)
	v_cmp_gt_i32_e32 vcc_lo, 32, v8
	v_lshrrev_b32_e32 v162, 24, v162
	v_min_i32_e32 v166, 31, v8
	v_dual_cndmask_b32 v165, 3, v165 :: v_dual_and_b32 v162, 0x80, v162
	s_delay_alu instid0(VALU_DEP_2) | instskip(NEXT) | instid1(VALU_DEP_2)
	v_lshlrev_b32_e32 v166, 2, v166
	v_or_b32_e32 v8, v8, v165
	s_delay_alu instid0(VALU_DEP_1) | instskip(SKIP_1) | instid1(VALU_DEP_1)
	v_cmp_ne_u32_e32 vcc_lo, 0, v8
	v_and_b32_e32 v167, 3, v165
	v_or3_b32 v162, v166, v162, v167
	s_delay_alu instid0(VALU_DEP_1)
	v_cndmask_b32_e32 v8, 0, v162, vcc_lo
.LBB4_3544:                             ;   in Loop: Header=BB4_3280 Depth=4
	s_or_b32 exec_lo, exec_lo, s37
.LBB4_3545:                             ;   in Loop: Header=BB4_3280 Depth=4
	s_delay_alu instid0(SALU_CYCLE_1) | instskip(SKIP_3) | instid1(VALU_DEP_1)
	s_or_b32 exec_lo, exec_lo, s36
	v_or_b32_e32 v164, v164, v161
	s_mov_b32 s14, 0
	s_mov_b32 s37, exec_lo
                                        ; implicit-def: $sgpr36
	v_and_b32_e32 v162, 0xff, v164
	s_delay_alu instid0(VALU_DEP_1)
	v_cmpx_lt_i16_e64 0x7f, v162
	s_xor_b32 s37, exec_lo, s37
	s_cbranch_execnz .LBB4_3831
; %bb.3546:                             ;   in Loop: Header=BB4_3280 Depth=4
	s_or_saveexec_b32 s37, s37
	v_mov_b32_e32 v161, s36
	s_xor_b32 exec_lo, exec_lo, s37
	s_cbranch_execnz .LBB4_3834
.LBB4_3547:                             ;   in Loop: Header=BB4_3280 Depth=4
	s_or_b32 exec_lo, exec_lo, s37
	s_and_saveexec_b32 s36, s14
	s_cbranch_execz .LBB4_3549
.LBB4_3548:                             ;   in Loop: Header=BB4_3280 Depth=4
	v_bfe_u32 v166, v164, 2, 5
	v_lshlrev_b32_e32 v167, 24, v164
	s_delay_alu instid0(VALU_DEP_2) | instskip(SKIP_1) | instid1(VALU_DEP_1)
	v_cmp_eq_u32_e32 vcc_lo, 0, v166
	v_and_b32_e32 v161, 3, v164
	v_clz_i32_u32_e32 v162, v161
	s_delay_alu instid0(VALU_DEP_1) | instskip(NEXT) | instid1(VALU_DEP_1)
	v_min_u32_e32 v162, 32, v162
	v_subrev_nc_u32_e32 v165, 29, v162
	v_sub_nc_u32_e32 v162, 30, v162
	s_delay_alu instid0(VALU_DEP_1) | instskip(NEXT) | instid1(VALU_DEP_1)
	v_dual_cndmask_b32 v162, v166, v162 :: v_dual_lshlrev_b32 v165, v165, v164
	v_and_b32_e32 v165, 3, v165
	s_delay_alu instid0(VALU_DEP_2) | instskip(NEXT) | instid1(VALU_DEP_2)
	v_lshl_add_u32 v162, v162, 23, 0x37800000
	v_cndmask_b32_e32 v161, v161, v165, vcc_lo
	v_and_b32_e32 v165, 0x80000000, v167
	s_delay_alu instid0(VALU_DEP_2) | instskip(NEXT) | instid1(VALU_DEP_1)
	v_lshlrev_b32_e32 v161, 21, v161
	v_or3_b32 v161, v165, v162, v161
.LBB4_3549:                             ;   in Loop: Header=BB4_3280 Depth=4
	s_or_b32 exec_lo, exec_lo, s36
	v_and_b32_e32 v165, 0xff, v9
	s_mov_b32 s14, 0
	s_mov_b32 s37, exec_lo
                                        ; implicit-def: $sgpr36
	s_delay_alu instid0(VALU_DEP_1)
	v_cmpx_lt_i16_e64 0x7f, v165
	s_xor_b32 s37, exec_lo, s37
	s_cbranch_execnz .LBB4_3835
; %bb.3550:                             ;   in Loop: Header=BB4_3280 Depth=4
	s_or_saveexec_b32 s37, s37
	v_mov_b32_e32 v162, s36
	s_xor_b32 exec_lo, exec_lo, s37
	s_cbranch_execnz .LBB4_3838
.LBB4_3551:                             ;   in Loop: Header=BB4_3280 Depth=4
	s_or_b32 exec_lo, exec_lo, s37
	s_and_saveexec_b32 s36, s14
	s_cbranch_execz .LBB4_3553
.LBB4_3552:                             ;   in Loop: Header=BB4_3280 Depth=4
	v_and_b32_e32 v162, 3, v9
	v_bfe_u32 v167, v9, 2, 5
	v_lshlrev_b32_e32 v176, 24, v9
	s_delay_alu instid0(VALU_DEP_3) | instskip(NEXT) | instid1(VALU_DEP_3)
	v_clz_i32_u32_e32 v165, v162
	v_cmp_eq_u32_e32 vcc_lo, 0, v167
	s_delay_alu instid0(VALU_DEP_2) | instskip(NEXT) | instid1(VALU_DEP_1)
	v_min_u32_e32 v165, 32, v165
	v_subrev_nc_u32_e32 v166, 29, v165
	v_sub_nc_u32_e32 v165, 30, v165
	s_delay_alu instid0(VALU_DEP_2) | instskip(NEXT) | instid1(VALU_DEP_1)
	v_lshlrev_b32_e32 v166, v166, v9
	v_dual_cndmask_b32 v165, v167, v165 :: v_dual_and_b32 v166, 3, v166
	s_delay_alu instid0(VALU_DEP_1) | instskip(NEXT) | instid1(VALU_DEP_2)
	v_lshl_add_u32 v165, v165, 23, 0x37800000
	v_cndmask_b32_e32 v162, v162, v166, vcc_lo
	v_and_b32_e32 v166, 0x80000000, v176
	s_delay_alu instid0(VALU_DEP_2) | instskip(NEXT) | instid1(VALU_DEP_1)
	v_lshlrev_b32_e32 v162, 21, v162
	v_or3_b32 v162, v166, v165, v162
.LBB4_3553:                             ;   in Loop: Header=BB4_3280 Depth=4
	s_or_b32 exec_lo, exec_lo, s36
	s_delay_alu instid0(VALU_DEP_1) | instskip(NEXT) | instid1(VALU_DEP_1)
	v_add_f32_e32 v162, v161, v162
	v_and_b32_e32 v161, 0x7f800000, v162
	s_delay_alu instid0(VALU_DEP_1)
	v_cmp_ne_u32_e32 vcc_lo, 0x7f800000, v161
	v_mov_b32_e32 v161, 0x80
	s_and_saveexec_b32 s36, vcc_lo
	s_cbranch_execz .LBB4_3561
; %bb.3554:                             ;   in Loop: Header=BB4_3280 Depth=4
	v_mov_b32_e32 v161, 0
	s_mov_b32 s37, exec_lo
	v_cmpx_ne_u32_e32 0, v162
	s_cbranch_execz .LBB4_3560
; %bb.3555:                             ;   in Loop: Header=BB4_3280 Depth=4
	v_bfe_u32 v161, v162, 23, 8
	v_and_b32_e32 v165, 0x7fffff, v162
	s_delay_alu instid0(VALU_DEP_2) | instskip(SKIP_1) | instid1(VALU_DEP_3)
	v_sub_nc_u32_e32 v166, 0x70, v161
	v_cmp_gt_u32_e32 vcc_lo, 0x71, v161
	v_or_b32_e32 v167, 0x800000, v165
	s_delay_alu instid0(VALU_DEP_3) | instskip(SKIP_2) | instid1(VALU_DEP_4)
	v_cndmask_b32_e32 v166, 0, v166, vcc_lo
	v_cmp_eq_u32_e32 vcc_lo, 0, v161
	v_add_nc_u32_e32 v161, 0xffffff91, v161
	v_cndmask_b32_e32 v165, v167, v165, vcc_lo
	s_delay_alu instid0(VALU_DEP_4) | instskip(NEXT) | instid1(VALU_DEP_3)
	v_cndmask_b32_e64 v166, v166, 0x6f, vcc_lo
	v_cndmask_b32_e64 v161, v161, 0xffffff92, vcc_lo
	s_delay_alu instid0(VALU_DEP_2) | instskip(SKIP_2) | instid1(VALU_DEP_4)
	v_lshrrev_b32_e32 v176, v166, v165
	v_lshl_add_u32 v167, 0x200000, v166, -1
	v_lshlrev_b32_e64 v178, v166, 0x100000
	v_add_nc_u32_e32 v166, v166, v161
	s_delay_alu instid0(VALU_DEP_4) | instskip(NEXT) | instid1(VALU_DEP_4)
	v_bfe_u32 v177, v176, 21, 1
	v_and_b32_e32 v165, v167, v165
	s_delay_alu instid0(VALU_DEP_2) | instskip(NEXT) | instid1(VALU_DEP_2)
	v_add_nc_u32_e32 v167, -1, v177
	v_cmp_eq_u32_e64 s14, v165, v178
	s_delay_alu instid0(VALU_DEP_1) | instskip(SKIP_2) | instid1(VALU_DEP_2)
	v_cndmask_b32_e64 v165, 0, v167, s14
	v_lshrrev_b32_e32 v167, 23, v176
	s_mov_b32 s14, exec_lo
	v_add_nc_u32_e32 v165, v165, v176
	s_delay_alu instid0(VALU_DEP_2) | instskip(NEXT) | instid1(VALU_DEP_2)
	v_xor_b32_e32 v167, 1, v167
	v_and_b32_e32 v161, 0x1fffff, v165
	s_delay_alu instid0(VALU_DEP_1) | instskip(NEXT) | instid1(VALU_DEP_3)
	v_add_nc_u32_e32 v165, v161, v176
                                        ; implicit-def: $vgpr161
	v_cmpx_ne_u32_e64 v166, v167
	s_xor_b32 s14, exec_lo, s14
; %bb.3556:                             ;   in Loop: Header=BB4_3280 Depth=4
	s_delay_alu instid0(VALU_DEP_2) | instskip(SKIP_2) | instid1(VALU_DEP_2)
	v_cmp_lt_u32_e32 vcc_lo, 0xffffff, v165
	v_sub_nc_u32_e32 v161, v166, v167
	v_cndmask_b32_e64 v166, 0, 1, vcc_lo
	v_add_co_ci_u32_e32 v161, vcc_lo, 0, v161, vcc_lo
	s_delay_alu instid0(VALU_DEP_2)
	v_lshrrev_b32_e32 v165, v166, v165
; %bb.3557:                             ;   in Loop: Header=BB4_3280 Depth=4
	s_and_not1_saveexec_b32 s14, s14
; %bb.3558:                             ;   in Loop: Header=BB4_3280 Depth=4
	s_delay_alu instid0(VALU_DEP_1)
	v_bfe_u32 v161, v165, 23, 1
; %bb.3559:                             ;   in Loop: Header=BB4_3280 Depth=4
	s_or_b32 exec_lo, exec_lo, s14
	v_lshrrev_b32_e32 v165, 21, v165
	s_delay_alu instid0(VALU_DEP_2) | instskip(SKIP_2) | instid1(VALU_DEP_2)
	v_cmp_gt_i32_e32 vcc_lo, 32, v161
	v_lshrrev_b32_e32 v162, 24, v162
	v_min_i32_e32 v166, 31, v161
	v_dual_cndmask_b32 v165, 3, v165 :: v_dual_and_b32 v162, 0x80, v162
	s_delay_alu instid0(VALU_DEP_2) | instskip(NEXT) | instid1(VALU_DEP_2)
	v_lshlrev_b32_e32 v166, 2, v166
	v_and_b32_e32 v167, 3, v165
	v_or_b32_e32 v161, v161, v165
	s_delay_alu instid0(VALU_DEP_2) | instskip(NEXT) | instid1(VALU_DEP_2)
	v_or3_b32 v162, v166, v162, v167
	v_cmp_ne_u32_e32 vcc_lo, 0, v161
	s_delay_alu instid0(VALU_DEP_2)
	v_cndmask_b32_e32 v161, 0, v162, vcc_lo
.LBB4_3560:                             ;   in Loop: Header=BB4_3280 Depth=4
	s_or_b32 exec_lo, exec_lo, s37
.LBB4_3561:                             ;   in Loop: Header=BB4_3280 Depth=4
	s_delay_alu instid0(SALU_CYCLE_1) | instskip(SKIP_3) | instid1(VALU_DEP_1)
	s_or_b32 exec_lo, exec_lo, s36
	v_lshrrev_b16 v165, 8, v164
	s_mov_b32 s14, 0
	s_mov_b32 s37, exec_lo
                                        ; implicit-def: $sgpr36
	v_cmpx_lt_i16_e64 0x7f, v165
	s_xor_b32 s37, exec_lo, s37
	s_cbranch_execnz .LBB4_3839
; %bb.3562:                             ;   in Loop: Header=BB4_3280 Depth=4
	s_or_saveexec_b32 s37, s37
	v_mov_b32_e32 v162, s36
	s_xor_b32 exec_lo, exec_lo, s37
	s_cbranch_execnz .LBB4_3842
.LBB4_3563:                             ;   in Loop: Header=BB4_3280 Depth=4
	s_or_b32 exec_lo, exec_lo, s37
	s_and_saveexec_b32 s36, s14
	s_cbranch_execz .LBB4_3565
.LBB4_3564:                             ;   in Loop: Header=BB4_3280 Depth=4
	v_and_b32_e32 v162, 0xffff, v165
	s_delay_alu instid0(VALU_DEP_1) | instskip(NEXT) | instid1(VALU_DEP_1)
	v_and_b32_e32 v166, 3, v162
	v_clz_i32_u32_e32 v167, v166
	s_delay_alu instid0(VALU_DEP_1) | instskip(NEXT) | instid1(VALU_DEP_1)
	v_min_u32_e32 v167, 32, v167
	v_subrev_nc_u32_e32 v176, 29, v167
	v_sub_nc_u32_e32 v167, 30, v167
	s_delay_alu instid0(VALU_DEP_2) | instskip(SKIP_1) | instid1(VALU_DEP_2)
	v_lshlrev_b32_e32 v176, v176, v162
	v_bfe_u32 v162, v162, 2, 5
	v_and_b32_e32 v176, 3, v176
	s_delay_alu instid0(VALU_DEP_2) | instskip(SKIP_1) | instid1(VALU_DEP_1)
	v_cmp_eq_u32_e32 vcc_lo, 0, v162
	v_dual_cndmask_b32 v162, v162, v167 :: v_dual_lshlrev_b32 v165, 24, v165
	v_dual_cndmask_b32 v166, v166, v176 :: v_dual_and_b32 v165, 0x80000000, v165
	s_delay_alu instid0(VALU_DEP_2) | instskip(NEXT) | instid1(VALU_DEP_2)
	v_lshl_add_u32 v162, v162, 23, 0x37800000
	v_lshlrev_b32_e32 v166, 21, v166
	s_delay_alu instid0(VALU_DEP_1)
	v_or3_b32 v162, v165, v162, v166
.LBB4_3565:                             ;   in Loop: Header=BB4_3280 Depth=4
	s_or_b32 exec_lo, exec_lo, s36
	v_lshrrev_b16 v165, 8, v9
	s_mov_b32 s14, 0
	s_mov_b32 s37, exec_lo
                                        ; implicit-def: $sgpr36
	s_delay_alu instid0(VALU_DEP_1)
	v_cmpx_lt_i16_e64 0x7f, v165
	s_xor_b32 s37, exec_lo, s37
	s_cbranch_execnz .LBB4_3843
; %bb.3566:                             ;   in Loop: Header=BB4_3280 Depth=4
	s_or_saveexec_b32 s37, s37
	v_mov_b32_e32 v166, s36
	s_xor_b32 exec_lo, exec_lo, s37
	s_cbranch_execnz .LBB4_3846
.LBB4_3567:                             ;   in Loop: Header=BB4_3280 Depth=4
	s_or_b32 exec_lo, exec_lo, s37
	s_and_saveexec_b32 s36, s14
	s_cbranch_execz .LBB4_3569
.LBB4_3568:                             ;   in Loop: Header=BB4_3280 Depth=4
	v_and_b32_e32 v166, 0xffff, v165
	v_lshlrev_b32_e32 v165, 24, v165
	s_delay_alu instid0(VALU_DEP_2) | instskip(NEXT) | instid1(VALU_DEP_2)
	v_and_b32_e32 v167, 3, v166
	v_and_b32_e32 v165, 0x80000000, v165
	s_delay_alu instid0(VALU_DEP_2) | instskip(NEXT) | instid1(VALU_DEP_1)
	v_clz_i32_u32_e32 v176, v167
	v_min_u32_e32 v176, 32, v176
	s_delay_alu instid0(VALU_DEP_1) | instskip(SKIP_1) | instid1(VALU_DEP_2)
	v_subrev_nc_u32_e32 v177, 29, v176
	v_sub_nc_u32_e32 v176, 30, v176
	v_lshlrev_b32_e32 v177, v177, v166
	v_bfe_u32 v166, v166, 2, 5
	s_delay_alu instid0(VALU_DEP_2) | instskip(NEXT) | instid1(VALU_DEP_2)
	v_and_b32_e32 v177, 3, v177
	v_cmp_eq_u32_e32 vcc_lo, 0, v166
	s_delay_alu instid0(VALU_DEP_2) | instskip(NEXT) | instid1(VALU_DEP_1)
	v_dual_cndmask_b32 v166, v166, v176 :: v_dual_cndmask_b32 v167, v167, v177
	v_lshl_add_u32 v166, v166, 23, 0x37800000
	s_delay_alu instid0(VALU_DEP_2) | instskip(NEXT) | instid1(VALU_DEP_1)
	v_lshlrev_b32_e32 v167, 21, v167
	v_or3_b32 v166, v165, v166, v167
.LBB4_3569:                             ;   in Loop: Header=BB4_3280 Depth=4
	s_or_b32 exec_lo, exec_lo, s36
	s_delay_alu instid0(VALU_DEP_1) | instskip(NEXT) | instid1(VALU_DEP_1)
	v_add_f32_e32 v165, v162, v166
	v_and_b32_e32 v162, 0x7f800000, v165
	s_delay_alu instid0(VALU_DEP_1)
	v_cmp_ne_u32_e32 vcc_lo, 0x7f800000, v162
	v_mov_b32_e32 v162, 0x8000
	s_and_saveexec_b32 s36, vcc_lo
	s_cbranch_execz .LBB4_3577
; %bb.3570:                             ;   in Loop: Header=BB4_3280 Depth=4
	v_mov_b32_e32 v162, 0
	s_mov_b32 s37, exec_lo
	v_cmpx_ne_u32_e32 0, v165
	s_cbranch_execz .LBB4_3576
; %bb.3571:                             ;   in Loop: Header=BB4_3280 Depth=4
	v_bfe_u32 v162, v165, 23, 8
	s_delay_alu instid0(VALU_DEP_1) | instskip(SKIP_1) | instid1(VALU_DEP_2)
	v_sub_nc_u32_e32 v167, 0x70, v162
	v_cmp_gt_u32_e32 vcc_lo, 0x71, v162
	v_dual_cndmask_b32 v167, 0, v167 :: v_dual_and_b32 v166, 0x7fffff, v165
	s_delay_alu instid0(VALU_DEP_1) | instskip(SKIP_2) | instid1(VALU_DEP_4)
	v_or_b32_e32 v176, 0x800000, v166
	v_cmp_eq_u32_e32 vcc_lo, 0, v162
	v_add_nc_u32_e32 v162, 0xffffff91, v162
	v_cndmask_b32_e64 v167, v167, 0x6f, vcc_lo
	s_delay_alu instid0(VALU_DEP_4) | instskip(NEXT) | instid1(VALU_DEP_3)
	v_cndmask_b32_e32 v166, v176, v166, vcc_lo
	v_cndmask_b32_e64 v162, v162, 0xffffff92, vcc_lo
	s_delay_alu instid0(VALU_DEP_3) | instskip(NEXT) | instid1(VALU_DEP_3)
	v_lshl_add_u32 v176, 0x200000, v167, -1
	v_lshrrev_b32_e32 v177, v167, v166
	v_lshlrev_b32_e64 v179, v167, 0x100000
	s_delay_alu instid0(VALU_DEP_4) | instskip(NEXT) | instid1(VALU_DEP_4)
	v_add_nc_u32_e32 v167, v167, v162
	v_and_b32_e32 v166, v176, v166
	s_delay_alu instid0(VALU_DEP_4) | instskip(NEXT) | instid1(VALU_DEP_2)
	v_bfe_u32 v178, v177, 21, 1
	v_cmp_eq_u32_e64 s14, v166, v179
	s_delay_alu instid0(VALU_DEP_2) | instskip(NEXT) | instid1(VALU_DEP_1)
	v_add_nc_u32_e32 v176, -1, v178
	v_cndmask_b32_e64 v166, 0, v176, s14
	v_lshrrev_b32_e32 v176, 23, v177
	s_mov_b32 s14, exec_lo
	s_delay_alu instid0(VALU_DEP_2) | instskip(NEXT) | instid1(VALU_DEP_2)
	v_add_nc_u32_e32 v166, v166, v177
	v_xor_b32_e32 v176, 1, v176
	s_delay_alu instid0(VALU_DEP_2) | instskip(NEXT) | instid1(VALU_DEP_1)
	v_and_b32_e32 v162, 0x1fffff, v166
	v_add_nc_u32_e32 v166, v162, v177
                                        ; implicit-def: $vgpr162
	s_delay_alu instid0(VALU_DEP_3)
	v_cmpx_ne_u32_e64 v167, v176
	s_xor_b32 s14, exec_lo, s14
; %bb.3572:                             ;   in Loop: Header=BB4_3280 Depth=4
	s_delay_alu instid0(VALU_DEP_2) | instskip(SKIP_2) | instid1(VALU_DEP_2)
	v_cmp_lt_u32_e32 vcc_lo, 0xffffff, v166
	v_sub_nc_u32_e32 v162, v167, v176
	v_cndmask_b32_e64 v167, 0, 1, vcc_lo
	v_add_co_ci_u32_e32 v162, vcc_lo, 0, v162, vcc_lo
	s_delay_alu instid0(VALU_DEP_2)
	v_lshrrev_b32_e32 v166, v167, v166
; %bb.3573:                             ;   in Loop: Header=BB4_3280 Depth=4
	s_and_not1_saveexec_b32 s14, s14
; %bb.3574:                             ;   in Loop: Header=BB4_3280 Depth=4
	s_delay_alu instid0(VALU_DEP_1)
	v_bfe_u32 v162, v166, 23, 1
; %bb.3575:                             ;   in Loop: Header=BB4_3280 Depth=4
	s_or_b32 exec_lo, exec_lo, s14
	v_lshrrev_b32_e32 v166, 21, v166
	s_delay_alu instid0(VALU_DEP_2) | instskip(SKIP_2) | instid1(VALU_DEP_2)
	v_cmp_gt_i32_e32 vcc_lo, 32, v162
	v_min_i32_e32 v167, 31, v162
	v_lshrrev_b32_e32 v165, 24, v165
	v_dual_cndmask_b32 v166, 3, v166 :: v_dual_lshlrev_b32 v167, 2, v167
	s_delay_alu instid0(VALU_DEP_2) | instskip(NEXT) | instid1(VALU_DEP_2)
	v_and_b32_e32 v165, 0x80, v165
	v_or_b32_e32 v162, v162, v166
	v_and_b32_e32 v176, 3, v166
	s_delay_alu instid0(VALU_DEP_2) | instskip(SKIP_1) | instid1(VALU_DEP_1)
	v_cmp_ne_u32_e32 vcc_lo, 0, v162
	v_and_b32_e32 v167, 0xfc, v167
	v_or3_b32 v165, v165, v167, v176
	s_delay_alu instid0(VALU_DEP_1) | instskip(NEXT) | instid1(VALU_DEP_1)
	v_lshlrev_b32_e32 v165, 8, v165
	v_cndmask_b32_e32 v162, 0, v165, vcc_lo
.LBB4_3576:                             ;   in Loop: Header=BB4_3280 Depth=4
	s_or_b32 exec_lo, exec_lo, s37
.LBB4_3577:                             ;   in Loop: Header=BB4_3280 Depth=4
	s_delay_alu instid0(SALU_CYCLE_1) | instskip(SKIP_3) | instid1(VALU_DEP_1)
	s_or_b32 exec_lo, exec_lo, s36
	v_or_b32_e32 v163, v163, v160
	s_mov_b32 s14, 0
	s_mov_b32 s37, exec_lo
                                        ; implicit-def: $sgpr36
	v_and_b32_e32 v165, 0xff, v163
	s_delay_alu instid0(VALU_DEP_1)
	v_cmpx_lt_i16_e64 0x7f, v165
	s_xor_b32 s37, exec_lo, s37
	s_cbranch_execnz .LBB4_3847
; %bb.3578:                             ;   in Loop: Header=BB4_3280 Depth=4
	s_or_saveexec_b32 s37, s37
	v_mov_b32_e32 v160, s36
	s_xor_b32 exec_lo, exec_lo, s37
	s_cbranch_execnz .LBB4_3850
.LBB4_3579:                             ;   in Loop: Header=BB4_3280 Depth=4
	s_or_b32 exec_lo, exec_lo, s37
	v_lshl_or_b32 v163, v163, 16, v164
	s_and_saveexec_b32 s36, s14
	s_cbranch_execz .LBB4_3581
.LBB4_3580:                             ;   in Loop: Header=BB4_3280 Depth=4
	s_delay_alu instid0(VALU_DEP_1) | instskip(SKIP_1) | instid1(VALU_DEP_2)
	v_bfe_u32 v160, v163, 16, 2
	v_lshrrev_b32_e32 v165, 16, v163
	v_clz_i32_u32_e32 v164, v160
	s_delay_alu instid0(VALU_DEP_1) | instskip(NEXT) | instid1(VALU_DEP_1)
	v_min_u32_e32 v164, 32, v164
	v_subrev_nc_u32_e32 v166, 29, v164
	v_sub_nc_u32_e32 v164, 30, v164
	s_delay_alu instid0(VALU_DEP_2) | instskip(SKIP_1) | instid1(VALU_DEP_1)
	v_lshlrev_b32_e32 v165, v166, v165
	v_bfe_u32 v166, v163, 18, 5
	v_cmp_eq_u32_e32 vcc_lo, 0, v166
	s_delay_alu instid0(VALU_DEP_3) | instskip(NEXT) | instid1(VALU_DEP_1)
	v_dual_cndmask_b32 v164, v166, v164 :: v_dual_and_b32 v165, 3, v165
	v_dual_cndmask_b32 v160, v160, v165 :: v_dual_lshlrev_b32 v167, 8, v163
	s_delay_alu instid0(VALU_DEP_2) | instskip(NEXT) | instid1(VALU_DEP_2)
	v_lshl_add_u32 v164, v164, 23, 0x37800000
	v_and_b32_e32 v165, 0x80000000, v167
	s_delay_alu instid0(VALU_DEP_3) | instskip(NEXT) | instid1(VALU_DEP_1)
	v_lshlrev_b32_e32 v160, 21, v160
	v_or3_b32 v160, v165, v164, v160
.LBB4_3581:                             ;   in Loop: Header=BB4_3280 Depth=4
	s_or_b32 exec_lo, exec_lo, s36
	v_lshrrev_b32_e32 v164, 16, v9
	s_mov_b32 s14, 0
	s_mov_b32 s37, exec_lo
                                        ; implicit-def: $sgpr36
	s_delay_alu instid0(VALU_DEP_1) | instskip(NEXT) | instid1(VALU_DEP_1)
	v_and_b32_e32 v166, 0xff, v164
	v_cmpx_lt_i16_e64 0x7f, v166
	s_xor_b32 s37, exec_lo, s37
	s_cbranch_execnz .LBB4_3851
; %bb.3582:                             ;   in Loop: Header=BB4_3280 Depth=4
	s_or_saveexec_b32 s37, s37
	v_mov_b32_e32 v165, s36
	s_xor_b32 exec_lo, exec_lo, s37
	s_cbranch_execnz .LBB4_3854
.LBB4_3583:                             ;   in Loop: Header=BB4_3280 Depth=4
	s_or_b32 exec_lo, exec_lo, s37
	s_and_saveexec_b32 s36, s14
	s_cbranch_execz .LBB4_3585
.LBB4_3584:                             ;   in Loop: Header=BB4_3280 Depth=4
	v_bfe_u32 v165, v9, 16, 2
	v_lshlrev_b32_e32 v176, 8, v9
	s_delay_alu instid0(VALU_DEP_2) | instskip(NEXT) | instid1(VALU_DEP_1)
	v_clz_i32_u32_e32 v166, v165
	v_min_u32_e32 v166, 32, v166
	s_delay_alu instid0(VALU_DEP_1) | instskip(SKIP_1) | instid1(VALU_DEP_2)
	v_subrev_nc_u32_e32 v167, 29, v166
	v_sub_nc_u32_e32 v166, 30, v166
	v_lshlrev_b32_e32 v164, v167, v164
	v_bfe_u32 v167, v9, 18, 5
	s_delay_alu instid0(VALU_DEP_2) | instskip(NEXT) | instid1(VALU_DEP_2)
	v_and_b32_e32 v164, 3, v164
	v_cmp_eq_u32_e32 vcc_lo, 0, v167
	v_cndmask_b32_e32 v166, v167, v166, vcc_lo
	s_delay_alu instid0(VALU_DEP_3) | instskip(SKIP_1) | instid1(VALU_DEP_3)
	v_cndmask_b32_e32 v164, v165, v164, vcc_lo
	v_and_b32_e32 v165, 0x80000000, v176
	v_lshl_add_u32 v166, v166, 23, 0x37800000
	s_delay_alu instid0(VALU_DEP_3) | instskip(NEXT) | instid1(VALU_DEP_1)
	v_lshlrev_b32_e32 v164, 21, v164
	v_or3_b32 v165, v165, v166, v164
.LBB4_3585:                             ;   in Loop: Header=BB4_3280 Depth=4
	s_or_b32 exec_lo, exec_lo, s36
	s_delay_alu instid0(VALU_DEP_1) | instskip(NEXT) | instid1(VALU_DEP_1)
	v_add_f32_e32 v164, v160, v165
	v_and_b32_e32 v160, 0x7f800000, v164
	s_delay_alu instid0(VALU_DEP_1)
	v_cmp_ne_u32_e32 vcc_lo, 0x7f800000, v160
	v_mov_b32_e32 v160, 0x80
	s_and_saveexec_b32 s36, vcc_lo
	s_cbranch_execz .LBB4_3593
; %bb.3586:                             ;   in Loop: Header=BB4_3280 Depth=4
	v_mov_b32_e32 v160, 0
	s_mov_b32 s37, exec_lo
	v_cmpx_ne_u32_e32 0, v164
	s_cbranch_execz .LBB4_3592
; %bb.3587:                             ;   in Loop: Header=BB4_3280 Depth=4
	v_bfe_u32 v160, v164, 23, 8
	s_delay_alu instid0(VALU_DEP_1) | instskip(SKIP_1) | instid1(VALU_DEP_2)
	v_sub_nc_u32_e32 v166, 0x70, v160
	v_cmp_gt_u32_e32 vcc_lo, 0x71, v160
	v_dual_cndmask_b32 v166, 0, v166 :: v_dual_and_b32 v165, 0x7fffff, v164
	s_delay_alu instid0(VALU_DEP_1) | instskip(SKIP_2) | instid1(VALU_DEP_4)
	v_or_b32_e32 v167, 0x800000, v165
	v_cmp_eq_u32_e32 vcc_lo, 0, v160
	v_add_nc_u32_e32 v160, 0xffffff91, v160
	v_cndmask_b32_e64 v166, v166, 0x6f, vcc_lo
	s_delay_alu instid0(VALU_DEP_4) | instskip(NEXT) | instid1(VALU_DEP_3)
	v_cndmask_b32_e32 v165, v167, v165, vcc_lo
	v_cndmask_b32_e64 v160, v160, 0xffffff92, vcc_lo
	s_delay_alu instid0(VALU_DEP_3) | instskip(NEXT) | instid1(VALU_DEP_3)
	v_lshl_add_u32 v167, 0x200000, v166, -1
	v_lshrrev_b32_e32 v176, v166, v165
	v_lshlrev_b32_e64 v178, v166, 0x100000
	s_delay_alu instid0(VALU_DEP_4) | instskip(NEXT) | instid1(VALU_DEP_4)
	v_add_nc_u32_e32 v166, v166, v160
	v_and_b32_e32 v165, v167, v165
	s_delay_alu instid0(VALU_DEP_4) | instskip(NEXT) | instid1(VALU_DEP_2)
	v_bfe_u32 v177, v176, 21, 1
	v_cmp_eq_u32_e64 s14, v165, v178
	s_delay_alu instid0(VALU_DEP_2) | instskip(NEXT) | instid1(VALU_DEP_1)
	v_add_nc_u32_e32 v167, -1, v177
	v_cndmask_b32_e64 v165, 0, v167, s14
	v_lshrrev_b32_e32 v167, 23, v176
	s_mov_b32 s14, exec_lo
	s_delay_alu instid0(VALU_DEP_2) | instskip(NEXT) | instid1(VALU_DEP_2)
	v_add_nc_u32_e32 v165, v165, v176
	v_xor_b32_e32 v167, 1, v167
	s_delay_alu instid0(VALU_DEP_2) | instskip(NEXT) | instid1(VALU_DEP_1)
	v_and_b32_e32 v160, 0x1fffff, v165
	v_add_nc_u32_e32 v165, v160, v176
                                        ; implicit-def: $vgpr160
	s_delay_alu instid0(VALU_DEP_3)
	v_cmpx_ne_u32_e64 v166, v167
	s_xor_b32 s14, exec_lo, s14
; %bb.3588:                             ;   in Loop: Header=BB4_3280 Depth=4
	s_delay_alu instid0(VALU_DEP_2) | instskip(SKIP_2) | instid1(VALU_DEP_2)
	v_cmp_lt_u32_e32 vcc_lo, 0xffffff, v165
	v_sub_nc_u32_e32 v160, v166, v167
	v_cndmask_b32_e64 v166, 0, 1, vcc_lo
	v_add_co_ci_u32_e32 v160, vcc_lo, 0, v160, vcc_lo
	s_delay_alu instid0(VALU_DEP_2)
	v_lshrrev_b32_e32 v165, v166, v165
; %bb.3589:                             ;   in Loop: Header=BB4_3280 Depth=4
	s_and_not1_saveexec_b32 s14, s14
; %bb.3590:                             ;   in Loop: Header=BB4_3280 Depth=4
	s_delay_alu instid0(VALU_DEP_1)
	v_bfe_u32 v160, v165, 23, 1
; %bb.3591:                             ;   in Loop: Header=BB4_3280 Depth=4
	s_or_b32 exec_lo, exec_lo, s14
	v_lshrrev_b32_e32 v165, 21, v165
	s_delay_alu instid0(VALU_DEP_2) | instskip(SKIP_2) | instid1(VALU_DEP_2)
	v_cmp_gt_i32_e32 vcc_lo, 32, v160
	v_min_i32_e32 v166, 31, v160
	v_lshrrev_b32_e32 v164, 24, v164
	v_dual_cndmask_b32 v165, 3, v165 :: v_dual_lshlrev_b32 v166, 2, v166
	s_delay_alu instid0(VALU_DEP_2) | instskip(NEXT) | instid1(VALU_DEP_2)
	v_and_b32_e32 v164, 0x80, v164
	v_or_b32_e32 v160, v160, v165
	s_delay_alu instid0(VALU_DEP_3) | instskip(NEXT) | instid1(VALU_DEP_2)
	v_and_b32_e32 v166, 0xfc, v166
	v_cmp_ne_u32_e32 vcc_lo, 0, v160
	v_and_b32_e32 v167, 3, v165
	s_delay_alu instid0(VALU_DEP_1) | instskip(NEXT) | instid1(VALU_DEP_1)
	v_or3_b32 v164, v166, v164, v167
	v_cndmask_b32_e32 v160, 0, v164, vcc_lo
.LBB4_3592:                             ;   in Loop: Header=BB4_3280 Depth=4
	s_or_b32 exec_lo, exec_lo, s37
.LBB4_3593:                             ;   in Loop: Header=BB4_3280 Depth=4
	s_delay_alu instid0(SALU_CYCLE_1) | instskip(SKIP_3) | instid1(VALU_DEP_1)
	s_or_b32 exec_lo, exec_lo, s36
	v_lshrrev_b32_e32 v165, 24, v163
	s_mov_b32 s14, 0
	s_mov_b32 s37, exec_lo
                                        ; implicit-def: $sgpr36
	v_cmpx_lt_i16_e64 0x7f, v165
	s_xor_b32 s37, exec_lo, s37
	s_cbranch_execnz .LBB4_3855
; %bb.3594:                             ;   in Loop: Header=BB4_3280 Depth=4
	s_or_saveexec_b32 s37, s37
	v_mov_b32_e32 v164, s36
	s_xor_b32 exec_lo, exec_lo, s37
	s_cbranch_execnz .LBB4_3858
.LBB4_3595:                             ;   in Loop: Header=BB4_3280 Depth=4
	s_or_b32 exec_lo, exec_lo, s37
	s_and_saveexec_b32 s36, s14
	s_cbranch_execz .LBB4_3597
.LBB4_3596:                             ;   in Loop: Header=BB4_3280 Depth=4
	v_bfe_u32 v164, v163, 24, 2
	s_delay_alu instid0(VALU_DEP_1) | instskip(NEXT) | instid1(VALU_DEP_1)
	v_clz_i32_u32_e32 v166, v164
	v_min_u32_e32 v166, 32, v166
	s_delay_alu instid0(VALU_DEP_1) | instskip(SKIP_1) | instid1(VALU_DEP_2)
	v_subrev_nc_u32_e32 v167, 29, v166
	v_sub_nc_u32_e32 v166, 30, v166
	v_lshlrev_b32_e32 v165, v167, v165
	v_bfe_u32 v167, v163, 26, 5
	v_and_b32_e32 v163, 0x80000000, v163
	s_delay_alu instid0(VALU_DEP_2) | instskip(NEXT) | instid1(VALU_DEP_4)
	v_cmp_eq_u32_e32 vcc_lo, 0, v167
	v_dual_cndmask_b32 v166, v167, v166 :: v_dual_and_b32 v165, 3, v165
	s_delay_alu instid0(VALU_DEP_1) | instskip(NEXT) | instid1(VALU_DEP_2)
	v_cndmask_b32_e32 v164, v164, v165, vcc_lo
	v_lshl_add_u32 v165, v166, 23, 0x37800000
	s_delay_alu instid0(VALU_DEP_2) | instskip(NEXT) | instid1(VALU_DEP_1)
	v_lshlrev_b32_e32 v164, 21, v164
	v_or3_b32 v164, v163, v165, v164
.LBB4_3597:                             ;   in Loop: Header=BB4_3280 Depth=4
	s_or_b32 exec_lo, exec_lo, s36
	v_lshrrev_b32_e32 v163, 24, v9
	s_mov_b32 s14, 0
	s_mov_b32 s37, exec_lo
                                        ; implicit-def: $sgpr36
	s_delay_alu instid0(VALU_DEP_1)
	v_cmpx_lt_i16_e64 0x7f, v163
	s_xor_b32 s37, exec_lo, s37
	s_cbranch_execnz .LBB4_3859
; %bb.3598:                             ;   in Loop: Header=BB4_3280 Depth=4
	s_or_saveexec_b32 s37, s37
	v_mov_b32_e32 v165, s36
	s_xor_b32 exec_lo, exec_lo, s37
	s_cbranch_execnz .LBB4_3862
.LBB4_3599:                             ;   in Loop: Header=BB4_3280 Depth=4
	s_or_b32 exec_lo, exec_lo, s37
	s_and_saveexec_b32 s36, s14
	s_cbranch_execz .LBB4_3601
.LBB4_3600:                             ;   in Loop: Header=BB4_3280 Depth=4
	v_bfe_u32 v165, v9, 24, 2
	s_delay_alu instid0(VALU_DEP_1) | instskip(NEXT) | instid1(VALU_DEP_1)
	v_clz_i32_u32_e32 v166, v165
	v_min_u32_e32 v166, 32, v166
	s_delay_alu instid0(VALU_DEP_1) | instskip(SKIP_1) | instid1(VALU_DEP_2)
	v_subrev_nc_u32_e32 v167, 29, v166
	v_sub_nc_u32_e32 v166, 30, v166
	v_lshlrev_b32_e32 v163, v167, v163
	v_bfe_u32 v167, v9, 26, 5
	v_and_b32_e32 v9, 0x80000000, v9
	s_delay_alu instid0(VALU_DEP_2) | instskip(NEXT) | instid1(VALU_DEP_4)
	v_cmp_eq_u32_e32 vcc_lo, 0, v167
	v_dual_cndmask_b32 v166, v167, v166 :: v_dual_and_b32 v163, 3, v163
	s_delay_alu instid0(VALU_DEP_1) | instskip(NEXT) | instid1(VALU_DEP_2)
	v_cndmask_b32_e32 v163, v165, v163, vcc_lo
	v_lshl_add_u32 v165, v166, 23, 0x37800000
	s_delay_alu instid0(VALU_DEP_2) | instskip(NEXT) | instid1(VALU_DEP_1)
	v_lshlrev_b32_e32 v163, 21, v163
	v_or3_b32 v165, v9, v165, v163
.LBB4_3601:                             ;   in Loop: Header=BB4_3280 Depth=4
	s_or_b32 exec_lo, exec_lo, s36
	s_delay_alu instid0(VALU_DEP_1) | instskip(NEXT) | instid1(VALU_DEP_1)
	v_add_f32_e32 v163, v164, v165
	v_and_b32_e32 v9, 0x7f800000, v163
	s_delay_alu instid0(VALU_DEP_1)
	v_cmp_ne_u32_e32 vcc_lo, 0x7f800000, v9
	v_mov_b32_e32 v9, 0x8000
	s_and_saveexec_b32 s36, vcc_lo
	s_cbranch_execz .LBB4_3609
; %bb.3602:                             ;   in Loop: Header=BB4_3280 Depth=4
	v_mov_b32_e32 v9, 0
	s_mov_b32 s37, exec_lo
	v_cmpx_ne_u32_e32 0, v163
	s_cbranch_execz .LBB4_3608
; %bb.3603:                             ;   in Loop: Header=BB4_3280 Depth=4
	v_bfe_u32 v9, v163, 23, 8
	s_delay_alu instid0(VALU_DEP_1) | instskip(SKIP_1) | instid1(VALU_DEP_2)
	v_sub_nc_u32_e32 v165, 0x70, v9
	v_cmp_gt_u32_e32 vcc_lo, 0x71, v9
	v_dual_cndmask_b32 v165, 0, v165 :: v_dual_and_b32 v164, 0x7fffff, v163
	s_delay_alu instid0(VALU_DEP_1) | instskip(SKIP_2) | instid1(VALU_DEP_4)
	v_or_b32_e32 v166, 0x800000, v164
	v_cmp_eq_u32_e32 vcc_lo, 0, v9
	v_add_nc_u32_e32 v9, 0xffffff91, v9
	v_cndmask_b32_e64 v165, v165, 0x6f, vcc_lo
	s_delay_alu instid0(VALU_DEP_4) | instskip(NEXT) | instid1(VALU_DEP_3)
	v_cndmask_b32_e32 v164, v166, v164, vcc_lo
	v_cndmask_b32_e64 v9, v9, 0xffffff92, vcc_lo
	s_delay_alu instid0(VALU_DEP_3) | instskip(NEXT) | instid1(VALU_DEP_3)
	v_lshl_add_u32 v166, 0x200000, v165, -1
	v_lshrrev_b32_e32 v167, v165, v164
	v_lshlrev_b32_e64 v177, v165, 0x100000
	s_delay_alu instid0(VALU_DEP_4) | instskip(NEXT) | instid1(VALU_DEP_4)
	v_add_nc_u32_e32 v165, v165, v9
	v_and_b32_e32 v164, v166, v164
	s_delay_alu instid0(VALU_DEP_4) | instskip(NEXT) | instid1(VALU_DEP_2)
	v_bfe_u32 v176, v167, 21, 1
	v_cmp_eq_u32_e64 s14, v164, v177
	s_delay_alu instid0(VALU_DEP_2) | instskip(NEXT) | instid1(VALU_DEP_1)
	v_add_nc_u32_e32 v166, -1, v176
	v_cndmask_b32_e64 v164, 0, v166, s14
	v_lshrrev_b32_e32 v166, 23, v167
	s_mov_b32 s14, exec_lo
	s_delay_alu instid0(VALU_DEP_2) | instskip(NEXT) | instid1(VALU_DEP_2)
	v_add_nc_u32_e32 v164, v164, v167
	v_xor_b32_e32 v166, 1, v166
	s_delay_alu instid0(VALU_DEP_2) | instskip(NEXT) | instid1(VALU_DEP_1)
	v_and_b32_e32 v9, 0x1fffff, v164
	v_add_nc_u32_e32 v164, v9, v167
                                        ; implicit-def: $vgpr9
	s_delay_alu instid0(VALU_DEP_3)
	v_cmpx_ne_u32_e64 v165, v166
	s_xor_b32 s14, exec_lo, s14
; %bb.3604:                             ;   in Loop: Header=BB4_3280 Depth=4
	s_delay_alu instid0(VALU_DEP_2) | instskip(SKIP_2) | instid1(VALU_DEP_2)
	v_cmp_lt_u32_e32 vcc_lo, 0xffffff, v164
	v_sub_nc_u32_e32 v9, v165, v166
	v_cndmask_b32_e64 v165, 0, 1, vcc_lo
	v_add_co_ci_u32_e32 v9, vcc_lo, 0, v9, vcc_lo
	s_delay_alu instid0(VALU_DEP_2)
	v_lshrrev_b32_e32 v164, v165, v164
; %bb.3605:                             ;   in Loop: Header=BB4_3280 Depth=4
	s_and_not1_saveexec_b32 s14, s14
; %bb.3606:                             ;   in Loop: Header=BB4_3280 Depth=4
	s_delay_alu instid0(VALU_DEP_1)
	v_bfe_u32 v9, v164, 23, 1
; %bb.3607:                             ;   in Loop: Header=BB4_3280 Depth=4
	s_or_b32 exec_lo, exec_lo, s14
	v_lshrrev_b32_e32 v164, 21, v164
	s_delay_alu instid0(VALU_DEP_2) | instskip(SKIP_2) | instid1(VALU_DEP_2)
	v_cmp_gt_i32_e32 vcc_lo, 32, v9
	v_min_i32_e32 v165, 31, v9
	v_lshrrev_b32_e32 v163, 24, v163
	v_dual_cndmask_b32 v164, 3, v164 :: v_dual_lshlrev_b32 v165, 2, v165
	s_delay_alu instid0(VALU_DEP_2) | instskip(NEXT) | instid1(VALU_DEP_2)
	v_and_b32_e32 v163, 0x80, v163
	v_or_b32_e32 v9, v9, v164
	s_delay_alu instid0(VALU_DEP_3) | instskip(NEXT) | instid1(VALU_DEP_2)
	v_and_b32_e32 v165, 0xfc, v165
	v_cmp_ne_u32_e32 vcc_lo, 0, v9
	v_and_b32_e32 v166, 3, v164
	s_delay_alu instid0(VALU_DEP_1) | instskip(NEXT) | instid1(VALU_DEP_1)
	v_or3_b32 v163, v163, v165, v166
	v_lshlrev_b32_e32 v163, 8, v163
	s_delay_alu instid0(VALU_DEP_1)
	v_cndmask_b32_e32 v9, 0, v163, vcc_lo
.LBB4_3608:                             ;   in Loop: Header=BB4_3280 Depth=4
	s_or_b32 exec_lo, exec_lo, s37
.LBB4_3609:                             ;   in Loop: Header=BB4_3280 Depth=4
	s_delay_alu instid0(SALU_CYCLE_1) | instskip(SKIP_3) | instid1(VALU_DEP_1)
	s_or_b32 exec_lo, exec_lo, s36
	v_and_b32_e32 v164, 0xff, v150
	s_mov_b32 s14, 0
	s_mov_b32 s37, exec_lo
                                        ; implicit-def: $sgpr36
	v_cmpx_lt_i16_e64 0x7f, v164
	s_xor_b32 s37, exec_lo, s37
	s_cbranch_execnz .LBB4_3863
; %bb.3610:                             ;   in Loop: Header=BB4_3280 Depth=4
	s_or_saveexec_b32 s37, s37
	v_mov_b32_e32 v163, s36
	s_xor_b32 exec_lo, exec_lo, s37
	s_cbranch_execnz .LBB4_3866
.LBB4_3611:                             ;   in Loop: Header=BB4_3280 Depth=4
	s_or_b32 exec_lo, exec_lo, s37
	s_and_saveexec_b32 s36, s14
	s_cbranch_execz .LBB4_3613
.LBB4_3612:                             ;   in Loop: Header=BB4_3280 Depth=4
	v_bfe_u32 v166, v150, 2, 5
	s_delay_alu instid0(VALU_DEP_1) | instskip(SKIP_1) | instid1(VALU_DEP_1)
	v_cmp_eq_u32_e32 vcc_lo, 0, v166
	v_and_b32_e32 v163, 3, v150
	v_clz_i32_u32_e32 v164, v163
	s_delay_alu instid0(VALU_DEP_1) | instskip(NEXT) | instid1(VALU_DEP_1)
	v_min_u32_e32 v164, 32, v164
	v_subrev_nc_u32_e32 v165, 29, v164
	v_sub_nc_u32_e32 v164, 30, v164
	s_delay_alu instid0(VALU_DEP_1) | instskip(NEXT) | instid1(VALU_DEP_1)
	v_dual_cndmask_b32 v164, v166, v164 :: v_dual_lshlrev_b32 v165, v165, v150
	v_and_b32_e32 v165, 3, v165
	v_lshlrev_b32_e32 v150, 24, v150
	s_delay_alu instid0(VALU_DEP_3) | instskip(NEXT) | instid1(VALU_DEP_2)
	v_lshl_add_u32 v164, v164, 23, 0x37800000
	v_dual_cndmask_b32 v163, v163, v165 :: v_dual_and_b32 v150, 0x80000000, v150
	s_delay_alu instid0(VALU_DEP_1) | instskip(NEXT) | instid1(VALU_DEP_1)
	v_lshlrev_b32_e32 v163, 21, v163
	v_or3_b32 v163, v150, v164, v163
.LBB4_3613:                             ;   in Loop: Header=BB4_3280 Depth=4
	s_or_b32 exec_lo, exec_lo, s36
	v_and_b32_e32 v164, 0xff, v10
	s_mov_b32 s14, 0
	s_mov_b32 s37, exec_lo
                                        ; implicit-def: $sgpr36
	s_delay_alu instid0(VALU_DEP_1)
	v_cmpx_lt_i16_e64 0x7f, v164
	s_xor_b32 s37, exec_lo, s37
	s_cbranch_execnz .LBB4_3867
; %bb.3614:                             ;   in Loop: Header=BB4_3280 Depth=4
	s_or_saveexec_b32 s37, s37
	v_mov_b32_e32 v150, s36
	s_xor_b32 exec_lo, exec_lo, s37
	s_cbranch_execnz .LBB4_3870
.LBB4_3615:                             ;   in Loop: Header=BB4_3280 Depth=4
	s_or_b32 exec_lo, exec_lo, s37
	s_and_saveexec_b32 s36, s14
	s_cbranch_execz .LBB4_3617
.LBB4_3616:                             ;   in Loop: Header=BB4_3280 Depth=4
	v_and_b32_e32 v150, 3, v10
	v_bfe_u32 v166, v10, 2, 5
	s_delay_alu instid0(VALU_DEP_2) | instskip(NEXT) | instid1(VALU_DEP_2)
	v_clz_i32_u32_e32 v164, v150
	v_cmp_eq_u32_e32 vcc_lo, 0, v166
	s_delay_alu instid0(VALU_DEP_2) | instskip(NEXT) | instid1(VALU_DEP_1)
	v_min_u32_e32 v164, 32, v164
	v_subrev_nc_u32_e32 v165, 29, v164
	v_sub_nc_u32_e32 v164, 30, v164
	s_delay_alu instid0(VALU_DEP_1) | instskip(NEXT) | instid1(VALU_DEP_1)
	v_dual_cndmask_b32 v164, v166, v164 :: v_dual_lshlrev_b32 v165, v165, v10
	v_and_b32_e32 v165, 3, v165
	v_lshlrev_b32_e32 v167, 24, v10
	s_delay_alu instid0(VALU_DEP_3) | instskip(NEXT) | instid1(VALU_DEP_2)
	v_lshl_add_u32 v164, v164, 23, 0x37800000
	v_dual_cndmask_b32 v150, v150, v165 :: v_dual_and_b32 v165, 0x80000000, v167
	s_delay_alu instid0(VALU_DEP_1) | instskip(NEXT) | instid1(VALU_DEP_1)
	v_lshlrev_b32_e32 v150, 21, v150
	v_or3_b32 v150, v165, v164, v150
.LBB4_3617:                             ;   in Loop: Header=BB4_3280 Depth=4
	s_or_b32 exec_lo, exec_lo, s36
	s_delay_alu instid0(VALU_DEP_1) | instskip(NEXT) | instid1(VALU_DEP_1)
	v_add_f32_e32 v163, v163, v150
	v_and_b32_e32 v150, 0x7f800000, v163
	s_delay_alu instid0(VALU_DEP_1)
	v_cmp_ne_u32_e32 vcc_lo, 0x7f800000, v150
	v_mov_b32_e32 v150, 0x80
	s_and_saveexec_b32 s36, vcc_lo
	s_cbranch_execz .LBB4_3625
; %bb.3618:                             ;   in Loop: Header=BB4_3280 Depth=4
	v_mov_b32_e32 v150, 0
	s_mov_b32 s37, exec_lo
	v_cmpx_ne_u32_e32 0, v163
	s_cbranch_execz .LBB4_3624
; %bb.3619:                             ;   in Loop: Header=BB4_3280 Depth=4
	v_bfe_u32 v150, v163, 23, 8
	s_delay_alu instid0(VALU_DEP_1) | instskip(SKIP_1) | instid1(VALU_DEP_2)
	v_sub_nc_u32_e32 v165, 0x70, v150
	v_cmp_gt_u32_e32 vcc_lo, 0x71, v150
	v_dual_cndmask_b32 v165, 0, v165 :: v_dual_and_b32 v164, 0x7fffff, v163
	s_delay_alu instid0(VALU_DEP_1) | instskip(SKIP_2) | instid1(VALU_DEP_4)
	v_or_b32_e32 v166, 0x800000, v164
	v_cmp_eq_u32_e32 vcc_lo, 0, v150
	v_add_nc_u32_e32 v150, 0xffffff91, v150
	v_cndmask_b32_e64 v165, v165, 0x6f, vcc_lo
	s_delay_alu instid0(VALU_DEP_2) | instskip(SKIP_1) | instid1(VALU_DEP_3)
	v_cndmask_b32_e64 v150, v150, 0xffffff92, vcc_lo
	v_cndmask_b32_e32 v164, v166, v164, vcc_lo
	v_lshl_add_u32 v166, 0x200000, v165, -1
	v_lshlrev_b32_e64 v177, v165, 0x100000
	s_delay_alu instid0(VALU_DEP_3) | instskip(SKIP_1) | instid1(VALU_DEP_4)
	v_lshrrev_b32_e32 v167, v165, v164
	v_add_nc_u32_e32 v165, v165, v150
	v_and_b32_e32 v164, v166, v164
	s_delay_alu instid0(VALU_DEP_3) | instskip(NEXT) | instid1(VALU_DEP_2)
	v_bfe_u32 v176, v167, 21, 1
	v_cmp_eq_u32_e64 s14, v164, v177
	s_delay_alu instid0(VALU_DEP_2) | instskip(NEXT) | instid1(VALU_DEP_1)
	v_add_nc_u32_e32 v166, -1, v176
	v_cndmask_b32_e64 v164, 0, v166, s14
	v_lshrrev_b32_e32 v166, 23, v167
	s_mov_b32 s14, exec_lo
	s_delay_alu instid0(VALU_DEP_2) | instskip(NEXT) | instid1(VALU_DEP_2)
	v_add_nc_u32_e32 v164, v164, v167
	v_xor_b32_e32 v166, 1, v166
	s_delay_alu instid0(VALU_DEP_2) | instskip(NEXT) | instid1(VALU_DEP_1)
	v_and_b32_e32 v150, 0x1fffff, v164
	v_add_nc_u32_e32 v164, v150, v167
                                        ; implicit-def: $vgpr150
	s_delay_alu instid0(VALU_DEP_3)
	v_cmpx_ne_u32_e64 v165, v166
	s_xor_b32 s14, exec_lo, s14
; %bb.3620:                             ;   in Loop: Header=BB4_3280 Depth=4
	s_delay_alu instid0(VALU_DEP_2) | instskip(SKIP_2) | instid1(VALU_DEP_2)
	v_cmp_lt_u32_e32 vcc_lo, 0xffffff, v164
	v_sub_nc_u32_e32 v150, v165, v166
	v_cndmask_b32_e64 v165, 0, 1, vcc_lo
	v_add_co_ci_u32_e32 v150, vcc_lo, 0, v150, vcc_lo
	s_delay_alu instid0(VALU_DEP_2)
	v_lshrrev_b32_e32 v164, v165, v164
; %bb.3621:                             ;   in Loop: Header=BB4_3280 Depth=4
	s_and_not1_saveexec_b32 s14, s14
; %bb.3622:                             ;   in Loop: Header=BB4_3280 Depth=4
	s_delay_alu instid0(VALU_DEP_1)
	v_bfe_u32 v150, v164, 23, 1
; %bb.3623:                             ;   in Loop: Header=BB4_3280 Depth=4
	s_or_b32 exec_lo, exec_lo, s14
	v_lshrrev_b32_e32 v164, 21, v164
	s_delay_alu instid0(VALU_DEP_2) | instskip(SKIP_2) | instid1(VALU_DEP_2)
	v_cmp_gt_i32_e32 vcc_lo, 32, v150
	v_lshrrev_b32_e32 v163, 24, v163
	v_min_i32_e32 v165, 31, v150
	v_dual_cndmask_b32 v164, 3, v164 :: v_dual_and_b32 v163, 0x80, v163
	s_delay_alu instid0(VALU_DEP_1) | instskip(SKIP_1) | instid1(VALU_DEP_2)
	v_or_b32_e32 v150, v150, v164
	v_and_b32_e32 v166, 3, v164
	v_cmp_ne_u32_e32 vcc_lo, 0, v150
	v_lshlrev_b32_e32 v165, 2, v165
	s_delay_alu instid0(VALU_DEP_1) | instskip(NEXT) | instid1(VALU_DEP_1)
	v_or3_b32 v163, v165, v163, v166
	v_cndmask_b32_e32 v150, 0, v163, vcc_lo
.LBB4_3624:                             ;   in Loop: Header=BB4_3280 Depth=4
	s_or_b32 exec_lo, exec_lo, s37
.LBB4_3625:                             ;   in Loop: Header=BB4_3280 Depth=4
	s_delay_alu instid0(SALU_CYCLE_1) | instskip(SKIP_3) | instid1(VALU_DEP_1)
	s_or_b32 exec_lo, exec_lo, s36
	v_and_b32_e32 v164, 0xff, v148
	s_mov_b32 s14, 0
	s_mov_b32 s37, exec_lo
                                        ; implicit-def: $sgpr36
	v_cmpx_lt_i16_e64 0x7f, v164
	s_xor_b32 s37, exec_lo, s37
	s_cbranch_execnz .LBB4_3871
; %bb.3626:                             ;   in Loop: Header=BB4_3280 Depth=4
	s_or_saveexec_b32 s37, s37
	v_mov_b32_e32 v163, s36
	s_xor_b32 exec_lo, exec_lo, s37
	s_cbranch_execnz .LBB4_3874
.LBB4_3627:                             ;   in Loop: Header=BB4_3280 Depth=4
	s_or_b32 exec_lo, exec_lo, s37
	s_and_saveexec_b32 s36, s14
	s_cbranch_execz .LBB4_3629
.LBB4_3628:                             ;   in Loop: Header=BB4_3280 Depth=4
	v_and_b32_e32 v163, 3, v148
	v_bfe_u32 v166, v148, 2, 5
	s_delay_alu instid0(VALU_DEP_2) | instskip(NEXT) | instid1(VALU_DEP_2)
	v_clz_i32_u32_e32 v164, v163
	v_cmp_eq_u32_e32 vcc_lo, 0, v166
	s_delay_alu instid0(VALU_DEP_2) | instskip(NEXT) | instid1(VALU_DEP_1)
	v_min_u32_e32 v164, 32, v164
	v_subrev_nc_u32_e32 v165, 29, v164
	v_sub_nc_u32_e32 v164, 30, v164
	s_delay_alu instid0(VALU_DEP_2) | instskip(NEXT) | instid1(VALU_DEP_1)
	v_lshlrev_b32_e32 v165, v165, v148
	v_dual_cndmask_b32 v164, v166, v164 :: v_dual_and_b32 v165, 3, v165
	v_lshlrev_b32_e32 v148, 24, v148
	s_delay_alu instid0(VALU_DEP_2) | instskip(NEXT) | instid1(VALU_DEP_2)
	v_lshl_add_u32 v164, v164, 23, 0x37800000
	v_dual_cndmask_b32 v163, v163, v165 :: v_dual_and_b32 v148, 0x80000000, v148
	s_delay_alu instid0(VALU_DEP_1) | instskip(NEXT) | instid1(VALU_DEP_1)
	v_lshlrev_b32_e32 v163, 21, v163
	v_or3_b32 v163, v148, v164, v163
.LBB4_3629:                             ;   in Loop: Header=BB4_3280 Depth=4
	s_or_b32 exec_lo, exec_lo, s36
	v_lshrrev_b16 v148, 8, v10
	s_mov_b32 s14, 0
	s_mov_b32 s37, exec_lo
                                        ; implicit-def: $sgpr36
	s_delay_alu instid0(VALU_DEP_1)
	v_cmpx_lt_i16_e64 0x7f, v148
	s_xor_b32 s37, exec_lo, s37
	s_cbranch_execnz .LBB4_3875
; %bb.3630:                             ;   in Loop: Header=BB4_3280 Depth=4
	s_or_saveexec_b32 s37, s37
	v_mov_b32_e32 v164, s36
	s_xor_b32 exec_lo, exec_lo, s37
	s_cbranch_execnz .LBB4_3878
.LBB4_3631:                             ;   in Loop: Header=BB4_3280 Depth=4
	s_or_b32 exec_lo, exec_lo, s37
	s_and_saveexec_b32 s36, s14
	s_cbranch_execz .LBB4_3633
.LBB4_3632:                             ;   in Loop: Header=BB4_3280 Depth=4
	v_and_b32_e32 v164, 0xffff, v148
	v_lshlrev_b32_e32 v148, 24, v148
	s_delay_alu instid0(VALU_DEP_2) | instskip(NEXT) | instid1(VALU_DEP_2)
	v_and_b32_e32 v165, 3, v164
	v_and_b32_e32 v148, 0x80000000, v148
	s_delay_alu instid0(VALU_DEP_2) | instskip(NEXT) | instid1(VALU_DEP_1)
	v_clz_i32_u32_e32 v166, v165
	v_min_u32_e32 v166, 32, v166
	s_delay_alu instid0(VALU_DEP_1) | instskip(SKIP_1) | instid1(VALU_DEP_2)
	v_subrev_nc_u32_e32 v167, 29, v166
	v_sub_nc_u32_e32 v166, 30, v166
	v_lshlrev_b32_e32 v167, v167, v164
	v_bfe_u32 v164, v164, 2, 5
	s_delay_alu instid0(VALU_DEP_2) | instskip(NEXT) | instid1(VALU_DEP_2)
	v_and_b32_e32 v167, 3, v167
	v_cmp_eq_u32_e32 vcc_lo, 0, v164
	s_delay_alu instid0(VALU_DEP_2) | instskip(NEXT) | instid1(VALU_DEP_1)
	v_dual_cndmask_b32 v164, v164, v166 :: v_dual_cndmask_b32 v165, v165, v167
	v_lshl_add_u32 v164, v164, 23, 0x37800000
	s_delay_alu instid0(VALU_DEP_2) | instskip(NEXT) | instid1(VALU_DEP_1)
	v_lshlrev_b32_e32 v165, 21, v165
	v_or3_b32 v164, v148, v164, v165
.LBB4_3633:                             ;   in Loop: Header=BB4_3280 Depth=4
	s_or_b32 exec_lo, exec_lo, s36
	s_delay_alu instid0(VALU_DEP_1) | instskip(NEXT) | instid1(VALU_DEP_1)
	v_add_f32_e32 v163, v163, v164
	v_and_b32_e32 v148, 0x7f800000, v163
	s_delay_alu instid0(VALU_DEP_1)
	v_cmp_ne_u32_e32 vcc_lo, 0x7f800000, v148
	v_mov_b32_e32 v148, 0x80
	s_and_saveexec_b32 s36, vcc_lo
	s_cbranch_execz .LBB4_3641
; %bb.3634:                             ;   in Loop: Header=BB4_3280 Depth=4
	v_mov_b32_e32 v148, 0
	s_mov_b32 s37, exec_lo
	v_cmpx_ne_u32_e32 0, v163
	s_cbranch_execz .LBB4_3640
; %bb.3635:                             ;   in Loop: Header=BB4_3280 Depth=4
	v_bfe_u32 v148, v163, 23, 8
	s_delay_alu instid0(VALU_DEP_1) | instskip(SKIP_1) | instid1(VALU_DEP_2)
	v_sub_nc_u32_e32 v165, 0x70, v148
	v_cmp_gt_u32_e32 vcc_lo, 0x71, v148
	v_dual_cndmask_b32 v165, 0, v165 :: v_dual_and_b32 v164, 0x7fffff, v163
	s_delay_alu instid0(VALU_DEP_1) | instskip(SKIP_2) | instid1(VALU_DEP_4)
	v_or_b32_e32 v166, 0x800000, v164
	v_cmp_eq_u32_e32 vcc_lo, 0, v148
	v_add_nc_u32_e32 v148, 0xffffff91, v148
	v_cndmask_b32_e64 v165, v165, 0x6f, vcc_lo
	s_delay_alu instid0(VALU_DEP_4) | instskip(NEXT) | instid1(VALU_DEP_3)
	v_cndmask_b32_e32 v164, v166, v164, vcc_lo
	v_cndmask_b32_e64 v148, v148, 0xffffff92, vcc_lo
	s_delay_alu instid0(VALU_DEP_3) | instskip(NEXT) | instid1(VALU_DEP_3)
	v_lshl_add_u32 v166, 0x200000, v165, -1
	v_lshrrev_b32_e32 v167, v165, v164
	v_lshlrev_b32_e64 v177, v165, 0x100000
	s_delay_alu instid0(VALU_DEP_4) | instskip(NEXT) | instid1(VALU_DEP_4)
	v_add_nc_u32_e32 v165, v165, v148
	v_and_b32_e32 v164, v166, v164
	s_delay_alu instid0(VALU_DEP_4) | instskip(NEXT) | instid1(VALU_DEP_2)
	v_bfe_u32 v176, v167, 21, 1
	v_cmp_eq_u32_e64 s14, v164, v177
	s_delay_alu instid0(VALU_DEP_2) | instskip(NEXT) | instid1(VALU_DEP_1)
	v_add_nc_u32_e32 v166, -1, v176
	v_cndmask_b32_e64 v164, 0, v166, s14
	v_lshrrev_b32_e32 v166, 23, v167
	s_mov_b32 s14, exec_lo
	s_delay_alu instid0(VALU_DEP_2) | instskip(NEXT) | instid1(VALU_DEP_2)
	v_add_nc_u32_e32 v164, v164, v167
	v_xor_b32_e32 v166, 1, v166
	s_delay_alu instid0(VALU_DEP_2) | instskip(NEXT) | instid1(VALU_DEP_1)
	v_and_b32_e32 v148, 0x1fffff, v164
	v_add_nc_u32_e32 v164, v148, v167
                                        ; implicit-def: $vgpr148
	s_delay_alu instid0(VALU_DEP_3)
	v_cmpx_ne_u32_e64 v165, v166
	s_xor_b32 s14, exec_lo, s14
; %bb.3636:                             ;   in Loop: Header=BB4_3280 Depth=4
	s_delay_alu instid0(VALU_DEP_2) | instskip(SKIP_2) | instid1(VALU_DEP_2)
	v_cmp_lt_u32_e32 vcc_lo, 0xffffff, v164
	v_sub_nc_u32_e32 v148, v165, v166
	v_cndmask_b32_e64 v165, 0, 1, vcc_lo
	v_add_co_ci_u32_e32 v148, vcc_lo, 0, v148, vcc_lo
	s_delay_alu instid0(VALU_DEP_2)
	v_lshrrev_b32_e32 v164, v165, v164
; %bb.3637:                             ;   in Loop: Header=BB4_3280 Depth=4
	s_and_not1_saveexec_b32 s14, s14
; %bb.3638:                             ;   in Loop: Header=BB4_3280 Depth=4
	s_delay_alu instid0(VALU_DEP_1)
	v_bfe_u32 v148, v164, 23, 1
; %bb.3639:                             ;   in Loop: Header=BB4_3280 Depth=4
	s_or_b32 exec_lo, exec_lo, s14
	v_lshrrev_b32_e32 v164, 21, v164
	s_delay_alu instid0(VALU_DEP_2) | instskip(SKIP_2) | instid1(VALU_DEP_2)
	v_cmp_gt_i32_e32 vcc_lo, 32, v148
	v_lshrrev_b32_e32 v163, 24, v163
	v_min_i32_e32 v165, 31, v148
	v_dual_cndmask_b32 v164, 3, v164 :: v_dual_and_b32 v163, 0x80, v163
	s_delay_alu instid0(VALU_DEP_1) | instskip(SKIP_1) | instid1(VALU_DEP_2)
	v_or_b32_e32 v148, v148, v164
	v_and_b32_e32 v166, 3, v164
	v_cmp_ne_u32_e32 vcc_lo, 0, v148
	v_lshlrev_b32_e32 v165, 2, v165
	s_delay_alu instid0(VALU_DEP_1) | instskip(NEXT) | instid1(VALU_DEP_1)
	v_or3_b32 v163, v165, v163, v166
	v_cndmask_b32_e32 v148, 0, v163, vcc_lo
.LBB4_3640:                             ;   in Loop: Header=BB4_3280 Depth=4
	s_or_b32 exec_lo, exec_lo, s37
.LBB4_3641:                             ;   in Loop: Header=BB4_3280 Depth=4
	s_delay_alu instid0(SALU_CYCLE_1) | instskip(SKIP_3) | instid1(VALU_DEP_1)
	s_or_b32 exec_lo, exec_lo, s36
	v_and_b32_e32 v164, 0xff, v147
	s_mov_b32 s14, 0
	s_mov_b32 s37, exec_lo
                                        ; implicit-def: $sgpr36
	v_cmpx_lt_i16_e64 0x7f, v164
	s_xor_b32 s37, exec_lo, s37
	s_cbranch_execnz .LBB4_3879
; %bb.3642:                             ;   in Loop: Header=BB4_3280 Depth=4
	s_or_saveexec_b32 s37, s37
	v_mov_b32_e32 v163, s36
	s_xor_b32 exec_lo, exec_lo, s37
	s_cbranch_execnz .LBB4_3882
.LBB4_3643:                             ;   in Loop: Header=BB4_3280 Depth=4
	s_or_b32 exec_lo, exec_lo, s37
	s_and_saveexec_b32 s36, s14
	s_cbranch_execz .LBB4_3645
.LBB4_3644:                             ;   in Loop: Header=BB4_3280 Depth=4
	v_bfe_u32 v166, v147, 2, 5
	s_delay_alu instid0(VALU_DEP_1) | instskip(SKIP_1) | instid1(VALU_DEP_1)
	v_cmp_eq_u32_e32 vcc_lo, 0, v166
	v_and_b32_e32 v163, 3, v147
	v_clz_i32_u32_e32 v164, v163
	s_delay_alu instid0(VALU_DEP_1) | instskip(NEXT) | instid1(VALU_DEP_1)
	v_min_u32_e32 v164, 32, v164
	v_subrev_nc_u32_e32 v165, 29, v164
	v_sub_nc_u32_e32 v164, 30, v164
	s_delay_alu instid0(VALU_DEP_1) | instskip(SKIP_1) | instid1(VALU_DEP_2)
	v_dual_cndmask_b32 v164, v166, v164 :: v_dual_lshlrev_b32 v165, v165, v147
	v_lshlrev_b32_e32 v147, 24, v147
	v_and_b32_e32 v165, 3, v165
	s_delay_alu instid0(VALU_DEP_3) | instskip(NEXT) | instid1(VALU_DEP_3)
	v_lshl_add_u32 v164, v164, 23, 0x37800000
	v_and_b32_e32 v147, 0x80000000, v147
	s_delay_alu instid0(VALU_DEP_3) | instskip(NEXT) | instid1(VALU_DEP_1)
	v_cndmask_b32_e32 v163, v163, v165, vcc_lo
	v_lshlrev_b32_e32 v163, 21, v163
	s_delay_alu instid0(VALU_DEP_1)
	v_or3_b32 v163, v147, v164, v163
.LBB4_3645:                             ;   in Loop: Header=BB4_3280 Depth=4
	s_or_b32 exec_lo, exec_lo, s36
	v_lshrrev_b32_e32 v147, 16, v10
	s_mov_b32 s14, 0
	s_mov_b32 s37, exec_lo
                                        ; implicit-def: $sgpr36
	s_delay_alu instid0(VALU_DEP_1) | instskip(NEXT) | instid1(VALU_DEP_1)
	v_and_b32_e32 v165, 0xff, v147
	v_cmpx_lt_i16_e64 0x7f, v165
	s_xor_b32 s37, exec_lo, s37
	s_cbranch_execnz .LBB4_3883
; %bb.3646:                             ;   in Loop: Header=BB4_3280 Depth=4
	s_or_saveexec_b32 s37, s37
	v_mov_b32_e32 v164, s36
	s_xor_b32 exec_lo, exec_lo, s37
	s_cbranch_execnz .LBB4_3886
.LBB4_3647:                             ;   in Loop: Header=BB4_3280 Depth=4
	s_or_b32 exec_lo, exec_lo, s37
	s_and_saveexec_b32 s36, s14
	s_cbranch_execz .LBB4_3649
.LBB4_3648:                             ;   in Loop: Header=BB4_3280 Depth=4
	v_bfe_u32 v164, v10, 16, 2
	v_lshlrev_b32_e32 v167, 8, v10
	s_delay_alu instid0(VALU_DEP_2) | instskip(NEXT) | instid1(VALU_DEP_1)
	v_clz_i32_u32_e32 v165, v164
	v_min_u32_e32 v165, 32, v165
	s_delay_alu instid0(VALU_DEP_1) | instskip(SKIP_1) | instid1(VALU_DEP_2)
	v_subrev_nc_u32_e32 v166, 29, v165
	v_sub_nc_u32_e32 v165, 30, v165
	v_lshlrev_b32_e32 v147, v166, v147
	v_bfe_u32 v166, v10, 18, 5
	s_delay_alu instid0(VALU_DEP_2) | instskip(NEXT) | instid1(VALU_DEP_2)
	v_and_b32_e32 v147, 3, v147
	v_cmp_eq_u32_e32 vcc_lo, 0, v166
	v_cndmask_b32_e32 v165, v166, v165, vcc_lo
	s_delay_alu instid0(VALU_DEP_3) | instskip(SKIP_1) | instid1(VALU_DEP_3)
	v_cndmask_b32_e32 v147, v164, v147, vcc_lo
	v_and_b32_e32 v164, 0x80000000, v167
	v_lshl_add_u32 v165, v165, 23, 0x37800000
	s_delay_alu instid0(VALU_DEP_3) | instskip(NEXT) | instid1(VALU_DEP_1)
	v_lshlrev_b32_e32 v147, 21, v147
	v_or3_b32 v164, v164, v165, v147
.LBB4_3649:                             ;   in Loop: Header=BB4_3280 Depth=4
	s_or_b32 exec_lo, exec_lo, s36
	s_delay_alu instid0(VALU_DEP_1) | instskip(NEXT) | instid1(VALU_DEP_1)
	v_add_f32_e32 v163, v163, v164
	v_and_b32_e32 v147, 0x7f800000, v163
	s_delay_alu instid0(VALU_DEP_1)
	v_cmp_ne_u32_e32 vcc_lo, 0x7f800000, v147
	v_mov_b32_e32 v147, 0x80
	s_and_saveexec_b32 s36, vcc_lo
	s_cbranch_execz .LBB4_3657
; %bb.3650:                             ;   in Loop: Header=BB4_3280 Depth=4
	v_mov_b32_e32 v147, 0
	s_mov_b32 s37, exec_lo
	v_cmpx_ne_u32_e32 0, v163
	s_cbranch_execz .LBB4_3656
; %bb.3651:                             ;   in Loop: Header=BB4_3280 Depth=4
	v_bfe_u32 v147, v163, 23, 8
	s_delay_alu instid0(VALU_DEP_1) | instskip(SKIP_1) | instid1(VALU_DEP_2)
	v_sub_nc_u32_e32 v165, 0x70, v147
	v_cmp_gt_u32_e32 vcc_lo, 0x71, v147
	v_dual_cndmask_b32 v165, 0, v165 :: v_dual_and_b32 v164, 0x7fffff, v163
	s_delay_alu instid0(VALU_DEP_1) | instskip(SKIP_2) | instid1(VALU_DEP_4)
	v_or_b32_e32 v166, 0x800000, v164
	v_cmp_eq_u32_e32 vcc_lo, 0, v147
	v_add_nc_u32_e32 v147, 0xffffff91, v147
	v_cndmask_b32_e64 v165, v165, 0x6f, vcc_lo
	s_delay_alu instid0(VALU_DEP_4) | instskip(NEXT) | instid1(VALU_DEP_3)
	v_cndmask_b32_e32 v164, v166, v164, vcc_lo
	v_cndmask_b32_e64 v147, v147, 0xffffff92, vcc_lo
	s_delay_alu instid0(VALU_DEP_3) | instskip(NEXT) | instid1(VALU_DEP_3)
	v_lshl_add_u32 v166, 0x200000, v165, -1
	v_lshrrev_b32_e32 v167, v165, v164
	v_lshlrev_b32_e64 v177, v165, 0x100000
	s_delay_alu instid0(VALU_DEP_4) | instskip(NEXT) | instid1(VALU_DEP_4)
	v_add_nc_u32_e32 v165, v165, v147
	v_and_b32_e32 v164, v166, v164
	s_delay_alu instid0(VALU_DEP_4) | instskip(NEXT) | instid1(VALU_DEP_2)
	v_bfe_u32 v176, v167, 21, 1
	v_cmp_eq_u32_e64 s14, v164, v177
	s_delay_alu instid0(VALU_DEP_2) | instskip(NEXT) | instid1(VALU_DEP_1)
	v_add_nc_u32_e32 v166, -1, v176
	v_cndmask_b32_e64 v164, 0, v166, s14
	v_lshrrev_b32_e32 v166, 23, v167
	s_mov_b32 s14, exec_lo
	s_delay_alu instid0(VALU_DEP_2) | instskip(NEXT) | instid1(VALU_DEP_2)
	v_add_nc_u32_e32 v164, v164, v167
	v_xor_b32_e32 v166, 1, v166
	s_delay_alu instid0(VALU_DEP_2) | instskip(NEXT) | instid1(VALU_DEP_1)
	v_and_b32_e32 v147, 0x1fffff, v164
	v_add_nc_u32_e32 v164, v147, v167
                                        ; implicit-def: $vgpr147
	s_delay_alu instid0(VALU_DEP_3)
	v_cmpx_ne_u32_e64 v165, v166
	s_xor_b32 s14, exec_lo, s14
; %bb.3652:                             ;   in Loop: Header=BB4_3280 Depth=4
	s_delay_alu instid0(VALU_DEP_2) | instskip(SKIP_2) | instid1(VALU_DEP_2)
	v_cmp_lt_u32_e32 vcc_lo, 0xffffff, v164
	v_sub_nc_u32_e32 v147, v165, v166
	v_cndmask_b32_e64 v165, 0, 1, vcc_lo
	v_add_co_ci_u32_e32 v147, vcc_lo, 0, v147, vcc_lo
	s_delay_alu instid0(VALU_DEP_2)
	v_lshrrev_b32_e32 v164, v165, v164
; %bb.3653:                             ;   in Loop: Header=BB4_3280 Depth=4
	s_and_not1_saveexec_b32 s14, s14
; %bb.3654:                             ;   in Loop: Header=BB4_3280 Depth=4
	s_delay_alu instid0(VALU_DEP_1)
	v_bfe_u32 v147, v164, 23, 1
; %bb.3655:                             ;   in Loop: Header=BB4_3280 Depth=4
	s_or_b32 exec_lo, exec_lo, s14
	v_lshrrev_b32_e32 v164, 21, v164
	s_delay_alu instid0(VALU_DEP_2) | instskip(SKIP_2) | instid1(VALU_DEP_2)
	v_cmp_gt_i32_e32 vcc_lo, 32, v147
	v_lshrrev_b32_e32 v163, 24, v163
	v_min_i32_e32 v165, 31, v147
	v_dual_cndmask_b32 v164, 3, v164 :: v_dual_and_b32 v163, 0x80, v163
	s_delay_alu instid0(VALU_DEP_2) | instskip(NEXT) | instid1(VALU_DEP_2)
	v_lshlrev_b32_e32 v165, 2, v165
	v_or_b32_e32 v147, v147, v164
	s_delay_alu instid0(VALU_DEP_1) | instskip(SKIP_1) | instid1(VALU_DEP_1)
	v_cmp_ne_u32_e32 vcc_lo, 0, v147
	v_and_b32_e32 v166, 3, v164
	v_or3_b32 v163, v165, v163, v166
	s_delay_alu instid0(VALU_DEP_1)
	v_cndmask_b32_e32 v147, 0, v163, vcc_lo
.LBB4_3656:                             ;   in Loop: Header=BB4_3280 Depth=4
	s_or_b32 exec_lo, exec_lo, s37
.LBB4_3657:                             ;   in Loop: Header=BB4_3280 Depth=4
	s_delay_alu instid0(SALU_CYCLE_1) | instskip(SKIP_3) | instid1(VALU_DEP_1)
	s_or_b32 exec_lo, exec_lo, s36
	v_and_b32_e32 v164, 0xff, v144
	s_mov_b32 s14, 0
	s_mov_b32 s37, exec_lo
                                        ; implicit-def: $sgpr36
	v_cmpx_lt_i16_e64 0x7f, v164
	s_xor_b32 s37, exec_lo, s37
	s_cbranch_execnz .LBB4_3887
; %bb.3658:                             ;   in Loop: Header=BB4_3280 Depth=4
	s_or_saveexec_b32 s37, s37
	v_mov_b32_e32 v163, s36
	s_xor_b32 exec_lo, exec_lo, s37
	s_cbranch_execnz .LBB4_3890
.LBB4_3659:                             ;   in Loop: Header=BB4_3280 Depth=4
	s_or_b32 exec_lo, exec_lo, s37
	s_and_saveexec_b32 s36, s14
	s_cbranch_execz .LBB4_3661
.LBB4_3660:                             ;   in Loop: Header=BB4_3280 Depth=4
	v_lshlrev_b32_e32 v144, 8, v144
	s_delay_alu instid0(VALU_DEP_1) | instskip(SKIP_1) | instid1(VALU_DEP_2)
	v_and_b32_e32 v163, 0xff00, v144
	v_bfe_u32 v144, v144, 10, 5
	v_bfe_u32 v165, v163, 8, 2
	s_delay_alu instid0(VALU_DEP_2) | instskip(NEXT) | instid1(VALU_DEP_2)
	v_cmp_eq_u32_e32 vcc_lo, 0, v144
	v_clz_i32_u32_e32 v166, v165
	s_delay_alu instid0(VALU_DEP_1) | instskip(NEXT) | instid1(VALU_DEP_1)
	v_min_u32_e32 v166, 32, v166
	v_subrev_nc_u32_e32 v167, 29, v166
	v_sub_nc_u32_e32 v166, 30, v166
	s_delay_alu instid0(VALU_DEP_2) | instskip(NEXT) | instid1(VALU_DEP_2)
	v_lshlrev_b32_e32 v164, v167, v164
	v_cndmask_b32_e32 v144, v144, v166, vcc_lo
	s_delay_alu instid0(VALU_DEP_2) | instskip(SKIP_1) | instid1(VALU_DEP_3)
	v_and_b32_e32 v164, 3, v164
	v_lshlrev_b32_e32 v163, 16, v163
	v_lshl_add_u32 v144, v144, 23, 0x37800000
	s_delay_alu instid0(VALU_DEP_2) | instskip(NEXT) | instid1(VALU_DEP_1)
	v_dual_cndmask_b32 v164, v165, v164 :: v_dual_and_b32 v163, 0x80000000, v163
	v_lshlrev_b32_e32 v164, 21, v164
	s_delay_alu instid0(VALU_DEP_1)
	v_or3_b32 v163, v163, v144, v164
.LBB4_3661:                             ;   in Loop: Header=BB4_3280 Depth=4
	s_or_b32 exec_lo, exec_lo, s36
	v_lshrrev_b32_e32 v144, 24, v10
	s_mov_b32 s14, 0
	s_mov_b32 s37, exec_lo
                                        ; implicit-def: $sgpr36
	s_delay_alu instid0(VALU_DEP_1)
	v_cmpx_lt_i16_e64 0x7f, v144
	s_xor_b32 s37, exec_lo, s37
	s_cbranch_execnz .LBB4_3891
; %bb.3662:                             ;   in Loop: Header=BB4_3280 Depth=4
	s_or_saveexec_b32 s37, s37
	v_mov_b32_e32 v164, s36
	s_xor_b32 exec_lo, exec_lo, s37
	s_cbranch_execnz .LBB4_3894
.LBB4_3663:                             ;   in Loop: Header=BB4_3280 Depth=4
	s_or_b32 exec_lo, exec_lo, s37
	s_and_saveexec_b32 s36, s14
	s_cbranch_execz .LBB4_3665
.LBB4_3664:                             ;   in Loop: Header=BB4_3280 Depth=4
	v_bfe_u32 v164, v10, 24, 2
	s_delay_alu instid0(VALU_DEP_1) | instskip(NEXT) | instid1(VALU_DEP_1)
	v_clz_i32_u32_e32 v165, v164
	v_min_u32_e32 v165, 32, v165
	s_delay_alu instid0(VALU_DEP_1) | instskip(SKIP_1) | instid1(VALU_DEP_2)
	v_subrev_nc_u32_e32 v166, 29, v165
	v_sub_nc_u32_e32 v165, 30, v165
	v_lshlrev_b32_e32 v144, v166, v144
	v_bfe_u32 v166, v10, 26, 5
	v_and_b32_e32 v10, 0x80000000, v10
	s_delay_alu instid0(VALU_DEP_2) | instskip(NEXT) | instid1(VALU_DEP_4)
	v_cmp_eq_u32_e32 vcc_lo, 0, v166
	v_dual_cndmask_b32 v165, v166, v165 :: v_dual_and_b32 v144, 3, v144
	s_delay_alu instid0(VALU_DEP_1) | instskip(NEXT) | instid1(VALU_DEP_2)
	v_cndmask_b32_e32 v144, v164, v144, vcc_lo
	v_lshl_add_u32 v164, v165, 23, 0x37800000
	s_delay_alu instid0(VALU_DEP_2) | instskip(NEXT) | instid1(VALU_DEP_1)
	v_lshlrev_b32_e32 v144, 21, v144
	v_or3_b32 v164, v10, v164, v144
.LBB4_3665:                             ;   in Loop: Header=BB4_3280 Depth=4
	s_or_b32 exec_lo, exec_lo, s36
	s_delay_alu instid0(VALU_DEP_1) | instskip(NEXT) | instid1(VALU_DEP_1)
	v_add_f32_e32 v144, v163, v164
	v_and_b32_e32 v10, 0x7f800000, v144
	s_delay_alu instid0(VALU_DEP_1)
	v_cmp_ne_u32_e32 vcc_lo, 0x7f800000, v10
	v_mov_b32_e32 v10, 0x80
	s_and_saveexec_b32 s36, vcc_lo
	s_cbranch_execz .LBB4_3673
; %bb.3666:                             ;   in Loop: Header=BB4_3280 Depth=4
	v_mov_b32_e32 v10, 0
	s_mov_b32 s37, exec_lo
	v_cmpx_ne_u32_e32 0, v144
	s_cbranch_execz .LBB4_3672
; %bb.3667:                             ;   in Loop: Header=BB4_3280 Depth=4
	v_bfe_u32 v10, v144, 23, 8
	v_and_b32_e32 v163, 0x7fffff, v144
	s_delay_alu instid0(VALU_DEP_2) | instskip(SKIP_1) | instid1(VALU_DEP_3)
	v_sub_nc_u32_e32 v164, 0x70, v10
	v_cmp_gt_u32_e32 vcc_lo, 0x71, v10
	v_or_b32_e32 v165, 0x800000, v163
	s_delay_alu instid0(VALU_DEP_3) | instskip(SKIP_1) | instid1(VALU_DEP_3)
	v_cndmask_b32_e32 v164, 0, v164, vcc_lo
	v_cmp_eq_u32_e32 vcc_lo, 0, v10
	v_dual_cndmask_b32 v163, v165, v163 :: v_dual_add_nc_u32 v10, 0xffffff91, v10
	s_delay_alu instid0(VALU_DEP_3) | instskip(NEXT) | instid1(VALU_DEP_2)
	v_cndmask_b32_e64 v164, v164, 0x6f, vcc_lo
	v_cndmask_b32_e64 v10, v10, 0xffffff92, vcc_lo
	s_delay_alu instid0(VALU_DEP_2) | instskip(SKIP_2) | instid1(VALU_DEP_4)
	v_lshrrev_b32_e32 v166, v164, v163
	v_lshl_add_u32 v165, 0x200000, v164, -1
	v_lshlrev_b32_e64 v176, v164, 0x100000
	v_add_nc_u32_e32 v164, v164, v10
	s_delay_alu instid0(VALU_DEP_4) | instskip(NEXT) | instid1(VALU_DEP_4)
	v_bfe_u32 v167, v166, 21, 1
	v_and_b32_e32 v163, v165, v163
	s_delay_alu instid0(VALU_DEP_2) | instskip(NEXT) | instid1(VALU_DEP_2)
	v_add_nc_u32_e32 v165, -1, v167
	v_cmp_eq_u32_e64 s14, v163, v176
	s_delay_alu instid0(VALU_DEP_1) | instskip(SKIP_2) | instid1(VALU_DEP_2)
	v_cndmask_b32_e64 v163, 0, v165, s14
	v_lshrrev_b32_e32 v165, 23, v166
	s_mov_b32 s14, exec_lo
	v_add_nc_u32_e32 v163, v163, v166
	s_delay_alu instid0(VALU_DEP_2) | instskip(NEXT) | instid1(VALU_DEP_2)
	v_xor_b32_e32 v165, 1, v165
	v_and_b32_e32 v10, 0x1fffff, v163
	s_delay_alu instid0(VALU_DEP_1) | instskip(NEXT) | instid1(VALU_DEP_3)
	v_add_nc_u32_e32 v163, v10, v166
                                        ; implicit-def: $vgpr10
	v_cmpx_ne_u32_e64 v164, v165
	s_xor_b32 s14, exec_lo, s14
; %bb.3668:                             ;   in Loop: Header=BB4_3280 Depth=4
	s_delay_alu instid0(VALU_DEP_2) | instskip(SKIP_2) | instid1(VALU_DEP_2)
	v_cmp_lt_u32_e32 vcc_lo, 0xffffff, v163
	v_sub_nc_u32_e32 v10, v164, v165
	v_cndmask_b32_e64 v164, 0, 1, vcc_lo
	v_add_co_ci_u32_e32 v10, vcc_lo, 0, v10, vcc_lo
	s_delay_alu instid0(VALU_DEP_2)
	v_lshrrev_b32_e32 v163, v164, v163
; %bb.3669:                             ;   in Loop: Header=BB4_3280 Depth=4
	s_and_not1_saveexec_b32 s14, s14
; %bb.3670:                             ;   in Loop: Header=BB4_3280 Depth=4
	s_delay_alu instid0(VALU_DEP_1)
	v_bfe_u32 v10, v163, 23, 1
; %bb.3671:                             ;   in Loop: Header=BB4_3280 Depth=4
	s_or_b32 exec_lo, exec_lo, s14
	v_lshrrev_b32_e32 v163, 21, v163
	s_delay_alu instid0(VALU_DEP_2) | instskip(SKIP_2) | instid1(VALU_DEP_2)
	v_cmp_gt_i32_e32 vcc_lo, 32, v10
	v_lshrrev_b32_e32 v144, 24, v144
	v_min_i32_e32 v164, 31, v10
	v_dual_cndmask_b32 v163, 3, v163 :: v_dual_and_b32 v144, 0x80, v144
	s_delay_alu instid0(VALU_DEP_2) | instskip(NEXT) | instid1(VALU_DEP_2)
	v_lshlrev_b32_e32 v164, 2, v164
	v_or_b32_e32 v10, v10, v163
	s_delay_alu instid0(VALU_DEP_1) | instskip(SKIP_1) | instid1(VALU_DEP_1)
	v_cmp_ne_u32_e32 vcc_lo, 0, v10
	v_and_b32_e32 v165, 3, v163
	v_or3_b32 v144, v164, v144, v165
	s_delay_alu instid0(VALU_DEP_1)
	v_cndmask_b32_e32 v10, 0, v144, vcc_lo
.LBB4_3672:                             ;   in Loop: Header=BB4_3280 Depth=4
	s_or_b32 exec_lo, exec_lo, s37
.LBB4_3673:                             ;   in Loop: Header=BB4_3280 Depth=4
	s_delay_alu instid0(SALU_CYCLE_1) | instskip(SKIP_3) | instid1(VALU_DEP_1)
	s_or_b32 exec_lo, exec_lo, s36
	v_or_b32_e32 v144, v149, v135
	s_mov_b32 s14, 0
	s_mov_b32 s37, exec_lo
                                        ; implicit-def: $sgpr36
	v_and_b32_e32 v149, 0xff, v144
	s_delay_alu instid0(VALU_DEP_1)
	v_cmpx_lt_i16_e64 0x7f, v149
	s_xor_b32 s37, exec_lo, s37
	s_cbranch_execnz .LBB4_3895
; %bb.3674:                             ;   in Loop: Header=BB4_3280 Depth=4
	s_or_saveexec_b32 s37, s37
	v_mov_b32_e32 v135, s36
	s_xor_b32 exec_lo, exec_lo, s37
	s_cbranch_execnz .LBB4_3898
.LBB4_3675:                             ;   in Loop: Header=BB4_3280 Depth=4
	s_or_b32 exec_lo, exec_lo, s37
	s_and_saveexec_b32 s36, s14
	s_cbranch_execz .LBB4_3677
.LBB4_3676:                             ;   in Loop: Header=BB4_3280 Depth=4
	v_and_b32_e32 v135, 3, v144
	v_bfe_u32 v164, v144, 2, 5
	v_lshlrev_b32_e32 v165, 24, v144
	s_delay_alu instid0(VALU_DEP_3) | instskip(NEXT) | instid1(VALU_DEP_3)
	v_clz_i32_u32_e32 v149, v135
	v_cmp_eq_u32_e32 vcc_lo, 0, v164
	s_delay_alu instid0(VALU_DEP_2) | instskip(NEXT) | instid1(VALU_DEP_1)
	v_min_u32_e32 v149, 32, v149
	v_subrev_nc_u32_e32 v163, 29, v149
	v_sub_nc_u32_e32 v149, 30, v149
	s_delay_alu instid0(VALU_DEP_2) | instskip(NEXT) | instid1(VALU_DEP_2)
	v_lshlrev_b32_e32 v163, v163, v144
	v_cndmask_b32_e32 v149, v164, v149, vcc_lo
	s_delay_alu instid0(VALU_DEP_2) | instskip(NEXT) | instid1(VALU_DEP_2)
	v_and_b32_e32 v163, 3, v163
	v_lshl_add_u32 v149, v149, 23, 0x37800000
	s_delay_alu instid0(VALU_DEP_2) | instskip(SKIP_1) | instid1(VALU_DEP_2)
	v_cndmask_b32_e32 v135, v135, v163, vcc_lo
	v_and_b32_e32 v163, 0x80000000, v165
	v_lshlrev_b32_e32 v135, 21, v135
	s_delay_alu instid0(VALU_DEP_1)
	v_or3_b32 v135, v163, v149, v135
.LBB4_3677:                             ;   in Loop: Header=BB4_3280 Depth=4
	s_or_b32 exec_lo, exec_lo, s36
	v_and_b32_e32 v163, 0xff, v11
	s_mov_b32 s14, 0
	s_mov_b32 s37, exec_lo
                                        ; implicit-def: $sgpr36
	s_delay_alu instid0(VALU_DEP_1)
	v_cmpx_lt_i16_e64 0x7f, v163
	s_xor_b32 s37, exec_lo, s37
	s_cbranch_execnz .LBB4_3899
; %bb.3678:                             ;   in Loop: Header=BB4_3280 Depth=4
	s_or_saveexec_b32 s37, s37
	v_mov_b32_e32 v149, s36
	s_xor_b32 exec_lo, exec_lo, s37
	s_cbranch_execnz .LBB4_3902
.LBB4_3679:                             ;   in Loop: Header=BB4_3280 Depth=4
	s_or_b32 exec_lo, exec_lo, s37
	s_and_saveexec_b32 s36, s14
	s_cbranch_execz .LBB4_3681
.LBB4_3680:                             ;   in Loop: Header=BB4_3280 Depth=4
	v_and_b32_e32 v149, 3, v11
	v_bfe_u32 v165, v11, 2, 5
	s_delay_alu instid0(VALU_DEP_2) | instskip(NEXT) | instid1(VALU_DEP_2)
	v_clz_i32_u32_e32 v163, v149
	v_cmp_eq_u32_e32 vcc_lo, 0, v165
	s_delay_alu instid0(VALU_DEP_2) | instskip(NEXT) | instid1(VALU_DEP_1)
	v_min_u32_e32 v163, 32, v163
	v_subrev_nc_u32_e32 v164, 29, v163
	v_sub_nc_u32_e32 v163, 30, v163
	s_delay_alu instid0(VALU_DEP_2) | instskip(NEXT) | instid1(VALU_DEP_1)
	v_lshlrev_b32_e32 v164, v164, v11
	v_dual_cndmask_b32 v163, v165, v163 :: v_dual_and_b32 v164, 3, v164
	v_lshlrev_b32_e32 v166, 24, v11
	s_delay_alu instid0(VALU_DEP_2) | instskip(NEXT) | instid1(VALU_DEP_2)
	v_lshl_add_u32 v163, v163, 23, 0x37800000
	v_dual_cndmask_b32 v149, v149, v164 :: v_dual_and_b32 v164, 0x80000000, v166
	s_delay_alu instid0(VALU_DEP_1) | instskip(NEXT) | instid1(VALU_DEP_1)
	v_lshlrev_b32_e32 v149, 21, v149
	v_or3_b32 v149, v164, v163, v149
.LBB4_3681:                             ;   in Loop: Header=BB4_3280 Depth=4
	s_or_b32 exec_lo, exec_lo, s36
	s_delay_alu instid0(VALU_DEP_1) | instskip(NEXT) | instid1(VALU_DEP_1)
	v_add_f32_e32 v149, v135, v149
	v_and_b32_e32 v135, 0x7f800000, v149
	s_delay_alu instid0(VALU_DEP_1)
	v_cmp_ne_u32_e32 vcc_lo, 0x7f800000, v135
	v_mov_b32_e32 v135, 0x80
	s_and_saveexec_b32 s36, vcc_lo
	s_cbranch_execz .LBB4_3689
; %bb.3682:                             ;   in Loop: Header=BB4_3280 Depth=4
	v_mov_b32_e32 v135, 0
	s_mov_b32 s37, exec_lo
	v_cmpx_ne_u32_e32 0, v149
	s_cbranch_execz .LBB4_3688
; %bb.3683:                             ;   in Loop: Header=BB4_3280 Depth=4
	v_bfe_u32 v135, v149, 23, 8
	s_delay_alu instid0(VALU_DEP_1) | instskip(SKIP_1) | instid1(VALU_DEP_2)
	v_sub_nc_u32_e32 v164, 0x70, v135
	v_cmp_gt_u32_e32 vcc_lo, 0x71, v135
	v_dual_cndmask_b32 v164, 0, v164 :: v_dual_and_b32 v163, 0x7fffff, v149
	s_delay_alu instid0(VALU_DEP_1) | instskip(SKIP_2) | instid1(VALU_DEP_4)
	v_or_b32_e32 v165, 0x800000, v163
	v_cmp_eq_u32_e32 vcc_lo, 0, v135
	v_add_nc_u32_e32 v135, 0xffffff91, v135
	v_cndmask_b32_e64 v164, v164, 0x6f, vcc_lo
	s_delay_alu instid0(VALU_DEP_4) | instskip(NEXT) | instid1(VALU_DEP_3)
	v_cndmask_b32_e32 v163, v165, v163, vcc_lo
	v_cndmask_b32_e64 v135, v135, 0xffffff92, vcc_lo
	s_delay_alu instid0(VALU_DEP_3) | instskip(NEXT) | instid1(VALU_DEP_3)
	v_lshl_add_u32 v165, 0x200000, v164, -1
	v_lshrrev_b32_e32 v166, v164, v163
	v_lshlrev_b32_e64 v176, v164, 0x100000
	s_delay_alu instid0(VALU_DEP_4) | instskip(NEXT) | instid1(VALU_DEP_4)
	v_add_nc_u32_e32 v164, v164, v135
	v_and_b32_e32 v163, v165, v163
	s_delay_alu instid0(VALU_DEP_4) | instskip(NEXT) | instid1(VALU_DEP_2)
	v_bfe_u32 v167, v166, 21, 1
	v_cmp_eq_u32_e64 s14, v163, v176
	s_delay_alu instid0(VALU_DEP_2) | instskip(NEXT) | instid1(VALU_DEP_1)
	v_add_nc_u32_e32 v165, -1, v167
	v_cndmask_b32_e64 v163, 0, v165, s14
	v_lshrrev_b32_e32 v165, 23, v166
	s_mov_b32 s14, exec_lo
	s_delay_alu instid0(VALU_DEP_2) | instskip(NEXT) | instid1(VALU_DEP_2)
	v_add_nc_u32_e32 v163, v163, v166
	v_xor_b32_e32 v165, 1, v165
	s_delay_alu instid0(VALU_DEP_2) | instskip(NEXT) | instid1(VALU_DEP_1)
	v_and_b32_e32 v135, 0x1fffff, v163
	v_add_nc_u32_e32 v163, v135, v166
                                        ; implicit-def: $vgpr135
	s_delay_alu instid0(VALU_DEP_3)
	v_cmpx_ne_u32_e64 v164, v165
	s_xor_b32 s14, exec_lo, s14
; %bb.3684:                             ;   in Loop: Header=BB4_3280 Depth=4
	s_delay_alu instid0(VALU_DEP_2) | instskip(SKIP_2) | instid1(VALU_DEP_2)
	v_cmp_lt_u32_e32 vcc_lo, 0xffffff, v163
	v_sub_nc_u32_e32 v135, v164, v165
	v_cndmask_b32_e64 v164, 0, 1, vcc_lo
	v_add_co_ci_u32_e32 v135, vcc_lo, 0, v135, vcc_lo
	s_delay_alu instid0(VALU_DEP_2)
	v_lshrrev_b32_e32 v163, v164, v163
; %bb.3685:                             ;   in Loop: Header=BB4_3280 Depth=4
	s_and_not1_saveexec_b32 s14, s14
; %bb.3686:                             ;   in Loop: Header=BB4_3280 Depth=4
	s_delay_alu instid0(VALU_DEP_1)
	v_bfe_u32 v135, v163, 23, 1
; %bb.3687:                             ;   in Loop: Header=BB4_3280 Depth=4
	s_or_b32 exec_lo, exec_lo, s14
	v_lshrrev_b32_e32 v163, 21, v163
	s_delay_alu instid0(VALU_DEP_2) | instskip(SKIP_2) | instid1(VALU_DEP_4)
	v_cmp_gt_i32_e32 vcc_lo, 32, v135
	v_lshrrev_b32_e32 v149, 24, v149
	v_min_i32_e32 v164, 31, v135
	v_cndmask_b32_e32 v163, 3, v163, vcc_lo
	s_delay_alu instid0(VALU_DEP_3) | instskip(NEXT) | instid1(VALU_DEP_3)
	v_and_b32_e32 v149, 0x80, v149
	v_lshlrev_b32_e32 v164, 2, v164
	s_delay_alu instid0(VALU_DEP_3) | instskip(SKIP_1) | instid1(VALU_DEP_2)
	v_and_b32_e32 v165, 3, v163
	v_or_b32_e32 v135, v135, v163
	v_or3_b32 v149, v164, v149, v165
	s_delay_alu instid0(VALU_DEP_2) | instskip(NEXT) | instid1(VALU_DEP_2)
	v_cmp_ne_u32_e32 vcc_lo, 0, v135
	v_cndmask_b32_e32 v135, 0, v149, vcc_lo
.LBB4_3688:                             ;   in Loop: Header=BB4_3280 Depth=4
	s_or_b32 exec_lo, exec_lo, s37
.LBB4_3689:                             ;   in Loop: Header=BB4_3280 Depth=4
	s_delay_alu instid0(SALU_CYCLE_1) | instskip(SKIP_3) | instid1(VALU_DEP_1)
	s_or_b32 exec_lo, exec_lo, s36
	v_lshrrev_b16 v163, 8, v144
	s_mov_b32 s14, 0
	s_mov_b32 s37, exec_lo
                                        ; implicit-def: $sgpr36
	v_cmpx_lt_i16_e64 0x7f, v163
	s_xor_b32 s37, exec_lo, s37
	s_cbranch_execnz .LBB4_3903
; %bb.3690:                             ;   in Loop: Header=BB4_3280 Depth=4
	s_or_saveexec_b32 s37, s37
	v_mov_b32_e32 v149, s36
	s_xor_b32 exec_lo, exec_lo, s37
	s_cbranch_execnz .LBB4_3906
.LBB4_3691:                             ;   in Loop: Header=BB4_3280 Depth=4
	s_or_b32 exec_lo, exec_lo, s37
	s_and_saveexec_b32 s36, s14
	s_cbranch_execz .LBB4_3693
.LBB4_3692:                             ;   in Loop: Header=BB4_3280 Depth=4
	v_and_b32_e32 v149, 0xffff, v163
	v_lshlrev_b32_e32 v163, 24, v163
	s_delay_alu instid0(VALU_DEP_2) | instskip(NEXT) | instid1(VALU_DEP_2)
	v_and_b32_e32 v164, 3, v149
	v_and_b32_e32 v163, 0x80000000, v163
	s_delay_alu instid0(VALU_DEP_2) | instskip(NEXT) | instid1(VALU_DEP_1)
	v_clz_i32_u32_e32 v165, v164
	v_min_u32_e32 v165, 32, v165
	s_delay_alu instid0(VALU_DEP_1) | instskip(SKIP_1) | instid1(VALU_DEP_2)
	v_subrev_nc_u32_e32 v166, 29, v165
	v_sub_nc_u32_e32 v165, 30, v165
	v_lshlrev_b32_e32 v166, v166, v149
	v_bfe_u32 v149, v149, 2, 5
	s_delay_alu instid0(VALU_DEP_1) | instskip(NEXT) | instid1(VALU_DEP_3)
	v_cmp_eq_u32_e32 vcc_lo, 0, v149
	v_dual_cndmask_b32 v149, v149, v165 :: v_dual_and_b32 v166, 3, v166
	s_delay_alu instid0(VALU_DEP_1) | instskip(NEXT) | instid1(VALU_DEP_2)
	v_cndmask_b32_e32 v164, v164, v166, vcc_lo
	v_lshl_add_u32 v149, v149, 23, 0x37800000
	s_delay_alu instid0(VALU_DEP_2) | instskip(NEXT) | instid1(VALU_DEP_1)
	v_lshlrev_b32_e32 v164, 21, v164
	v_or3_b32 v149, v163, v149, v164
.LBB4_3693:                             ;   in Loop: Header=BB4_3280 Depth=4
	s_or_b32 exec_lo, exec_lo, s36
	v_lshrrev_b16 v163, 8, v11
	s_mov_b32 s14, 0
	s_mov_b32 s37, exec_lo
                                        ; implicit-def: $sgpr36
	s_delay_alu instid0(VALU_DEP_1)
	v_cmpx_lt_i16_e64 0x7f, v163
	s_xor_b32 s37, exec_lo, s37
	s_cbranch_execnz .LBB4_3907
; %bb.3694:                             ;   in Loop: Header=BB4_3280 Depth=4
	s_or_saveexec_b32 s37, s37
	v_mov_b32_e32 v164, s36
	s_xor_b32 exec_lo, exec_lo, s37
	s_cbranch_execnz .LBB4_3910
.LBB4_3695:                             ;   in Loop: Header=BB4_3280 Depth=4
	s_or_b32 exec_lo, exec_lo, s37
	s_and_saveexec_b32 s36, s14
	s_cbranch_execz .LBB4_3697
.LBB4_3696:                             ;   in Loop: Header=BB4_3280 Depth=4
	v_and_b32_e32 v164, 0xffff, v163
	v_lshlrev_b32_e32 v163, 24, v163
	s_delay_alu instid0(VALU_DEP_2) | instskip(NEXT) | instid1(VALU_DEP_2)
	v_and_b32_e32 v165, 3, v164
	v_and_b32_e32 v163, 0x80000000, v163
	s_delay_alu instid0(VALU_DEP_2) | instskip(NEXT) | instid1(VALU_DEP_1)
	v_clz_i32_u32_e32 v166, v165
	v_min_u32_e32 v166, 32, v166
	s_delay_alu instid0(VALU_DEP_1) | instskip(SKIP_1) | instid1(VALU_DEP_2)
	v_subrev_nc_u32_e32 v167, 29, v166
	v_sub_nc_u32_e32 v166, 30, v166
	v_lshlrev_b32_e32 v167, v167, v164
	v_bfe_u32 v164, v164, 2, 5
	s_delay_alu instid0(VALU_DEP_2) | instskip(NEXT) | instid1(VALU_DEP_2)
	v_and_b32_e32 v167, 3, v167
	v_cmp_eq_u32_e32 vcc_lo, 0, v164
	s_delay_alu instid0(VALU_DEP_2) | instskip(NEXT) | instid1(VALU_DEP_1)
	v_dual_cndmask_b32 v164, v164, v166 :: v_dual_cndmask_b32 v165, v165, v167
	v_lshl_add_u32 v164, v164, 23, 0x37800000
	s_delay_alu instid0(VALU_DEP_2) | instskip(NEXT) | instid1(VALU_DEP_1)
	v_lshlrev_b32_e32 v165, 21, v165
	v_or3_b32 v164, v163, v164, v165
.LBB4_3697:                             ;   in Loop: Header=BB4_3280 Depth=4
	s_or_b32 exec_lo, exec_lo, s36
	s_delay_alu instid0(VALU_DEP_1) | instskip(NEXT) | instid1(VALU_DEP_1)
	v_add_f32_e32 v163, v149, v164
	v_and_b32_e32 v149, 0x7f800000, v163
	s_delay_alu instid0(VALU_DEP_1)
	v_cmp_ne_u32_e32 vcc_lo, 0x7f800000, v149
	v_mov_b32_e32 v149, 0x8000
	s_and_saveexec_b32 s36, vcc_lo
	s_cbranch_execz .LBB4_3705
; %bb.3698:                             ;   in Loop: Header=BB4_3280 Depth=4
	v_mov_b32_e32 v149, 0
	s_mov_b32 s37, exec_lo
	v_cmpx_ne_u32_e32 0, v163
	s_cbranch_execz .LBB4_3704
; %bb.3699:                             ;   in Loop: Header=BB4_3280 Depth=4
	v_bfe_u32 v149, v163, 23, 8
	s_delay_alu instid0(VALU_DEP_1) | instskip(SKIP_1) | instid1(VALU_DEP_2)
	v_sub_nc_u32_e32 v165, 0x70, v149
	v_cmp_gt_u32_e32 vcc_lo, 0x71, v149
	v_dual_cndmask_b32 v165, 0, v165 :: v_dual_and_b32 v164, 0x7fffff, v163
	s_delay_alu instid0(VALU_DEP_1) | instskip(SKIP_2) | instid1(VALU_DEP_4)
	v_or_b32_e32 v166, 0x800000, v164
	v_cmp_eq_u32_e32 vcc_lo, 0, v149
	v_add_nc_u32_e32 v149, 0xffffff91, v149
	v_cndmask_b32_e64 v165, v165, 0x6f, vcc_lo
	s_delay_alu instid0(VALU_DEP_4) | instskip(NEXT) | instid1(VALU_DEP_3)
	v_cndmask_b32_e32 v164, v166, v164, vcc_lo
	v_cndmask_b32_e64 v149, v149, 0xffffff92, vcc_lo
	s_delay_alu instid0(VALU_DEP_3) | instskip(NEXT) | instid1(VALU_DEP_3)
	v_lshl_add_u32 v166, 0x200000, v165, -1
	v_lshrrev_b32_e32 v167, v165, v164
	v_lshlrev_b32_e64 v177, v165, 0x100000
	s_delay_alu instid0(VALU_DEP_4) | instskip(NEXT) | instid1(VALU_DEP_4)
	v_add_nc_u32_e32 v165, v165, v149
	v_and_b32_e32 v164, v166, v164
	s_delay_alu instid0(VALU_DEP_4) | instskip(NEXT) | instid1(VALU_DEP_2)
	v_bfe_u32 v176, v167, 21, 1
	v_cmp_eq_u32_e64 s14, v164, v177
	s_delay_alu instid0(VALU_DEP_2) | instskip(NEXT) | instid1(VALU_DEP_1)
	v_add_nc_u32_e32 v166, -1, v176
	v_cndmask_b32_e64 v164, 0, v166, s14
	v_lshrrev_b32_e32 v166, 23, v167
	s_mov_b32 s14, exec_lo
	s_delay_alu instid0(VALU_DEP_2) | instskip(NEXT) | instid1(VALU_DEP_2)
	v_add_nc_u32_e32 v164, v164, v167
	v_xor_b32_e32 v166, 1, v166
	s_delay_alu instid0(VALU_DEP_2) | instskip(NEXT) | instid1(VALU_DEP_1)
	v_and_b32_e32 v149, 0x1fffff, v164
	v_add_nc_u32_e32 v164, v149, v167
                                        ; implicit-def: $vgpr149
	s_delay_alu instid0(VALU_DEP_3)
	v_cmpx_ne_u32_e64 v165, v166
	s_xor_b32 s14, exec_lo, s14
; %bb.3700:                             ;   in Loop: Header=BB4_3280 Depth=4
	s_delay_alu instid0(VALU_DEP_2) | instskip(SKIP_2) | instid1(VALU_DEP_2)
	v_cmp_lt_u32_e32 vcc_lo, 0xffffff, v164
	v_sub_nc_u32_e32 v149, v165, v166
	v_cndmask_b32_e64 v165, 0, 1, vcc_lo
	v_add_co_ci_u32_e32 v149, vcc_lo, 0, v149, vcc_lo
	s_delay_alu instid0(VALU_DEP_2)
	v_lshrrev_b32_e32 v164, v165, v164
; %bb.3701:                             ;   in Loop: Header=BB4_3280 Depth=4
	s_and_not1_saveexec_b32 s14, s14
; %bb.3702:                             ;   in Loop: Header=BB4_3280 Depth=4
	s_delay_alu instid0(VALU_DEP_1)
	v_bfe_u32 v149, v164, 23, 1
; %bb.3703:                             ;   in Loop: Header=BB4_3280 Depth=4
	s_or_b32 exec_lo, exec_lo, s14
	v_lshrrev_b32_e32 v164, 21, v164
	s_delay_alu instid0(VALU_DEP_2) | instskip(SKIP_2) | instid1(VALU_DEP_2)
	v_cmp_gt_i32_e32 vcc_lo, 32, v149
	v_min_i32_e32 v165, 31, v149
	v_lshrrev_b32_e32 v163, 24, v163
	v_dual_cndmask_b32 v164, 3, v164 :: v_dual_lshlrev_b32 v165, 2, v165
	s_delay_alu instid0(VALU_DEP_2) | instskip(NEXT) | instid1(VALU_DEP_2)
	v_and_b32_e32 v163, 0x80, v163
	v_or_b32_e32 v149, v149, v164
	s_delay_alu instid0(VALU_DEP_3) | instskip(NEXT) | instid1(VALU_DEP_2)
	v_and_b32_e32 v165, 0xfc, v165
	v_cmp_ne_u32_e32 vcc_lo, 0, v149
	v_and_b32_e32 v166, 3, v164
	s_delay_alu instid0(VALU_DEP_1) | instskip(NEXT) | instid1(VALU_DEP_1)
	v_or3_b32 v163, v163, v165, v166
	v_lshlrev_b32_e32 v163, 8, v163
	s_delay_alu instid0(VALU_DEP_1)
	v_cndmask_b32_e32 v149, 0, v163, vcc_lo
.LBB4_3704:                             ;   in Loop: Header=BB4_3280 Depth=4
	s_or_b32 exec_lo, exec_lo, s37
.LBB4_3705:                             ;   in Loop: Header=BB4_3280 Depth=4
	s_delay_alu instid0(SALU_CYCLE_1) | instskip(SKIP_3) | instid1(VALU_DEP_1)
	s_or_b32 exec_lo, exec_lo, s36
	v_or_b32_e32 v146, v146, v134
	s_mov_b32 s14, 0
	s_mov_b32 s37, exec_lo
                                        ; implicit-def: $sgpr36
	v_and_b32_e32 v163, 0xff, v146
	s_delay_alu instid0(VALU_DEP_1)
	v_cmpx_lt_i16_e64 0x7f, v163
	s_xor_b32 s37, exec_lo, s37
	s_cbranch_execnz .LBB4_3911
; %bb.3706:                             ;   in Loop: Header=BB4_3280 Depth=4
	s_or_saveexec_b32 s37, s37
	v_mov_b32_e32 v134, s36
	s_xor_b32 exec_lo, exec_lo, s37
	s_cbranch_execnz .LBB4_3914
.LBB4_3707:                             ;   in Loop: Header=BB4_3280 Depth=4
	s_or_b32 exec_lo, exec_lo, s37
	v_lshl_or_b32 v144, v146, 16, v144
	s_and_saveexec_b32 s36, s14
	s_cbranch_execz .LBB4_3709
.LBB4_3708:                             ;   in Loop: Header=BB4_3280 Depth=4
	s_delay_alu instid0(VALU_DEP_1) | instskip(SKIP_1) | instid1(VALU_DEP_2)
	v_bfe_u32 v134, v144, 16, 2
	v_lshrrev_b32_e32 v163, 16, v144
	v_clz_i32_u32_e32 v146, v134
	s_delay_alu instid0(VALU_DEP_1) | instskip(NEXT) | instid1(VALU_DEP_1)
	v_min_u32_e32 v146, 32, v146
	v_subrev_nc_u32_e32 v164, 29, v146
	v_sub_nc_u32_e32 v146, 30, v146
	s_delay_alu instid0(VALU_DEP_2) | instskip(SKIP_1) | instid1(VALU_DEP_1)
	v_lshlrev_b32_e32 v163, v164, v163
	v_bfe_u32 v164, v144, 18, 5
	v_cmp_eq_u32_e32 vcc_lo, 0, v164
	s_delay_alu instid0(VALU_DEP_3) | instskip(NEXT) | instid1(VALU_DEP_1)
	v_dual_cndmask_b32 v146, v164, v146 :: v_dual_and_b32 v163, 3, v163
	v_dual_cndmask_b32 v134, v134, v163 :: v_dual_lshlrev_b32 v165, 8, v144
	s_delay_alu instid0(VALU_DEP_2) | instskip(NEXT) | instid1(VALU_DEP_2)
	v_lshl_add_u32 v146, v146, 23, 0x37800000
	v_and_b32_e32 v163, 0x80000000, v165
	s_delay_alu instid0(VALU_DEP_3) | instskip(NEXT) | instid1(VALU_DEP_1)
	v_lshlrev_b32_e32 v134, 21, v134
	v_or3_b32 v134, v163, v146, v134
.LBB4_3709:                             ;   in Loop: Header=BB4_3280 Depth=4
	s_or_b32 exec_lo, exec_lo, s36
	v_lshrrev_b32_e32 v146, 16, v11
	s_mov_b32 s14, 0
	s_mov_b32 s37, exec_lo
                                        ; implicit-def: $sgpr36
	s_delay_alu instid0(VALU_DEP_1) | instskip(NEXT) | instid1(VALU_DEP_1)
	v_and_b32_e32 v164, 0xff, v146
	v_cmpx_lt_i16_e64 0x7f, v164
	s_xor_b32 s37, exec_lo, s37
	s_cbranch_execnz .LBB4_3915
; %bb.3710:                             ;   in Loop: Header=BB4_3280 Depth=4
	s_or_saveexec_b32 s37, s37
	v_mov_b32_e32 v163, s36
	s_xor_b32 exec_lo, exec_lo, s37
	s_cbranch_execnz .LBB4_3918
.LBB4_3711:                             ;   in Loop: Header=BB4_3280 Depth=4
	s_or_b32 exec_lo, exec_lo, s37
	s_and_saveexec_b32 s36, s14
	s_cbranch_execz .LBB4_3713
.LBB4_3712:                             ;   in Loop: Header=BB4_3280 Depth=4
	v_bfe_u32 v163, v11, 16, 2
	v_lshlrev_b32_e32 v166, 8, v11
	s_delay_alu instid0(VALU_DEP_2) | instskip(NEXT) | instid1(VALU_DEP_1)
	v_clz_i32_u32_e32 v164, v163
	v_min_u32_e32 v164, 32, v164
	s_delay_alu instid0(VALU_DEP_1) | instskip(SKIP_1) | instid1(VALU_DEP_2)
	v_subrev_nc_u32_e32 v165, 29, v164
	v_sub_nc_u32_e32 v164, 30, v164
	v_lshlrev_b32_e32 v146, v165, v146
	v_bfe_u32 v165, v11, 18, 5
	s_delay_alu instid0(VALU_DEP_2) | instskip(NEXT) | instid1(VALU_DEP_2)
	v_and_b32_e32 v146, 3, v146
	v_cmp_eq_u32_e32 vcc_lo, 0, v165
	v_cndmask_b32_e32 v164, v165, v164, vcc_lo
	s_delay_alu instid0(VALU_DEP_3) | instskip(SKIP_1) | instid1(VALU_DEP_3)
	v_cndmask_b32_e32 v146, v163, v146, vcc_lo
	v_and_b32_e32 v163, 0x80000000, v166
	v_lshl_add_u32 v164, v164, 23, 0x37800000
	s_delay_alu instid0(VALU_DEP_3) | instskip(NEXT) | instid1(VALU_DEP_1)
	v_lshlrev_b32_e32 v146, 21, v146
	v_or3_b32 v163, v163, v164, v146
.LBB4_3713:                             ;   in Loop: Header=BB4_3280 Depth=4
	s_or_b32 exec_lo, exec_lo, s36
	s_delay_alu instid0(VALU_DEP_1) | instskip(NEXT) | instid1(VALU_DEP_1)
	v_add_f32_e32 v146, v134, v163
	v_and_b32_e32 v134, 0x7f800000, v146
	s_delay_alu instid0(VALU_DEP_1)
	v_cmp_ne_u32_e32 vcc_lo, 0x7f800000, v134
	v_mov_b32_e32 v134, 0x80
	s_and_saveexec_b32 s36, vcc_lo
	s_cbranch_execz .LBB4_3721
; %bb.3714:                             ;   in Loop: Header=BB4_3280 Depth=4
	v_mov_b32_e32 v134, 0
	s_mov_b32 s37, exec_lo
	v_cmpx_ne_u32_e32 0, v146
	s_cbranch_execz .LBB4_3720
; %bb.3715:                             ;   in Loop: Header=BB4_3280 Depth=4
	v_bfe_u32 v134, v146, 23, 8
	s_delay_alu instid0(VALU_DEP_1) | instskip(SKIP_1) | instid1(VALU_DEP_2)
	v_sub_nc_u32_e32 v164, 0x70, v134
	v_cmp_gt_u32_e32 vcc_lo, 0x71, v134
	v_dual_cndmask_b32 v164, 0, v164 :: v_dual_and_b32 v163, 0x7fffff, v146
	s_delay_alu instid0(VALU_DEP_1) | instskip(SKIP_2) | instid1(VALU_DEP_4)
	v_or_b32_e32 v165, 0x800000, v163
	v_cmp_eq_u32_e32 vcc_lo, 0, v134
	v_add_nc_u32_e32 v134, 0xffffff91, v134
	v_cndmask_b32_e64 v164, v164, 0x6f, vcc_lo
	s_delay_alu instid0(VALU_DEP_4) | instskip(NEXT) | instid1(VALU_DEP_3)
	v_cndmask_b32_e32 v163, v165, v163, vcc_lo
	v_cndmask_b32_e64 v134, v134, 0xffffff92, vcc_lo
	s_delay_alu instid0(VALU_DEP_3) | instskip(NEXT) | instid1(VALU_DEP_3)
	v_lshl_add_u32 v165, 0x200000, v164, -1
	v_lshrrev_b32_e32 v166, v164, v163
	v_lshlrev_b32_e64 v176, v164, 0x100000
	s_delay_alu instid0(VALU_DEP_4) | instskip(NEXT) | instid1(VALU_DEP_4)
	v_add_nc_u32_e32 v164, v164, v134
	v_and_b32_e32 v163, v165, v163
	s_delay_alu instid0(VALU_DEP_4) | instskip(NEXT) | instid1(VALU_DEP_2)
	v_bfe_u32 v167, v166, 21, 1
	v_cmp_eq_u32_e64 s14, v163, v176
	s_delay_alu instid0(VALU_DEP_2) | instskip(NEXT) | instid1(VALU_DEP_1)
	v_add_nc_u32_e32 v165, -1, v167
	v_cndmask_b32_e64 v163, 0, v165, s14
	v_lshrrev_b32_e32 v165, 23, v166
	s_mov_b32 s14, exec_lo
	s_delay_alu instid0(VALU_DEP_2) | instskip(NEXT) | instid1(VALU_DEP_2)
	v_add_nc_u32_e32 v163, v163, v166
	v_xor_b32_e32 v165, 1, v165
	s_delay_alu instid0(VALU_DEP_2) | instskip(NEXT) | instid1(VALU_DEP_1)
	v_and_b32_e32 v134, 0x1fffff, v163
	v_add_nc_u32_e32 v163, v134, v166
                                        ; implicit-def: $vgpr134
	s_delay_alu instid0(VALU_DEP_3)
	v_cmpx_ne_u32_e64 v164, v165
	s_xor_b32 s14, exec_lo, s14
; %bb.3716:                             ;   in Loop: Header=BB4_3280 Depth=4
	s_delay_alu instid0(VALU_DEP_2) | instskip(SKIP_2) | instid1(VALU_DEP_2)
	v_cmp_lt_u32_e32 vcc_lo, 0xffffff, v163
	v_sub_nc_u32_e32 v134, v164, v165
	v_cndmask_b32_e64 v164, 0, 1, vcc_lo
	v_add_co_ci_u32_e32 v134, vcc_lo, 0, v134, vcc_lo
	s_delay_alu instid0(VALU_DEP_2)
	v_lshrrev_b32_e32 v163, v164, v163
; %bb.3717:                             ;   in Loop: Header=BB4_3280 Depth=4
	s_and_not1_saveexec_b32 s14, s14
; %bb.3718:                             ;   in Loop: Header=BB4_3280 Depth=4
	s_delay_alu instid0(VALU_DEP_1)
	v_bfe_u32 v134, v163, 23, 1
; %bb.3719:                             ;   in Loop: Header=BB4_3280 Depth=4
	s_or_b32 exec_lo, exec_lo, s14
	v_lshrrev_b32_e32 v163, 21, v163
	s_delay_alu instid0(VALU_DEP_2) | instskip(SKIP_2) | instid1(VALU_DEP_2)
	v_cmp_gt_i32_e32 vcc_lo, 32, v134
	v_min_i32_e32 v164, 31, v134
	v_lshrrev_b32_e32 v146, 24, v146
	v_dual_cndmask_b32 v163, 3, v163 :: v_dual_lshlrev_b32 v164, 2, v164
	s_delay_alu instid0(VALU_DEP_2) | instskip(NEXT) | instid1(VALU_DEP_2)
	v_and_b32_e32 v146, 0x80, v146
	v_or_b32_e32 v134, v134, v163
	s_delay_alu instid0(VALU_DEP_3) | instskip(NEXT) | instid1(VALU_DEP_2)
	v_and_b32_e32 v164, 0xfc, v164
	v_cmp_ne_u32_e32 vcc_lo, 0, v134
	v_and_b32_e32 v165, 3, v163
	s_delay_alu instid0(VALU_DEP_1) | instskip(NEXT) | instid1(VALU_DEP_1)
	v_or3_b32 v146, v164, v146, v165
	v_cndmask_b32_e32 v134, 0, v146, vcc_lo
.LBB4_3720:                             ;   in Loop: Header=BB4_3280 Depth=4
	s_or_b32 exec_lo, exec_lo, s37
.LBB4_3721:                             ;   in Loop: Header=BB4_3280 Depth=4
	s_delay_alu instid0(SALU_CYCLE_1) | instskip(SKIP_3) | instid1(VALU_DEP_1)
	s_or_b32 exec_lo, exec_lo, s36
	v_lshrrev_b32_e32 v163, 24, v144
	s_mov_b32 s14, 0
	s_mov_b32 s37, exec_lo
                                        ; implicit-def: $sgpr36
	v_cmpx_lt_i16_e64 0x7f, v163
	s_xor_b32 s37, exec_lo, s37
	s_cbranch_execnz .LBB4_3919
; %bb.3722:                             ;   in Loop: Header=BB4_3280 Depth=4
	s_or_saveexec_b32 s37, s37
	v_mov_b32_e32 v146, s36
	s_xor_b32 exec_lo, exec_lo, s37
	s_cbranch_execnz .LBB4_3922
.LBB4_3723:                             ;   in Loop: Header=BB4_3280 Depth=4
	s_or_b32 exec_lo, exec_lo, s37
	s_and_saveexec_b32 s36, s14
	s_cbranch_execz .LBB4_3725
.LBB4_3724:                             ;   in Loop: Header=BB4_3280 Depth=4
	v_bfe_u32 v146, v144, 24, 2
	s_delay_alu instid0(VALU_DEP_1) | instskip(NEXT) | instid1(VALU_DEP_1)
	v_clz_i32_u32_e32 v164, v146
	v_min_u32_e32 v164, 32, v164
	s_delay_alu instid0(VALU_DEP_1) | instskip(SKIP_1) | instid1(VALU_DEP_2)
	v_subrev_nc_u32_e32 v165, 29, v164
	v_sub_nc_u32_e32 v164, 30, v164
	v_lshlrev_b32_e32 v163, v165, v163
	v_bfe_u32 v165, v144, 26, 5
	v_and_b32_e32 v144, 0x80000000, v144
	s_delay_alu instid0(VALU_DEP_2) | instskip(NEXT) | instid1(VALU_DEP_4)
	v_cmp_eq_u32_e32 vcc_lo, 0, v165
	v_dual_cndmask_b32 v164, v165, v164 :: v_dual_and_b32 v163, 3, v163
	s_delay_alu instid0(VALU_DEP_1) | instskip(NEXT) | instid1(VALU_DEP_2)
	v_cndmask_b32_e32 v146, v146, v163, vcc_lo
	v_lshl_add_u32 v163, v164, 23, 0x37800000
	s_delay_alu instid0(VALU_DEP_2) | instskip(NEXT) | instid1(VALU_DEP_1)
	v_lshlrev_b32_e32 v146, 21, v146
	v_or3_b32 v146, v144, v163, v146
.LBB4_3725:                             ;   in Loop: Header=BB4_3280 Depth=4
	s_or_b32 exec_lo, exec_lo, s36
	v_lshrrev_b32_e32 v144, 24, v11
	s_mov_b32 s14, 0
	s_mov_b32 s37, exec_lo
                                        ; implicit-def: $sgpr36
	s_delay_alu instid0(VALU_DEP_1)
	v_cmpx_lt_i16_e64 0x7f, v144
	s_xor_b32 s37, exec_lo, s37
	s_cbranch_execnz .LBB4_3923
; %bb.3726:                             ;   in Loop: Header=BB4_3280 Depth=4
	s_or_saveexec_b32 s37, s37
	v_mov_b32_e32 v163, s36
	s_xor_b32 exec_lo, exec_lo, s37
	s_cbranch_execnz .LBB4_3926
.LBB4_3727:                             ;   in Loop: Header=BB4_3280 Depth=4
	s_or_b32 exec_lo, exec_lo, s37
	s_and_saveexec_b32 s36, s14
	s_cbranch_execz .LBB4_3729
.LBB4_3728:                             ;   in Loop: Header=BB4_3280 Depth=4
	v_bfe_u32 v163, v11, 24, 2
	s_delay_alu instid0(VALU_DEP_1) | instskip(NEXT) | instid1(VALU_DEP_1)
	v_clz_i32_u32_e32 v164, v163
	v_min_u32_e32 v164, 32, v164
	s_delay_alu instid0(VALU_DEP_1) | instskip(SKIP_1) | instid1(VALU_DEP_2)
	v_subrev_nc_u32_e32 v165, 29, v164
	v_sub_nc_u32_e32 v164, 30, v164
	v_lshlrev_b32_e32 v144, v165, v144
	v_bfe_u32 v165, v11, 26, 5
	v_and_b32_e32 v11, 0x80000000, v11
	s_delay_alu instid0(VALU_DEP_3) | instskip(NEXT) | instid1(VALU_DEP_3)
	v_and_b32_e32 v144, 3, v144
	v_cmp_eq_u32_e32 vcc_lo, 0, v165
	v_cndmask_b32_e32 v164, v165, v164, vcc_lo
	s_delay_alu instid0(VALU_DEP_3) | instskip(NEXT) | instid1(VALU_DEP_2)
	v_cndmask_b32_e32 v144, v163, v144, vcc_lo
	v_lshl_add_u32 v163, v164, 23, 0x37800000
	s_delay_alu instid0(VALU_DEP_2) | instskip(NEXT) | instid1(VALU_DEP_1)
	v_lshlrev_b32_e32 v144, 21, v144
	v_or3_b32 v163, v11, v163, v144
.LBB4_3729:                             ;   in Loop: Header=BB4_3280 Depth=4
	s_or_b32 exec_lo, exec_lo, s36
	s_delay_alu instid0(VALU_DEP_1) | instskip(NEXT) | instid1(VALU_DEP_1)
	v_add_f32_e32 v11, v146, v163
	v_and_b32_e32 v144, 0x7f800000, v11
	s_delay_alu instid0(VALU_DEP_1)
	v_cmp_ne_u32_e32 vcc_lo, 0x7f800000, v144
	v_mov_b32_e32 v144, 0x8000
	s_and_saveexec_b32 s36, vcc_lo
	s_cbranch_execz .LBB4_3279
; %bb.3730:                             ;   in Loop: Header=BB4_3280 Depth=4
	v_mov_b32_e32 v144, 0
	s_mov_b32 s37, exec_lo
	v_cmpx_ne_u32_e32 0, v11
	s_cbranch_execz .LBB4_3278
; %bb.3731:                             ;   in Loop: Header=BB4_3280 Depth=4
	v_bfe_u32 v144, v11, 23, 8
	v_and_b32_e32 v146, 0x7fffff, v11
	s_delay_alu instid0(VALU_DEP_2) | instskip(SKIP_1) | instid1(VALU_DEP_3)
	v_sub_nc_u32_e32 v163, 0x70, v144
	v_cmp_gt_u32_e32 vcc_lo, 0x71, v144
	v_or_b32_e32 v164, 0x800000, v146
	s_delay_alu instid0(VALU_DEP_3) | instskip(SKIP_2) | instid1(VALU_DEP_4)
	v_cndmask_b32_e32 v163, 0, v163, vcc_lo
	v_cmp_eq_u32_e32 vcc_lo, 0, v144
	v_add_nc_u32_e32 v144, 0xffffff91, v144
	v_cndmask_b32_e32 v146, v164, v146, vcc_lo
	s_delay_alu instid0(VALU_DEP_4) | instskip(NEXT) | instid1(VALU_DEP_3)
	v_cndmask_b32_e64 v163, v163, 0x6f, vcc_lo
	v_cndmask_b32_e64 v144, v144, 0xffffff92, vcc_lo
	s_delay_alu instid0(VALU_DEP_2) | instskip(SKIP_2) | instid1(VALU_DEP_4)
	v_lshrrev_b32_e32 v165, v163, v146
	v_lshl_add_u32 v164, 0x200000, v163, -1
	v_lshlrev_b32_e64 v167, v163, 0x100000
	v_add_nc_u32_e32 v163, v163, v144
	s_delay_alu instid0(VALU_DEP_4) | instskip(NEXT) | instid1(VALU_DEP_4)
	v_bfe_u32 v166, v165, 21, 1
	v_and_b32_e32 v146, v164, v146
	s_delay_alu instid0(VALU_DEP_2) | instskip(NEXT) | instid1(VALU_DEP_2)
	v_add_nc_u32_e32 v164, -1, v166
	v_cmp_eq_u32_e64 s14, v146, v167
	s_delay_alu instid0(VALU_DEP_1) | instskip(SKIP_2) | instid1(VALU_DEP_2)
	v_cndmask_b32_e64 v146, 0, v164, s14
	v_lshrrev_b32_e32 v164, 23, v165
	s_mov_b32 s14, exec_lo
	v_add_nc_u32_e32 v146, v146, v165
	s_delay_alu instid0(VALU_DEP_2) | instskip(NEXT) | instid1(VALU_DEP_2)
	v_xor_b32_e32 v164, 1, v164
	v_and_b32_e32 v144, 0x1fffff, v146
	s_delay_alu instid0(VALU_DEP_1) | instskip(NEXT) | instid1(VALU_DEP_3)
	v_add_nc_u32_e32 v146, v144, v165
                                        ; implicit-def: $vgpr144
	v_cmpx_ne_u32_e64 v163, v164
	s_xor_b32 s14, exec_lo, s14
; %bb.3732:                             ;   in Loop: Header=BB4_3280 Depth=4
	s_delay_alu instid0(VALU_DEP_2) | instskip(SKIP_2) | instid1(VALU_DEP_2)
	v_cmp_lt_u32_e32 vcc_lo, 0xffffff, v146
	v_sub_nc_u32_e32 v144, v163, v164
	v_cndmask_b32_e64 v163, 0, 1, vcc_lo
	v_add_co_ci_u32_e32 v144, vcc_lo, 0, v144, vcc_lo
	s_delay_alu instid0(VALU_DEP_2)
	v_lshrrev_b32_e32 v146, v163, v146
; %bb.3733:                             ;   in Loop: Header=BB4_3280 Depth=4
	s_and_not1_saveexec_b32 s14, s14
	s_cbranch_execz .LBB4_3277
; %bb.3734:                             ;   in Loop: Header=BB4_3280 Depth=4
	s_delay_alu instid0(VALU_DEP_1)
	v_bfe_u32 v144, v146, 23, 1
	s_branch .LBB4_3277
.LBB4_3735:                             ;   in Loop: Header=BB4_3280 Depth=4
	s_mov_b32 s14, -1
	s_mov_b32 s39, exec_lo
                                        ; implicit-def: $sgpr37
	v_cmpx_eq_u16_e64 0x80, v134
; %bb.3736:                             ;   in Loop: Header=BB4_3280 Depth=4
	s_mov_b32 s37, 0x7f800001
	s_xor_b32 s14, exec_lo, -1
; %bb.3737:                             ;   in Loop: Header=BB4_3280 Depth=4
	s_or_b32 exec_lo, exec_lo, s39
	s_delay_alu instid0(SALU_CYCLE_1)
	s_and_b32 s14, s14, exec_lo
                                        ; implicit-def: $vgpr134
	s_or_saveexec_b32 s38, s38
	v_mov_b32_e32 v133, s37
	s_xor_b32 exec_lo, exec_lo, s38
	s_cbranch_execz .LBB4_3291
.LBB4_3738:                             ;   in Loop: Header=BB4_3280 Depth=4
	v_cmp_ne_u16_e64 vcc_lo, 0, v134
	v_mov_b32_e32 v133, 0
	s_and_not1_b32 s14, s14, exec_lo
	s_delay_alu instid0(VALU_DEP_2) | instskip(NEXT) | instid1(SALU_CYCLE_1)
	s_and_b32 vcc_lo, vcc_lo, exec_lo
	s_or_b32 s14, s14, vcc_lo
	s_or_b32 exec_lo, exec_lo, s38
	s_and_saveexec_b32 s37, s14
	s_cbranch_execnz .LBB4_3292
	s_branch .LBB4_3293
.LBB4_3739:                             ;   in Loop: Header=BB4_3280 Depth=4
	s_mov_b32 s14, -1
	s_mov_b32 s39, exec_lo
                                        ; implicit-def: $sgpr37
	v_cmpx_eq_u16_e64 0x80, v134
; %bb.3740:                             ;   in Loop: Header=BB4_3280 Depth=4
	s_mov_b32 s37, 0x7f800001
	s_xor_b32 s14, exec_lo, -1
; %bb.3741:                             ;   in Loop: Header=BB4_3280 Depth=4
	s_or_b32 exec_lo, exec_lo, s39
	s_delay_alu instid0(SALU_CYCLE_1)
	s_and_b32 s14, s14, exec_lo
	s_or_saveexec_b32 s38, s38
	v_mov_b32_e32 v135, s37
	s_xor_b32 exec_lo, exec_lo, s38
	s_cbranch_execz .LBB4_3303
.LBB4_3742:                             ;   in Loop: Header=BB4_3280 Depth=4
	v_cmp_ne_u16_e64 vcc_lo, 0, v134
	v_mov_b32_e32 v135, 0
	s_and_not1_b32 s14, s14, exec_lo
	s_delay_alu instid0(VALU_DEP_2) | instskip(NEXT) | instid1(SALU_CYCLE_1)
	s_and_b32 vcc_lo, vcc_lo, exec_lo
	s_or_b32 s14, s14, vcc_lo
	s_or_b32 exec_lo, exec_lo, s38
	s_and_saveexec_b32 s37, s14
	s_cbranch_execnz .LBB4_3304
	s_branch .LBB4_3305
.LBB4_3743:                             ;   in Loop: Header=BB4_3280 Depth=4
	s_mov_b32 s14, -1
	s_mov_b32 s39, exec_lo
                                        ; implicit-def: $sgpr37
	v_cmpx_eq_u16_e64 0x80, v144
; %bb.3744:                             ;   in Loop: Header=BB4_3280 Depth=4
	s_mov_b32 s37, 0x7f800001
	s_xor_b32 s14, exec_lo, -1
; %bb.3745:                             ;   in Loop: Header=BB4_3280 Depth=4
	s_or_b32 exec_lo, exec_lo, s39
	s_delay_alu instid0(SALU_CYCLE_1)
	s_and_b32 s14, s14, exec_lo
                                        ; implicit-def: $vgpr144
	s_or_saveexec_b32 s38, s38
	v_mov_b32_e32 v135, s37
	s_xor_b32 exec_lo, exec_lo, s38
	s_cbranch_execz .LBB4_3315
.LBB4_3746:                             ;   in Loop: Header=BB4_3280 Depth=4
	v_cmp_ne_u16_e64 vcc_lo, 0, v144
	v_mov_b32_e32 v135, 0
	s_and_not1_b32 s14, s14, exec_lo
	s_delay_alu instid0(VALU_DEP_2) | instskip(NEXT) | instid1(SALU_CYCLE_1)
	s_and_b32 vcc_lo, vcc_lo, exec_lo
	s_or_b32 s14, s14, vcc_lo
	s_or_b32 exec_lo, exec_lo, s38
	s_and_saveexec_b32 s37, s14
	s_cbranch_execnz .LBB4_3316
	s_branch .LBB4_3317
.LBB4_3747:                             ;   in Loop: Header=BB4_3280 Depth=4
	s_mov_b32 s14, -1
	s_mov_b32 s39, exec_lo
                                        ; implicit-def: $sgpr37
	v_cmpx_eq_u16_e64 0x80, v134
; %bb.3748:                             ;   in Loop: Header=BB4_3280 Depth=4
	s_mov_b32 s37, 0x7f800001
	s_xor_b32 s14, exec_lo, -1
; %bb.3749:                             ;   in Loop: Header=BB4_3280 Depth=4
	s_or_b32 exec_lo, exec_lo, s39
	s_delay_alu instid0(SALU_CYCLE_1)
	s_and_b32 s14, s14, exec_lo
	s_or_saveexec_b32 s38, s38
	v_mov_b32_e32 v135, s37
	s_xor_b32 exec_lo, exec_lo, s38
	s_cbranch_execz .LBB4_3327
.LBB4_3750:                             ;   in Loop: Header=BB4_3280 Depth=4
	v_cmp_ne_u16_e64 vcc_lo, 0, v134
	v_mov_b32_e32 v135, 0
	s_and_not1_b32 s14, s14, exec_lo
	s_delay_alu instid0(VALU_DEP_2) | instskip(NEXT) | instid1(SALU_CYCLE_1)
	s_and_b32 vcc_lo, vcc_lo, exec_lo
	s_or_b32 s14, s14, vcc_lo
	s_or_b32 exec_lo, exec_lo, s38
	s_and_saveexec_b32 s37, s14
	s_cbranch_execnz .LBB4_3328
	s_branch .LBB4_3329
.LBB4_3751:                             ;   in Loop: Header=BB4_3280 Depth=4
	s_mov_b32 s14, -1
	s_mov_b32 s39, exec_lo
                                        ; implicit-def: $sgpr37
	v_cmpx_eq_u16_e64 0x80, v134
; %bb.3752:                             ;   in Loop: Header=BB4_3280 Depth=4
	s_mov_b32 s37, 0x7f800001
	s_xor_b32 s14, exec_lo, -1
; %bb.3753:                             ;   in Loop: Header=BB4_3280 Depth=4
	s_or_b32 exec_lo, exec_lo, s39
	s_delay_alu instid0(SALU_CYCLE_1)
	s_and_b32 s14, s14, exec_lo
                                        ; implicit-def: $vgpr134
	s_or_saveexec_b32 s38, s38
	v_mov_b32_e32 v8, s37
	s_xor_b32 exec_lo, exec_lo, s38
	s_cbranch_execz .LBB4_3339
.LBB4_3754:                             ;   in Loop: Header=BB4_3280 Depth=4
	v_cmp_ne_u16_e64 vcc_lo, 0, v134
	v_mov_b32_e32 v8, 0
	s_and_not1_b32 s14, s14, exec_lo
	s_delay_alu instid0(VALU_DEP_2) | instskip(NEXT) | instid1(SALU_CYCLE_1)
	s_and_b32 vcc_lo, vcc_lo, exec_lo
	s_or_b32 s14, s14, vcc_lo
	s_or_b32 exec_lo, exec_lo, s38
	s_and_saveexec_b32 s37, s14
	s_cbranch_execnz .LBB4_3340
	s_branch .LBB4_3341
.LBB4_3755:                             ;   in Loop: Header=BB4_3280 Depth=4
	s_mov_b32 s14, -1
	s_mov_b32 s39, exec_lo
                                        ; implicit-def: $sgpr37
	v_cmpx_eq_u16_e32 0x80, v8
; %bb.3756:                             ;   in Loop: Header=BB4_3280 Depth=4
	s_mov_b32 s37, 0x7f800001
	s_xor_b32 s14, exec_lo, -1
; %bb.3757:                             ;   in Loop: Header=BB4_3280 Depth=4
	s_or_b32 exec_lo, exec_lo, s39
	s_delay_alu instid0(SALU_CYCLE_1)
	s_and_b32 s14, s14, exec_lo
	s_or_saveexec_b32 s38, s38
	v_mov_b32_e32 v134, s37
	s_xor_b32 exec_lo, exec_lo, s38
	s_cbranch_execz .LBB4_3351
.LBB4_3758:                             ;   in Loop: Header=BB4_3280 Depth=4
	v_cmp_ne_u16_e32 vcc_lo, 0, v8
	v_mov_b32_e32 v134, 0
	s_and_not1_b32 s14, s14, exec_lo
	s_and_b32 vcc_lo, vcc_lo, exec_lo
	s_delay_alu instid0(SALU_CYCLE_1)
	s_or_b32 s14, s14, vcc_lo
	s_or_b32 exec_lo, exec_lo, s38
	s_and_saveexec_b32 s37, s14
	s_cbranch_execnz .LBB4_3352
	s_branch .LBB4_3353
.LBB4_3759:                             ;   in Loop: Header=BB4_3280 Depth=4
	s_mov_b32 s14, -1
	s_mov_b32 s39, exec_lo
                                        ; implicit-def: $sgpr37
	v_cmpx_eq_u16_e64 0x80, v135
; %bb.3760:                             ;   in Loop: Header=BB4_3280 Depth=4
	s_mov_b32 s37, 0x7f800001
	s_xor_b32 s14, exec_lo, -1
; %bb.3761:                             ;   in Loop: Header=BB4_3280 Depth=4
	s_or_b32 exec_lo, exec_lo, s39
	s_delay_alu instid0(SALU_CYCLE_1)
	s_and_b32 s14, s14, exec_lo
                                        ; implicit-def: $vgpr135
	s_or_saveexec_b32 s38, s38
	v_mov_b32_e32 v134, s37
	s_xor_b32 exec_lo, exec_lo, s38
	s_cbranch_execz .LBB4_3363
.LBB4_3762:                             ;   in Loop: Header=BB4_3280 Depth=4
	v_cmp_ne_u16_e64 vcc_lo, 0, v135
	v_mov_b32_e32 v134, 0
	s_and_not1_b32 s14, s14, exec_lo
	s_delay_alu instid0(VALU_DEP_2) | instskip(NEXT) | instid1(SALU_CYCLE_1)
	s_and_b32 vcc_lo, vcc_lo, exec_lo
	s_or_b32 s14, s14, vcc_lo
	s_or_b32 exec_lo, exec_lo, s38
	s_and_saveexec_b32 s37, s14
	s_cbranch_execnz .LBB4_3364
	s_branch .LBB4_3365
.LBB4_3763:                             ;   in Loop: Header=BB4_3280 Depth=4
	s_mov_b32 s14, -1
	s_mov_b32 s39, exec_lo
                                        ; implicit-def: $sgpr37
	v_cmpx_eq_u16_e32 0x80, v8
; %bb.3764:                             ;   in Loop: Header=BB4_3280 Depth=4
	s_mov_b32 s37, 0x7f800001
	s_xor_b32 s14, exec_lo, -1
; %bb.3765:                             ;   in Loop: Header=BB4_3280 Depth=4
	s_or_b32 exec_lo, exec_lo, s39
	s_delay_alu instid0(SALU_CYCLE_1)
	s_and_b32 s14, s14, exec_lo
	s_or_saveexec_b32 s38, s38
	v_mov_b32_e32 v134, s37
	s_xor_b32 exec_lo, exec_lo, s38
	s_cbranch_execz .LBB4_3375
.LBB4_3766:                             ;   in Loop: Header=BB4_3280 Depth=4
	v_cmp_ne_u16_e32 vcc_lo, 0, v8
	v_mov_b32_e32 v134, 0
	s_and_not1_b32 s14, s14, exec_lo
	s_and_b32 vcc_lo, vcc_lo, exec_lo
	s_delay_alu instid0(SALU_CYCLE_1)
	s_or_b32 s14, s14, vcc_lo
	s_or_b32 exec_lo, exec_lo, s38
	s_and_saveexec_b32 s37, s14
	s_cbranch_execnz .LBB4_3376
	s_branch .LBB4_3377
.LBB4_3767:                             ;   in Loop: Header=BB4_3280 Depth=4
	s_mov_b32 s14, -1
	s_mov_b32 s39, exec_lo
                                        ; implicit-def: $sgpr37
	v_cmpx_eq_u16_e32 0x80, v9
; %bb.3768:                             ;   in Loop: Header=BB4_3280 Depth=4
	s_mov_b32 s37, 0x7f800001
	s_xor_b32 s14, exec_lo, -1
; %bb.3769:                             ;   in Loop: Header=BB4_3280 Depth=4
	s_or_b32 exec_lo, exec_lo, s39
	s_delay_alu instid0(SALU_CYCLE_1)
	s_and_b32 s14, s14, exec_lo
                                        ; implicit-def: $vgpr9
	s_or_saveexec_b32 s38, s38
	v_mov_b32_e32 v8, s37
	s_xor_b32 exec_lo, exec_lo, s38
	s_cbranch_execz .LBB4_3387
.LBB4_3770:                             ;   in Loop: Header=BB4_3280 Depth=4
	v_cmp_ne_u16_e32 vcc_lo, 0, v9
	v_mov_b32_e32 v8, 0
	s_and_not1_b32 s14, s14, exec_lo
	s_and_b32 vcc_lo, vcc_lo, exec_lo
	s_delay_alu instid0(SALU_CYCLE_1)
	s_or_b32 s14, s14, vcc_lo
	s_or_b32 exec_lo, exec_lo, s38
	s_and_saveexec_b32 s37, s14
	s_cbranch_execnz .LBB4_3388
	s_branch .LBB4_3389
.LBB4_3771:                             ;   in Loop: Header=BB4_3280 Depth=4
	s_mov_b32 s14, -1
	s_mov_b32 s39, exec_lo
                                        ; implicit-def: $sgpr37
	v_cmpx_eq_u16_e32 0x80, v8
; %bb.3772:                             ;   in Loop: Header=BB4_3280 Depth=4
	s_mov_b32 s37, 0x7f800001
	s_xor_b32 s14, exec_lo, -1
; %bb.3773:                             ;   in Loop: Header=BB4_3280 Depth=4
	s_or_b32 exec_lo, exec_lo, s39
	s_delay_alu instid0(SALU_CYCLE_1)
	s_and_b32 s14, s14, exec_lo
	s_or_saveexec_b32 s38, s38
	v_mov_b32_e32 v9, s37
	s_xor_b32 exec_lo, exec_lo, s38
	s_cbranch_execz .LBB4_3399
.LBB4_3774:                             ;   in Loop: Header=BB4_3280 Depth=4
	v_cmp_ne_u16_e32 vcc_lo, 0, v8
	v_mov_b32_e32 v9, 0
	s_and_not1_b32 s14, s14, exec_lo
	s_and_b32 vcc_lo, vcc_lo, exec_lo
	s_delay_alu instid0(SALU_CYCLE_1)
	s_or_b32 s14, s14, vcc_lo
	s_or_b32 exec_lo, exec_lo, s38
	s_and_saveexec_b32 s37, s14
	s_cbranch_execnz .LBB4_3400
	s_branch .LBB4_3401
.LBB4_3775:                             ;   in Loop: Header=BB4_3280 Depth=4
	s_mov_b32 s14, -1
	s_mov_b32 s39, exec_lo
                                        ; implicit-def: $sgpr37
	v_cmpx_eq_u16_e64 0x80, v134
; %bb.3776:                             ;   in Loop: Header=BB4_3280 Depth=4
	s_mov_b32 s37, 0x7f800001
	s_xor_b32 s14, exec_lo, -1
; %bb.3777:                             ;   in Loop: Header=BB4_3280 Depth=4
	s_or_b32 exec_lo, exec_lo, s39
	s_delay_alu instid0(SALU_CYCLE_1)
	s_and_b32 s14, s14, exec_lo
                                        ; implicit-def: $vgpr134
	s_or_saveexec_b32 s38, s38
	v_mov_b32_e32 v9, s37
	s_xor_b32 exec_lo, exec_lo, s38
	s_cbranch_execz .LBB4_3411
.LBB4_3778:                             ;   in Loop: Header=BB4_3280 Depth=4
	v_cmp_ne_u16_e64 vcc_lo, 0, v134
	v_mov_b32_e32 v9, 0
	s_and_not1_b32 s14, s14, exec_lo
	s_delay_alu instid0(VALU_DEP_2) | instskip(NEXT) | instid1(SALU_CYCLE_1)
	s_and_b32 vcc_lo, vcc_lo, exec_lo
	s_or_b32 s14, s14, vcc_lo
	s_or_b32 exec_lo, exec_lo, s38
	s_and_saveexec_b32 s37, s14
	s_cbranch_execnz .LBB4_3412
	s_branch .LBB4_3413
.LBB4_3779:                             ;   in Loop: Header=BB4_3280 Depth=4
	s_mov_b32 s14, -1
	s_mov_b32 s39, exec_lo
                                        ; implicit-def: $sgpr37
	v_cmpx_eq_u16_e32 0x80, v8
; %bb.3780:                             ;   in Loop: Header=BB4_3280 Depth=4
	s_mov_b32 s37, 0x7f800001
	s_xor_b32 s14, exec_lo, -1
; %bb.3781:                             ;   in Loop: Header=BB4_3280 Depth=4
	s_or_b32 exec_lo, exec_lo, s39
	s_delay_alu instid0(SALU_CYCLE_1)
	s_and_b32 s14, s14, exec_lo
	s_or_saveexec_b32 s38, s38
	v_mov_b32_e32 v9, s37
	s_xor_b32 exec_lo, exec_lo, s38
	s_cbranch_execz .LBB4_3423
.LBB4_3782:                             ;   in Loop: Header=BB4_3280 Depth=4
	v_cmp_ne_u16_e32 vcc_lo, 0, v8
	v_mov_b32_e32 v9, 0
	s_and_not1_b32 s14, s14, exec_lo
	s_and_b32 vcc_lo, vcc_lo, exec_lo
	s_delay_alu instid0(SALU_CYCLE_1)
	s_or_b32 s14, s14, vcc_lo
	s_or_b32 exec_lo, exec_lo, s38
	s_and_saveexec_b32 s37, s14
	s_cbranch_execnz .LBB4_3424
	s_branch .LBB4_3425
.LBB4_3783:                             ;   in Loop: Header=BB4_3280 Depth=4
	s_mov_b32 s14, -1
	s_mov_b32 s39, exec_lo
                                        ; implicit-def: $sgpr37
	v_cmpx_eq_u16_e32 0x80, v9
; %bb.3784:                             ;   in Loop: Header=BB4_3280 Depth=4
	s_mov_b32 s37, 0x7f800001
	s_xor_b32 s14, exec_lo, -1
; %bb.3785:                             ;   in Loop: Header=BB4_3280 Depth=4
	s_or_b32 exec_lo, exec_lo, s39
	s_delay_alu instid0(SALU_CYCLE_1)
	s_and_b32 s14, s14, exec_lo
                                        ; implicit-def: $vgpr9
	s_or_saveexec_b32 s38, s38
	v_mov_b32_e32 v8, s37
	s_xor_b32 exec_lo, exec_lo, s38
	s_cbranch_execz .LBB4_3435
.LBB4_3786:                             ;   in Loop: Header=BB4_3280 Depth=4
	v_cmp_ne_u16_e32 vcc_lo, 0, v9
	v_mov_b32_e32 v8, 0
	s_and_not1_b32 s14, s14, exec_lo
	s_and_b32 vcc_lo, vcc_lo, exec_lo
	s_delay_alu instid0(SALU_CYCLE_1)
	s_or_b32 s14, s14, vcc_lo
	s_or_b32 exec_lo, exec_lo, s38
	s_and_saveexec_b32 s37, s14
	s_cbranch_execnz .LBB4_3436
	s_branch .LBB4_3437
.LBB4_3787:                             ;   in Loop: Header=BB4_3280 Depth=4
	s_mov_b32 s14, -1
	s_mov_b32 s39, exec_lo
                                        ; implicit-def: $sgpr37
	v_cmpx_eq_u16_e32 0x80, v8
; %bb.3788:                             ;   in Loop: Header=BB4_3280 Depth=4
	s_mov_b32 s37, 0x7f800001
	s_xor_b32 s14, exec_lo, -1
; %bb.3789:                             ;   in Loop: Header=BB4_3280 Depth=4
	s_or_b32 exec_lo, exec_lo, s39
	s_delay_alu instid0(SALU_CYCLE_1)
	s_and_b32 s14, s14, exec_lo
	s_or_saveexec_b32 s38, s38
	v_mov_b32_e32 v9, s37
	s_xor_b32 exec_lo, exec_lo, s38
	s_cbranch_execz .LBB4_3447
.LBB4_3790:                             ;   in Loop: Header=BB4_3280 Depth=4
	v_cmp_ne_u16_e32 vcc_lo, 0, v8
	v_mov_b32_e32 v9, 0
	s_and_not1_b32 s14, s14, exec_lo
	s_and_b32 vcc_lo, vcc_lo, exec_lo
	s_delay_alu instid0(SALU_CYCLE_1)
	s_or_b32 s14, s14, vcc_lo
	s_or_b32 exec_lo, exec_lo, s38
	s_and_saveexec_b32 s37, s14
	s_cbranch_execnz .LBB4_3448
	s_branch .LBB4_3449
.LBB4_3791:                             ;   in Loop: Header=BB4_3280 Depth=4
	s_mov_b32 s14, -1
	s_mov_b32 s39, exec_lo
                                        ; implicit-def: $sgpr37
	v_cmpx_eq_u16_e32 0x80, v10
; %bb.3792:                             ;   in Loop: Header=BB4_3280 Depth=4
	s_mov_b32 s37, 0x7f800001
	s_xor_b32 s14, exec_lo, -1
; %bb.3793:                             ;   in Loop: Header=BB4_3280 Depth=4
	s_or_b32 exec_lo, exec_lo, s39
	s_delay_alu instid0(SALU_CYCLE_1)
	s_and_b32 s14, s14, exec_lo
                                        ; implicit-def: $vgpr10
	s_or_saveexec_b32 s38, s38
	v_mov_b32_e32 v9, s37
	s_xor_b32 exec_lo, exec_lo, s38
	s_cbranch_execz .LBB4_3459
.LBB4_3794:                             ;   in Loop: Header=BB4_3280 Depth=4
	v_cmp_ne_u16_e32 vcc_lo, 0, v10
	v_mov_b32_e32 v9, 0
	s_and_not1_b32 s14, s14, exec_lo
	s_and_b32 vcc_lo, vcc_lo, exec_lo
	s_delay_alu instid0(SALU_CYCLE_1)
	s_or_b32 s14, s14, vcc_lo
	s_or_b32 exec_lo, exec_lo, s38
	s_and_saveexec_b32 s37, s14
	s_cbranch_execnz .LBB4_3460
	s_branch .LBB4_3461
.LBB4_3795:                             ;   in Loop: Header=BB4_3280 Depth=4
	s_mov_b32 s14, -1
	s_mov_b32 s39, exec_lo
                                        ; implicit-def: $sgpr37
	v_cmpx_eq_u16_e32 0x80, v8
; %bb.3796:                             ;   in Loop: Header=BB4_3280 Depth=4
	s_mov_b32 s37, 0x7f800001
	s_xor_b32 s14, exec_lo, -1
; %bb.3797:                             ;   in Loop: Header=BB4_3280 Depth=4
	s_or_b32 exec_lo, exec_lo, s39
	s_delay_alu instid0(SALU_CYCLE_1)
	s_and_b32 s14, s14, exec_lo
	s_or_saveexec_b32 s38, s38
	v_mov_b32_e32 v9, s37
	s_xor_b32 exec_lo, exec_lo, s38
	s_cbranch_execz .LBB4_3471
.LBB4_3798:                             ;   in Loop: Header=BB4_3280 Depth=4
	v_cmp_ne_u16_e32 vcc_lo, 0, v8
	v_mov_b32_e32 v9, 0
	s_and_not1_b32 s14, s14, exec_lo
	s_and_b32 vcc_lo, vcc_lo, exec_lo
	s_delay_alu instid0(SALU_CYCLE_1)
	s_or_b32 s14, s14, vcc_lo
	s_or_b32 exec_lo, exec_lo, s38
	s_and_saveexec_b32 s37, s14
	s_cbranch_execnz .LBB4_3472
	s_branch .LBB4_3473
.LBB4_3799:                             ;   in Loop: Header=BB4_3280 Depth=4
	s_mov_b32 s14, -1
	s_mov_b32 s38, exec_lo
                                        ; implicit-def: $sgpr36
	v_cmpx_eq_u16_e64 0x80, v166
; %bb.3800:                             ;   in Loop: Header=BB4_3280 Depth=4
	s_mov_b32 s36, 0x7f800001
	s_xor_b32 s14, exec_lo, -1
; %bb.3801:                             ;   in Loop: Header=BB4_3280 Depth=4
	s_or_b32 exec_lo, exec_lo, s38
	s_delay_alu instid0(SALU_CYCLE_1)
	s_and_b32 s14, s14, exec_lo
                                        ; implicit-def: $vgpr166
	s_or_saveexec_b32 s37, s37
	v_mov_b32_e32 v165, s36
	s_xor_b32 exec_lo, exec_lo, s37
	s_cbranch_execz .LBB4_3483
.LBB4_3802:                             ;   in Loop: Header=BB4_3280 Depth=4
	v_cmp_ne_u16_e64 vcc_lo, 0, v166
	v_mov_b32_e32 v165, 0
	s_and_not1_b32 s14, s14, exec_lo
	s_delay_alu instid0(VALU_DEP_2) | instskip(NEXT) | instid1(SALU_CYCLE_1)
	s_and_b32 vcc_lo, vcc_lo, exec_lo
	s_or_b32 s14, s14, vcc_lo
	s_or_b32 exec_lo, exec_lo, s37
	s_and_saveexec_b32 s36, s14
	s_cbranch_execnz .LBB4_3484
	s_branch .LBB4_3485
.LBB4_3803:                             ;   in Loop: Header=BB4_3280 Depth=4
	s_mov_b32 s14, -1
	s_mov_b32 s38, exec_lo
                                        ; implicit-def: $sgpr36
	v_cmpx_eq_u16_e64 0x80, v166
; %bb.3804:                             ;   in Loop: Header=BB4_3280 Depth=4
	s_mov_b32 s36, 0x7f800001
	s_xor_b32 s14, exec_lo, -1
; %bb.3805:                             ;   in Loop: Header=BB4_3280 Depth=4
	s_or_b32 exec_lo, exec_lo, s38
	s_delay_alu instid0(SALU_CYCLE_1)
	s_and_b32 s14, s14, exec_lo
                                        ; implicit-def: $vgpr166
	s_or_saveexec_b32 s37, s37
	v_mov_b32_e32 v133, s36
	s_xor_b32 exec_lo, exec_lo, s37
	s_cbranch_execz .LBB4_3487
.LBB4_3806:                             ;   in Loop: Header=BB4_3280 Depth=4
	v_cmp_ne_u16_e64 vcc_lo, 0, v166
	v_mov_b32_e32 v133, 0
	s_and_not1_b32 s14, s14, exec_lo
	s_delay_alu instid0(VALU_DEP_2) | instskip(NEXT) | instid1(SALU_CYCLE_1)
	s_and_b32 vcc_lo, vcc_lo, exec_lo
	s_or_b32 s14, s14, vcc_lo
	s_or_b32 exec_lo, exec_lo, s37
	s_and_saveexec_b32 s36, s14
	s_cbranch_execnz .LBB4_3488
	s_branch .LBB4_3489
.LBB4_3807:                             ;   in Loop: Header=BB4_3280 Depth=4
	s_mov_b32 s14, -1
	s_mov_b32 s38, exec_lo
                                        ; implicit-def: $sgpr36
	v_cmpx_eq_u16_e64 0x80, v166
; %bb.3808:                             ;   in Loop: Header=BB4_3280 Depth=4
	s_mov_b32 s36, 0x7f800001
	s_xor_b32 s14, exec_lo, -1
; %bb.3809:                             ;   in Loop: Header=BB4_3280 Depth=4
	s_or_b32 exec_lo, exec_lo, s38
	s_delay_alu instid0(SALU_CYCLE_1)
	s_and_b32 s14, s14, exec_lo
                                        ; implicit-def: $vgpr166
	s_or_saveexec_b32 s37, s37
	v_mov_b32_e32 v165, s36
	s_xor_b32 exec_lo, exec_lo, s37
	s_cbranch_execz .LBB4_3499
.LBB4_3810:                             ;   in Loop: Header=BB4_3280 Depth=4
	v_cmp_ne_u16_e64 vcc_lo, 0, v166
	v_mov_b32_e32 v165, 0
	s_and_not1_b32 s14, s14, exec_lo
	s_delay_alu instid0(VALU_DEP_2) | instskip(NEXT) | instid1(SALU_CYCLE_1)
	s_and_b32 vcc_lo, vcc_lo, exec_lo
	s_or_b32 s14, s14, vcc_lo
	s_or_b32 exec_lo, exec_lo, s37
	s_and_saveexec_b32 s36, s14
	s_cbranch_execnz .LBB4_3500
	s_branch .LBB4_3501
.LBB4_3811:                             ;   in Loop: Header=BB4_3280 Depth=4
	s_mov_b32 s14, -1
	s_mov_b32 s38, exec_lo
                                        ; implicit-def: $sgpr36
	v_cmpx_eq_u16_e64 0x80, v145
; %bb.3812:                             ;   in Loop: Header=BB4_3280 Depth=4
	s_mov_b32 s36, 0x7f800001
	s_xor_b32 s14, exec_lo, -1
; %bb.3813:                             ;   in Loop: Header=BB4_3280 Depth=4
	s_or_b32 exec_lo, exec_lo, s38
	s_delay_alu instid0(SALU_CYCLE_1)
	s_and_b32 s14, s14, exec_lo
	s_or_saveexec_b32 s37, s37
	v_mov_b32_e32 v166, s36
	s_xor_b32 exec_lo, exec_lo, s37
	s_cbranch_execz .LBB4_3503
.LBB4_3814:                             ;   in Loop: Header=BB4_3280 Depth=4
	v_cmp_ne_u16_e64 vcc_lo, 0, v145
	v_mov_b32_e32 v166, 0
	s_and_not1_b32 s14, s14, exec_lo
	s_delay_alu instid0(VALU_DEP_2) | instskip(NEXT) | instid1(SALU_CYCLE_1)
	s_and_b32 vcc_lo, vcc_lo, exec_lo
	s_or_b32 s14, s14, vcc_lo
	s_or_b32 exec_lo, exec_lo, s37
	s_and_saveexec_b32 s36, s14
	s_cbranch_execnz .LBB4_3504
	s_branch .LBB4_3505
.LBB4_3815:                             ;   in Loop: Header=BB4_3280 Depth=4
	s_mov_b32 s14, -1
	s_mov_b32 s38, exec_lo
                                        ; implicit-def: $sgpr36
	v_cmpx_eq_u16_e64 0x80, v166
; %bb.3816:                             ;   in Loop: Header=BB4_3280 Depth=4
	s_mov_b32 s36, 0x7f800001
	s_xor_b32 s14, exec_lo, -1
; %bb.3817:                             ;   in Loop: Header=BB4_3280 Depth=4
	s_or_b32 exec_lo, exec_lo, s38
	s_delay_alu instid0(SALU_CYCLE_1)
	s_and_b32 s14, s14, exec_lo
                                        ; implicit-def: $vgpr166
	s_or_saveexec_b32 s37, s37
	v_mov_b32_e32 v165, s36
	s_xor_b32 exec_lo, exec_lo, s37
	s_cbranch_execz .LBB4_3515
.LBB4_3818:                             ;   in Loop: Header=BB4_3280 Depth=4
	v_cmp_ne_u16_e64 vcc_lo, 0, v166
	v_mov_b32_e32 v165, 0
	s_and_not1_b32 s14, s14, exec_lo
	s_delay_alu instid0(VALU_DEP_2) | instskip(NEXT) | instid1(SALU_CYCLE_1)
	s_and_b32 vcc_lo, vcc_lo, exec_lo
	s_or_b32 s14, s14, vcc_lo
	s_or_b32 exec_lo, exec_lo, s37
	s_and_saveexec_b32 s36, s14
	s_cbranch_execnz .LBB4_3516
	s_branch .LBB4_3517
.LBB4_3819:                             ;   in Loop: Header=BB4_3280 Depth=4
	s_mov_b32 s14, -1
	s_mov_b32 s38, exec_lo
                                        ; implicit-def: $sgpr36
	v_cmpx_eq_u16_e64 0x80, v167
; %bb.3820:                             ;   in Loop: Header=BB4_3280 Depth=4
	s_mov_b32 s36, 0x7f800001
	s_xor_b32 s14, exec_lo, -1
; %bb.3821:                             ;   in Loop: Header=BB4_3280 Depth=4
	s_or_b32 exec_lo, exec_lo, s38
	s_delay_alu instid0(SALU_CYCLE_1)
	s_and_b32 s14, s14, exec_lo
                                        ; implicit-def: $vgpr167
	s_or_saveexec_b32 s37, s37
	v_mov_b32_e32 v166, s36
	s_xor_b32 exec_lo, exec_lo, s37
	s_cbranch_execz .LBB4_3519
.LBB4_3822:                             ;   in Loop: Header=BB4_3280 Depth=4
	v_cmp_ne_u16_e64 vcc_lo, 0, v167
	v_mov_b32_e32 v166, 0
	s_and_not1_b32 s14, s14, exec_lo
	s_delay_alu instid0(VALU_DEP_2) | instskip(NEXT) | instid1(SALU_CYCLE_1)
	s_and_b32 vcc_lo, vcc_lo, exec_lo
	s_or_b32 s14, s14, vcc_lo
	s_or_b32 exec_lo, exec_lo, s37
	s_and_saveexec_b32 s36, s14
	s_cbranch_execnz .LBB4_3520
	s_branch .LBB4_3521
.LBB4_3823:                             ;   in Loop: Header=BB4_3280 Depth=4
	s_mov_b32 s14, -1
	s_mov_b32 s38, exec_lo
                                        ; implicit-def: $sgpr36
	v_cmpx_eq_u16_e64 0x80, v166
; %bb.3824:                             ;   in Loop: Header=BB4_3280 Depth=4
	s_mov_b32 s36, 0x7f800001
	s_xor_b32 s14, exec_lo, -1
; %bb.3825:                             ;   in Loop: Header=BB4_3280 Depth=4
	s_or_b32 exec_lo, exec_lo, s38
	s_delay_alu instid0(SALU_CYCLE_1)
	s_and_b32 s14, s14, exec_lo
	s_or_saveexec_b32 s37, s37
	v_mov_b32_e32 v165, s36
	s_xor_b32 exec_lo, exec_lo, s37
	s_cbranch_execz .LBB4_3531
.LBB4_3826:                             ;   in Loop: Header=BB4_3280 Depth=4
	v_cmp_ne_u16_e64 vcc_lo, 0, v166
	v_mov_b32_e32 v165, 0
	s_and_not1_b32 s14, s14, exec_lo
	s_delay_alu instid0(VALU_DEP_2) | instskip(NEXT) | instid1(SALU_CYCLE_1)
	s_and_b32 vcc_lo, vcc_lo, exec_lo
	s_or_b32 s14, s14, vcc_lo
	s_or_b32 exec_lo, exec_lo, s37
	s_and_saveexec_b32 s36, s14
	s_cbranch_execnz .LBB4_3532
	s_branch .LBB4_3533
.LBB4_3827:                             ;   in Loop: Header=BB4_3280 Depth=4
	s_mov_b32 s14, -1
	s_mov_b32 s38, exec_lo
                                        ; implicit-def: $sgpr36
	v_cmpx_eq_u16_e64 0x80, v162
; %bb.3828:                             ;   in Loop: Header=BB4_3280 Depth=4
	s_mov_b32 s36, 0x7f800001
	s_xor_b32 s14, exec_lo, -1
; %bb.3829:                             ;   in Loop: Header=BB4_3280 Depth=4
	s_or_b32 exec_lo, exec_lo, s38
	s_delay_alu instid0(SALU_CYCLE_1)
	s_and_b32 s14, s14, exec_lo
	s_or_saveexec_b32 s37, s37
	v_mov_b32_e32 v166, s36
	s_xor_b32 exec_lo, exec_lo, s37
	s_cbranch_execz .LBB4_3535
.LBB4_3830:                             ;   in Loop: Header=BB4_3280 Depth=4
	v_cmp_ne_u16_e64 vcc_lo, 0, v162
	v_mov_b32_e32 v166, 0
	s_and_not1_b32 s14, s14, exec_lo
	s_delay_alu instid0(VALU_DEP_2) | instskip(NEXT) | instid1(SALU_CYCLE_1)
	s_and_b32 vcc_lo, vcc_lo, exec_lo
	s_or_b32 s14, s14, vcc_lo
	s_or_b32 exec_lo, exec_lo, s37
	s_and_saveexec_b32 s36, s14
	s_cbranch_execnz .LBB4_3536
	s_branch .LBB4_3537
.LBB4_3831:                             ;   in Loop: Header=BB4_3280 Depth=4
	s_mov_b32 s14, -1
	s_mov_b32 s38, exec_lo
                                        ; implicit-def: $sgpr36
	v_cmpx_eq_u16_e64 0x80, v162
; %bb.3832:                             ;   in Loop: Header=BB4_3280 Depth=4
	s_mov_b32 s36, 0x7f800001
	s_xor_b32 s14, exec_lo, -1
; %bb.3833:                             ;   in Loop: Header=BB4_3280 Depth=4
	s_or_b32 exec_lo, exec_lo, s38
	s_delay_alu instid0(SALU_CYCLE_1)
	s_and_b32 s14, s14, exec_lo
                                        ; implicit-def: $vgpr162
	s_or_saveexec_b32 s37, s37
	v_mov_b32_e32 v161, s36
	s_xor_b32 exec_lo, exec_lo, s37
	s_cbranch_execz .LBB4_3547
.LBB4_3834:                             ;   in Loop: Header=BB4_3280 Depth=4
	v_cmp_ne_u16_e64 vcc_lo, 0, v162
	v_mov_b32_e32 v161, 0
	s_and_not1_b32 s14, s14, exec_lo
	s_delay_alu instid0(VALU_DEP_2) | instskip(NEXT) | instid1(SALU_CYCLE_1)
	s_and_b32 vcc_lo, vcc_lo, exec_lo
	s_or_b32 s14, s14, vcc_lo
	s_or_b32 exec_lo, exec_lo, s37
	s_and_saveexec_b32 s36, s14
	s_cbranch_execnz .LBB4_3548
	s_branch .LBB4_3549
.LBB4_3835:                             ;   in Loop: Header=BB4_3280 Depth=4
	s_mov_b32 s14, -1
	s_mov_b32 s38, exec_lo
                                        ; implicit-def: $sgpr36
	v_cmpx_eq_u16_e64 0x80, v165
; %bb.3836:                             ;   in Loop: Header=BB4_3280 Depth=4
	s_mov_b32 s36, 0x7f800001
	s_xor_b32 s14, exec_lo, -1
; %bb.3837:                             ;   in Loop: Header=BB4_3280 Depth=4
	s_or_b32 exec_lo, exec_lo, s38
	s_delay_alu instid0(SALU_CYCLE_1)
	s_and_b32 s14, s14, exec_lo
                                        ; implicit-def: $vgpr165
	s_or_saveexec_b32 s37, s37
	v_mov_b32_e32 v162, s36
	s_xor_b32 exec_lo, exec_lo, s37
	s_cbranch_execz .LBB4_3551
.LBB4_3838:                             ;   in Loop: Header=BB4_3280 Depth=4
	v_cmp_ne_u16_e64 vcc_lo, 0, v165
	v_mov_b32_e32 v162, 0
	s_and_not1_b32 s14, s14, exec_lo
	s_delay_alu instid0(VALU_DEP_2) | instskip(NEXT) | instid1(SALU_CYCLE_1)
	s_and_b32 vcc_lo, vcc_lo, exec_lo
	s_or_b32 s14, s14, vcc_lo
	s_or_b32 exec_lo, exec_lo, s37
	s_and_saveexec_b32 s36, s14
	s_cbranch_execnz .LBB4_3552
	s_branch .LBB4_3553
.LBB4_3839:                             ;   in Loop: Header=BB4_3280 Depth=4
	s_mov_b32 s14, -1
	s_mov_b32 s38, exec_lo
                                        ; implicit-def: $sgpr36
	v_cmpx_eq_u16_e64 0x80, v165
; %bb.3840:                             ;   in Loop: Header=BB4_3280 Depth=4
	s_mov_b32 s36, 0x7f800001
	s_xor_b32 s14, exec_lo, -1
; %bb.3841:                             ;   in Loop: Header=BB4_3280 Depth=4
	s_or_b32 exec_lo, exec_lo, s38
	s_delay_alu instid0(SALU_CYCLE_1)
	s_and_b32 s14, s14, exec_lo
	s_or_saveexec_b32 s37, s37
	v_mov_b32_e32 v162, s36
	s_xor_b32 exec_lo, exec_lo, s37
	s_cbranch_execz .LBB4_3563
.LBB4_3842:                             ;   in Loop: Header=BB4_3280 Depth=4
	v_cmp_ne_u16_e64 vcc_lo, 0, v165
	v_mov_b32_e32 v162, 0
	s_and_not1_b32 s14, s14, exec_lo
	s_delay_alu instid0(VALU_DEP_2) | instskip(NEXT) | instid1(SALU_CYCLE_1)
	s_and_b32 vcc_lo, vcc_lo, exec_lo
	s_or_b32 s14, s14, vcc_lo
	s_or_b32 exec_lo, exec_lo, s37
	s_and_saveexec_b32 s36, s14
	s_cbranch_execnz .LBB4_3564
	s_branch .LBB4_3565
.LBB4_3843:                             ;   in Loop: Header=BB4_3280 Depth=4
	s_mov_b32 s14, -1
	s_mov_b32 s38, exec_lo
                                        ; implicit-def: $sgpr36
	v_cmpx_eq_u16_e64 0x80, v165
; %bb.3844:                             ;   in Loop: Header=BB4_3280 Depth=4
	s_mov_b32 s36, 0x7f800001
	s_xor_b32 s14, exec_lo, -1
; %bb.3845:                             ;   in Loop: Header=BB4_3280 Depth=4
	s_or_b32 exec_lo, exec_lo, s38
	s_delay_alu instid0(SALU_CYCLE_1)
	s_and_b32 s14, s14, exec_lo
	s_or_saveexec_b32 s37, s37
	v_mov_b32_e32 v166, s36
	s_xor_b32 exec_lo, exec_lo, s37
	s_cbranch_execz .LBB4_3567
.LBB4_3846:                             ;   in Loop: Header=BB4_3280 Depth=4
	v_cmp_ne_u16_e64 vcc_lo, 0, v165
	v_mov_b32_e32 v166, 0
	s_and_not1_b32 s14, s14, exec_lo
	s_delay_alu instid0(VALU_DEP_2) | instskip(NEXT) | instid1(SALU_CYCLE_1)
	s_and_b32 vcc_lo, vcc_lo, exec_lo
	s_or_b32 s14, s14, vcc_lo
	s_or_b32 exec_lo, exec_lo, s37
	s_and_saveexec_b32 s36, s14
	s_cbranch_execnz .LBB4_3568
	s_branch .LBB4_3569
.LBB4_3847:                             ;   in Loop: Header=BB4_3280 Depth=4
	s_mov_b32 s14, -1
	s_mov_b32 s38, exec_lo
                                        ; implicit-def: $sgpr36
	v_cmpx_eq_u16_e64 0x80, v165
; %bb.3848:                             ;   in Loop: Header=BB4_3280 Depth=4
	s_mov_b32 s36, 0x7f800001
	s_xor_b32 s14, exec_lo, -1
; %bb.3849:                             ;   in Loop: Header=BB4_3280 Depth=4
	s_or_b32 exec_lo, exec_lo, s38
	s_delay_alu instid0(SALU_CYCLE_1)
	s_and_b32 s14, s14, exec_lo
                                        ; implicit-def: $vgpr165
	s_or_saveexec_b32 s37, s37
	v_mov_b32_e32 v160, s36
	s_xor_b32 exec_lo, exec_lo, s37
	s_cbranch_execz .LBB4_3579
.LBB4_3850:                             ;   in Loop: Header=BB4_3280 Depth=4
	v_cmp_ne_u16_e64 vcc_lo, 0, v165
	v_mov_b32_e32 v160, 0
	s_and_not1_b32 s14, s14, exec_lo
	s_delay_alu instid0(VALU_DEP_2) | instskip(NEXT) | instid1(SALU_CYCLE_1)
	s_and_b32 vcc_lo, vcc_lo, exec_lo
	s_or_b32 s14, s14, vcc_lo
	s_or_b32 exec_lo, exec_lo, s37
	v_lshl_or_b32 v163, v163, 16, v164
	s_and_saveexec_b32 s36, s14
	s_cbranch_execnz .LBB4_3580
	s_branch .LBB4_3581
.LBB4_3851:                             ;   in Loop: Header=BB4_3280 Depth=4
	s_mov_b32 s14, -1
	s_mov_b32 s38, exec_lo
                                        ; implicit-def: $sgpr36
	v_cmpx_eq_u16_e64 0x80, v166
; %bb.3852:                             ;   in Loop: Header=BB4_3280 Depth=4
	s_mov_b32 s36, 0x7f800001
	s_xor_b32 s14, exec_lo, -1
; %bb.3853:                             ;   in Loop: Header=BB4_3280 Depth=4
	s_or_b32 exec_lo, exec_lo, s38
	s_delay_alu instid0(SALU_CYCLE_1)
	s_and_b32 s14, s14, exec_lo
                                        ; implicit-def: $vgpr166
	s_or_saveexec_b32 s37, s37
	v_mov_b32_e32 v165, s36
	s_xor_b32 exec_lo, exec_lo, s37
	s_cbranch_execz .LBB4_3583
.LBB4_3854:                             ;   in Loop: Header=BB4_3280 Depth=4
	v_cmp_ne_u16_e64 vcc_lo, 0, v166
	v_mov_b32_e32 v165, 0
	s_and_not1_b32 s14, s14, exec_lo
	s_delay_alu instid0(VALU_DEP_2) | instskip(NEXT) | instid1(SALU_CYCLE_1)
	s_and_b32 vcc_lo, vcc_lo, exec_lo
	s_or_b32 s14, s14, vcc_lo
	s_or_b32 exec_lo, exec_lo, s37
	s_and_saveexec_b32 s36, s14
	s_cbranch_execnz .LBB4_3584
	s_branch .LBB4_3585
.LBB4_3855:                             ;   in Loop: Header=BB4_3280 Depth=4
	s_mov_b32 s14, -1
	s_mov_b32 s38, exec_lo
                                        ; implicit-def: $sgpr36
	v_cmpx_eq_u16_e64 0x80, v165
; %bb.3856:                             ;   in Loop: Header=BB4_3280 Depth=4
	s_mov_b32 s36, 0x7f800001
	s_xor_b32 s14, exec_lo, -1
; %bb.3857:                             ;   in Loop: Header=BB4_3280 Depth=4
	s_or_b32 exec_lo, exec_lo, s38
	s_delay_alu instid0(SALU_CYCLE_1)
	s_and_b32 s14, s14, exec_lo
	s_or_saveexec_b32 s37, s37
	v_mov_b32_e32 v164, s36
	s_xor_b32 exec_lo, exec_lo, s37
	s_cbranch_execz .LBB4_3595
.LBB4_3858:                             ;   in Loop: Header=BB4_3280 Depth=4
	v_cmp_ne_u16_e64 vcc_lo, 0, v165
	v_mov_b32_e32 v164, 0
	s_and_not1_b32 s14, s14, exec_lo
	s_delay_alu instid0(VALU_DEP_2) | instskip(NEXT) | instid1(SALU_CYCLE_1)
	s_and_b32 vcc_lo, vcc_lo, exec_lo
	s_or_b32 s14, s14, vcc_lo
	s_or_b32 exec_lo, exec_lo, s37
	s_and_saveexec_b32 s36, s14
	s_cbranch_execnz .LBB4_3596
	s_branch .LBB4_3597
.LBB4_3859:                             ;   in Loop: Header=BB4_3280 Depth=4
	s_mov_b32 s14, -1
	s_mov_b32 s38, exec_lo
                                        ; implicit-def: $sgpr36
	v_cmpx_eq_u16_e64 0x80, v163
; %bb.3860:                             ;   in Loop: Header=BB4_3280 Depth=4
	s_mov_b32 s36, 0x7f800001
	s_xor_b32 s14, exec_lo, -1
; %bb.3861:                             ;   in Loop: Header=BB4_3280 Depth=4
	s_or_b32 exec_lo, exec_lo, s38
	s_delay_alu instid0(SALU_CYCLE_1)
	s_and_b32 s14, s14, exec_lo
	s_or_saveexec_b32 s37, s37
	v_mov_b32_e32 v165, s36
	s_xor_b32 exec_lo, exec_lo, s37
	s_cbranch_execz .LBB4_3599
.LBB4_3862:                             ;   in Loop: Header=BB4_3280 Depth=4
	v_cmp_ne_u16_e64 vcc_lo, 0, v163
	v_mov_b32_e32 v165, 0
	s_and_not1_b32 s14, s14, exec_lo
	s_delay_alu instid0(VALU_DEP_2) | instskip(NEXT) | instid1(SALU_CYCLE_1)
	s_and_b32 vcc_lo, vcc_lo, exec_lo
	s_or_b32 s14, s14, vcc_lo
	s_or_b32 exec_lo, exec_lo, s37
	s_and_saveexec_b32 s36, s14
	s_cbranch_execnz .LBB4_3600
	s_branch .LBB4_3601
.LBB4_3863:                             ;   in Loop: Header=BB4_3280 Depth=4
	s_mov_b32 s14, -1
	s_mov_b32 s38, exec_lo
                                        ; implicit-def: $sgpr36
	v_cmpx_eq_u16_e64 0x80, v164
; %bb.3864:                             ;   in Loop: Header=BB4_3280 Depth=4
	s_mov_b32 s36, 0x7f800001
	s_xor_b32 s14, exec_lo, -1
; %bb.3865:                             ;   in Loop: Header=BB4_3280 Depth=4
	s_or_b32 exec_lo, exec_lo, s38
	s_delay_alu instid0(SALU_CYCLE_1)
	s_and_b32 s14, s14, exec_lo
                                        ; implicit-def: $vgpr164
	s_or_saveexec_b32 s37, s37
	v_mov_b32_e32 v163, s36
	s_xor_b32 exec_lo, exec_lo, s37
	s_cbranch_execz .LBB4_3611
.LBB4_3866:                             ;   in Loop: Header=BB4_3280 Depth=4
	v_cmp_ne_u16_e64 vcc_lo, 0, v164
	v_mov_b32_e32 v163, 0
	s_and_not1_b32 s14, s14, exec_lo
	s_delay_alu instid0(VALU_DEP_2) | instskip(NEXT) | instid1(SALU_CYCLE_1)
	s_and_b32 vcc_lo, vcc_lo, exec_lo
	s_or_b32 s14, s14, vcc_lo
	s_or_b32 exec_lo, exec_lo, s37
	s_and_saveexec_b32 s36, s14
	s_cbranch_execnz .LBB4_3612
	s_branch .LBB4_3613
.LBB4_3867:                             ;   in Loop: Header=BB4_3280 Depth=4
	s_mov_b32 s14, -1
	s_mov_b32 s38, exec_lo
                                        ; implicit-def: $sgpr36
	v_cmpx_eq_u16_e64 0x80, v164
; %bb.3868:                             ;   in Loop: Header=BB4_3280 Depth=4
	s_mov_b32 s36, 0x7f800001
	s_xor_b32 s14, exec_lo, -1
; %bb.3869:                             ;   in Loop: Header=BB4_3280 Depth=4
	s_or_b32 exec_lo, exec_lo, s38
	s_delay_alu instid0(SALU_CYCLE_1)
	s_and_b32 s14, s14, exec_lo
                                        ; implicit-def: $vgpr164
	s_or_saveexec_b32 s37, s37
	v_mov_b32_e32 v150, s36
	s_xor_b32 exec_lo, exec_lo, s37
	s_cbranch_execz .LBB4_3615
.LBB4_3870:                             ;   in Loop: Header=BB4_3280 Depth=4
	v_cmp_ne_u16_e64 vcc_lo, 0, v164
	v_mov_b32_e32 v150, 0
	s_and_not1_b32 s14, s14, exec_lo
	s_delay_alu instid0(VALU_DEP_2) | instskip(NEXT) | instid1(SALU_CYCLE_1)
	s_and_b32 vcc_lo, vcc_lo, exec_lo
	s_or_b32 s14, s14, vcc_lo
	s_or_b32 exec_lo, exec_lo, s37
	s_and_saveexec_b32 s36, s14
	s_cbranch_execnz .LBB4_3616
	s_branch .LBB4_3617
.LBB4_3871:                             ;   in Loop: Header=BB4_3280 Depth=4
	s_mov_b32 s14, -1
	s_mov_b32 s38, exec_lo
                                        ; implicit-def: $sgpr36
	v_cmpx_eq_u16_e64 0x80, v164
; %bb.3872:                             ;   in Loop: Header=BB4_3280 Depth=4
	s_mov_b32 s36, 0x7f800001
	s_xor_b32 s14, exec_lo, -1
; %bb.3873:                             ;   in Loop: Header=BB4_3280 Depth=4
	s_or_b32 exec_lo, exec_lo, s38
	s_delay_alu instid0(SALU_CYCLE_1)
	s_and_b32 s14, s14, exec_lo
                                        ; implicit-def: $vgpr164
	s_or_saveexec_b32 s37, s37
	v_mov_b32_e32 v163, s36
	s_xor_b32 exec_lo, exec_lo, s37
	s_cbranch_execz .LBB4_3627
.LBB4_3874:                             ;   in Loop: Header=BB4_3280 Depth=4
	v_cmp_ne_u16_e64 vcc_lo, 0, v164
	v_mov_b32_e32 v163, 0
	s_and_not1_b32 s14, s14, exec_lo
	s_delay_alu instid0(VALU_DEP_2) | instskip(NEXT) | instid1(SALU_CYCLE_1)
	s_and_b32 vcc_lo, vcc_lo, exec_lo
	s_or_b32 s14, s14, vcc_lo
	s_or_b32 exec_lo, exec_lo, s37
	s_and_saveexec_b32 s36, s14
	s_cbranch_execnz .LBB4_3628
	s_branch .LBB4_3629
.LBB4_3875:                             ;   in Loop: Header=BB4_3280 Depth=4
	s_mov_b32 s14, -1
	s_mov_b32 s38, exec_lo
                                        ; implicit-def: $sgpr36
	v_cmpx_eq_u16_e64 0x80, v148
; %bb.3876:                             ;   in Loop: Header=BB4_3280 Depth=4
	s_mov_b32 s36, 0x7f800001
	s_xor_b32 s14, exec_lo, -1
; %bb.3877:                             ;   in Loop: Header=BB4_3280 Depth=4
	s_or_b32 exec_lo, exec_lo, s38
	s_delay_alu instid0(SALU_CYCLE_1)
	s_and_b32 s14, s14, exec_lo
	s_or_saveexec_b32 s37, s37
	v_mov_b32_e32 v164, s36
	s_xor_b32 exec_lo, exec_lo, s37
	s_cbranch_execz .LBB4_3631
.LBB4_3878:                             ;   in Loop: Header=BB4_3280 Depth=4
	v_cmp_ne_u16_e64 vcc_lo, 0, v148
	v_mov_b32_e32 v164, 0
	s_and_not1_b32 s14, s14, exec_lo
	s_delay_alu instid0(VALU_DEP_2) | instskip(NEXT) | instid1(SALU_CYCLE_1)
	s_and_b32 vcc_lo, vcc_lo, exec_lo
	s_or_b32 s14, s14, vcc_lo
	s_or_b32 exec_lo, exec_lo, s37
	s_and_saveexec_b32 s36, s14
	s_cbranch_execnz .LBB4_3632
	s_branch .LBB4_3633
.LBB4_3879:                             ;   in Loop: Header=BB4_3280 Depth=4
	s_mov_b32 s14, -1
	s_mov_b32 s38, exec_lo
                                        ; implicit-def: $sgpr36
	v_cmpx_eq_u16_e64 0x80, v164
; %bb.3880:                             ;   in Loop: Header=BB4_3280 Depth=4
	s_mov_b32 s36, 0x7f800001
	s_xor_b32 s14, exec_lo, -1
; %bb.3881:                             ;   in Loop: Header=BB4_3280 Depth=4
	s_or_b32 exec_lo, exec_lo, s38
	s_delay_alu instid0(SALU_CYCLE_1)
	s_and_b32 s14, s14, exec_lo
                                        ; implicit-def: $vgpr164
	s_or_saveexec_b32 s37, s37
	v_mov_b32_e32 v163, s36
	s_xor_b32 exec_lo, exec_lo, s37
	s_cbranch_execz .LBB4_3643
.LBB4_3882:                             ;   in Loop: Header=BB4_3280 Depth=4
	v_cmp_ne_u16_e64 vcc_lo, 0, v164
	v_mov_b32_e32 v163, 0
	s_and_not1_b32 s14, s14, exec_lo
	s_delay_alu instid0(VALU_DEP_2) | instskip(NEXT) | instid1(SALU_CYCLE_1)
	s_and_b32 vcc_lo, vcc_lo, exec_lo
	s_or_b32 s14, s14, vcc_lo
	s_or_b32 exec_lo, exec_lo, s37
	s_and_saveexec_b32 s36, s14
	s_cbranch_execnz .LBB4_3644
	s_branch .LBB4_3645
.LBB4_3883:                             ;   in Loop: Header=BB4_3280 Depth=4
	s_mov_b32 s14, -1
	s_mov_b32 s38, exec_lo
                                        ; implicit-def: $sgpr36
	v_cmpx_eq_u16_e64 0x80, v165
; %bb.3884:                             ;   in Loop: Header=BB4_3280 Depth=4
	s_mov_b32 s36, 0x7f800001
	s_xor_b32 s14, exec_lo, -1
; %bb.3885:                             ;   in Loop: Header=BB4_3280 Depth=4
	s_or_b32 exec_lo, exec_lo, s38
	s_delay_alu instid0(SALU_CYCLE_1)
	s_and_b32 s14, s14, exec_lo
                                        ; implicit-def: $vgpr165
	s_or_saveexec_b32 s37, s37
	v_mov_b32_e32 v164, s36
	s_xor_b32 exec_lo, exec_lo, s37
	s_cbranch_execz .LBB4_3647
.LBB4_3886:                             ;   in Loop: Header=BB4_3280 Depth=4
	v_cmp_ne_u16_e64 vcc_lo, 0, v165
	v_mov_b32_e32 v164, 0
	s_and_not1_b32 s14, s14, exec_lo
	s_delay_alu instid0(VALU_DEP_2) | instskip(NEXT) | instid1(SALU_CYCLE_1)
	s_and_b32 vcc_lo, vcc_lo, exec_lo
	s_or_b32 s14, s14, vcc_lo
	s_or_b32 exec_lo, exec_lo, s37
	s_and_saveexec_b32 s36, s14
	s_cbranch_execnz .LBB4_3648
	s_branch .LBB4_3649
.LBB4_3887:                             ;   in Loop: Header=BB4_3280 Depth=4
	s_mov_b32 s14, -1
	s_mov_b32 s38, exec_lo
                                        ; implicit-def: $sgpr36
	v_cmpx_eq_u16_e64 0x80, v164
; %bb.3888:                             ;   in Loop: Header=BB4_3280 Depth=4
	s_mov_b32 s36, 0x7f800001
	s_xor_b32 s14, exec_lo, -1
; %bb.3889:                             ;   in Loop: Header=BB4_3280 Depth=4
	s_or_b32 exec_lo, exec_lo, s38
	s_delay_alu instid0(SALU_CYCLE_1)
	s_and_b32 s14, s14, exec_lo
	s_or_saveexec_b32 s37, s37
	v_mov_b32_e32 v163, s36
	s_xor_b32 exec_lo, exec_lo, s37
	s_cbranch_execz .LBB4_3659
.LBB4_3890:                             ;   in Loop: Header=BB4_3280 Depth=4
	v_cmp_ne_u16_e64 vcc_lo, 0, v164
	v_mov_b32_e32 v163, 0
	s_and_not1_b32 s14, s14, exec_lo
	s_delay_alu instid0(VALU_DEP_2) | instskip(NEXT) | instid1(SALU_CYCLE_1)
	s_and_b32 vcc_lo, vcc_lo, exec_lo
	s_or_b32 s14, s14, vcc_lo
	s_or_b32 exec_lo, exec_lo, s37
	s_and_saveexec_b32 s36, s14
	s_cbranch_execnz .LBB4_3660
	s_branch .LBB4_3661
.LBB4_3891:                             ;   in Loop: Header=BB4_3280 Depth=4
	s_mov_b32 s14, -1
	s_mov_b32 s38, exec_lo
                                        ; implicit-def: $sgpr36
	v_cmpx_eq_u16_e64 0x80, v144
; %bb.3892:                             ;   in Loop: Header=BB4_3280 Depth=4
	s_mov_b32 s36, 0x7f800001
	s_xor_b32 s14, exec_lo, -1
; %bb.3893:                             ;   in Loop: Header=BB4_3280 Depth=4
	s_or_b32 exec_lo, exec_lo, s38
	s_delay_alu instid0(SALU_CYCLE_1)
	s_and_b32 s14, s14, exec_lo
	s_or_saveexec_b32 s37, s37
	v_mov_b32_e32 v164, s36
	s_xor_b32 exec_lo, exec_lo, s37
	s_cbranch_execz .LBB4_3663
.LBB4_3894:                             ;   in Loop: Header=BB4_3280 Depth=4
	v_cmp_ne_u16_e64 vcc_lo, 0, v144
	v_mov_b32_e32 v164, 0
	s_and_not1_b32 s14, s14, exec_lo
	s_delay_alu instid0(VALU_DEP_2) | instskip(NEXT) | instid1(SALU_CYCLE_1)
	s_and_b32 vcc_lo, vcc_lo, exec_lo
	s_or_b32 s14, s14, vcc_lo
	s_or_b32 exec_lo, exec_lo, s37
	s_and_saveexec_b32 s36, s14
	s_cbranch_execnz .LBB4_3664
	s_branch .LBB4_3665
.LBB4_3895:                             ;   in Loop: Header=BB4_3280 Depth=4
	s_mov_b32 s14, -1
	s_mov_b32 s38, exec_lo
                                        ; implicit-def: $sgpr36
	v_cmpx_eq_u16_e64 0x80, v149
; %bb.3896:                             ;   in Loop: Header=BB4_3280 Depth=4
	s_mov_b32 s36, 0x7f800001
	s_xor_b32 s14, exec_lo, -1
; %bb.3897:                             ;   in Loop: Header=BB4_3280 Depth=4
	s_or_b32 exec_lo, exec_lo, s38
	s_delay_alu instid0(SALU_CYCLE_1)
	s_and_b32 s14, s14, exec_lo
                                        ; implicit-def: $vgpr149
	s_or_saveexec_b32 s37, s37
	v_mov_b32_e32 v135, s36
	s_xor_b32 exec_lo, exec_lo, s37
	s_cbranch_execz .LBB4_3675
.LBB4_3898:                             ;   in Loop: Header=BB4_3280 Depth=4
	v_cmp_ne_u16_e64 vcc_lo, 0, v149
	v_mov_b32_e32 v135, 0
	s_and_not1_b32 s14, s14, exec_lo
	s_delay_alu instid0(VALU_DEP_2) | instskip(NEXT) | instid1(SALU_CYCLE_1)
	s_and_b32 vcc_lo, vcc_lo, exec_lo
	s_or_b32 s14, s14, vcc_lo
	s_or_b32 exec_lo, exec_lo, s37
	s_and_saveexec_b32 s36, s14
	s_cbranch_execnz .LBB4_3676
	s_branch .LBB4_3677
.LBB4_3899:                             ;   in Loop: Header=BB4_3280 Depth=4
	s_mov_b32 s14, -1
	s_mov_b32 s38, exec_lo
                                        ; implicit-def: $sgpr36
	v_cmpx_eq_u16_e64 0x80, v163
; %bb.3900:                             ;   in Loop: Header=BB4_3280 Depth=4
	s_mov_b32 s36, 0x7f800001
	s_xor_b32 s14, exec_lo, -1
; %bb.3901:                             ;   in Loop: Header=BB4_3280 Depth=4
	s_or_b32 exec_lo, exec_lo, s38
	s_delay_alu instid0(SALU_CYCLE_1)
	s_and_b32 s14, s14, exec_lo
                                        ; implicit-def: $vgpr163
	s_or_saveexec_b32 s37, s37
	v_mov_b32_e32 v149, s36
	s_xor_b32 exec_lo, exec_lo, s37
	s_cbranch_execz .LBB4_3679
.LBB4_3902:                             ;   in Loop: Header=BB4_3280 Depth=4
	v_cmp_ne_u16_e64 vcc_lo, 0, v163
	v_mov_b32_e32 v149, 0
	s_and_not1_b32 s14, s14, exec_lo
	s_delay_alu instid0(VALU_DEP_2) | instskip(NEXT) | instid1(SALU_CYCLE_1)
	s_and_b32 vcc_lo, vcc_lo, exec_lo
	s_or_b32 s14, s14, vcc_lo
	s_or_b32 exec_lo, exec_lo, s37
	s_and_saveexec_b32 s36, s14
	s_cbranch_execnz .LBB4_3680
	s_branch .LBB4_3681
.LBB4_3903:                             ;   in Loop: Header=BB4_3280 Depth=4
	s_mov_b32 s14, -1
	s_mov_b32 s38, exec_lo
                                        ; implicit-def: $sgpr36
	v_cmpx_eq_u16_e64 0x80, v163
; %bb.3904:                             ;   in Loop: Header=BB4_3280 Depth=4
	s_mov_b32 s36, 0x7f800001
	s_xor_b32 s14, exec_lo, -1
; %bb.3905:                             ;   in Loop: Header=BB4_3280 Depth=4
	s_or_b32 exec_lo, exec_lo, s38
	s_delay_alu instid0(SALU_CYCLE_1)
	s_and_b32 s14, s14, exec_lo
	s_or_saveexec_b32 s37, s37
	v_mov_b32_e32 v149, s36
	s_xor_b32 exec_lo, exec_lo, s37
	s_cbranch_execz .LBB4_3691
.LBB4_3906:                             ;   in Loop: Header=BB4_3280 Depth=4
	v_cmp_ne_u16_e64 vcc_lo, 0, v163
	v_mov_b32_e32 v149, 0
	s_and_not1_b32 s14, s14, exec_lo
	s_delay_alu instid0(VALU_DEP_2) | instskip(NEXT) | instid1(SALU_CYCLE_1)
	s_and_b32 vcc_lo, vcc_lo, exec_lo
	s_or_b32 s14, s14, vcc_lo
	s_or_b32 exec_lo, exec_lo, s37
	s_and_saveexec_b32 s36, s14
	s_cbranch_execnz .LBB4_3692
	s_branch .LBB4_3693
.LBB4_3907:                             ;   in Loop: Header=BB4_3280 Depth=4
	s_mov_b32 s14, -1
	s_mov_b32 s38, exec_lo
                                        ; implicit-def: $sgpr36
	v_cmpx_eq_u16_e64 0x80, v163
; %bb.3908:                             ;   in Loop: Header=BB4_3280 Depth=4
	s_mov_b32 s36, 0x7f800001
	s_xor_b32 s14, exec_lo, -1
; %bb.3909:                             ;   in Loop: Header=BB4_3280 Depth=4
	s_or_b32 exec_lo, exec_lo, s38
	s_delay_alu instid0(SALU_CYCLE_1)
	s_and_b32 s14, s14, exec_lo
	s_or_saveexec_b32 s37, s37
	v_mov_b32_e32 v164, s36
	s_xor_b32 exec_lo, exec_lo, s37
	s_cbranch_execz .LBB4_3695
.LBB4_3910:                             ;   in Loop: Header=BB4_3280 Depth=4
	v_cmp_ne_u16_e64 vcc_lo, 0, v163
	v_mov_b32_e32 v164, 0
	s_and_not1_b32 s14, s14, exec_lo
	s_delay_alu instid0(VALU_DEP_2) | instskip(NEXT) | instid1(SALU_CYCLE_1)
	s_and_b32 vcc_lo, vcc_lo, exec_lo
	s_or_b32 s14, s14, vcc_lo
	s_or_b32 exec_lo, exec_lo, s37
	s_and_saveexec_b32 s36, s14
	s_cbranch_execnz .LBB4_3696
	s_branch .LBB4_3697
.LBB4_3911:                             ;   in Loop: Header=BB4_3280 Depth=4
	s_mov_b32 s14, -1
	s_mov_b32 s38, exec_lo
                                        ; implicit-def: $sgpr36
	v_cmpx_eq_u16_e64 0x80, v163
; %bb.3912:                             ;   in Loop: Header=BB4_3280 Depth=4
	s_mov_b32 s36, 0x7f800001
	s_xor_b32 s14, exec_lo, -1
; %bb.3913:                             ;   in Loop: Header=BB4_3280 Depth=4
	s_or_b32 exec_lo, exec_lo, s38
	s_delay_alu instid0(SALU_CYCLE_1)
	s_and_b32 s14, s14, exec_lo
                                        ; implicit-def: $vgpr163
	s_or_saveexec_b32 s37, s37
	v_mov_b32_e32 v134, s36
	s_xor_b32 exec_lo, exec_lo, s37
	s_cbranch_execz .LBB4_3707
.LBB4_3914:                             ;   in Loop: Header=BB4_3280 Depth=4
	v_cmp_ne_u16_e64 vcc_lo, 0, v163
	v_mov_b32_e32 v134, 0
	s_and_not1_b32 s14, s14, exec_lo
	s_delay_alu instid0(VALU_DEP_2) | instskip(NEXT) | instid1(SALU_CYCLE_1)
	s_and_b32 vcc_lo, vcc_lo, exec_lo
	s_or_b32 s14, s14, vcc_lo
	s_or_b32 exec_lo, exec_lo, s37
	v_lshl_or_b32 v144, v146, 16, v144
	s_and_saveexec_b32 s36, s14
	s_cbranch_execnz .LBB4_3708
	s_branch .LBB4_3709
.LBB4_3915:                             ;   in Loop: Header=BB4_3280 Depth=4
	s_mov_b32 s14, -1
	s_mov_b32 s38, exec_lo
                                        ; implicit-def: $sgpr36
	v_cmpx_eq_u16_e64 0x80, v164
; %bb.3916:                             ;   in Loop: Header=BB4_3280 Depth=4
	s_mov_b32 s36, 0x7f800001
	s_xor_b32 s14, exec_lo, -1
; %bb.3917:                             ;   in Loop: Header=BB4_3280 Depth=4
	s_or_b32 exec_lo, exec_lo, s38
	s_delay_alu instid0(SALU_CYCLE_1)
	s_and_b32 s14, s14, exec_lo
                                        ; implicit-def: $vgpr164
	s_or_saveexec_b32 s37, s37
	v_mov_b32_e32 v163, s36
	s_xor_b32 exec_lo, exec_lo, s37
	s_cbranch_execz .LBB4_3711
.LBB4_3918:                             ;   in Loop: Header=BB4_3280 Depth=4
	v_cmp_ne_u16_e64 vcc_lo, 0, v164
	v_mov_b32_e32 v163, 0
	s_and_not1_b32 s14, s14, exec_lo
	s_delay_alu instid0(VALU_DEP_2) | instskip(NEXT) | instid1(SALU_CYCLE_1)
	s_and_b32 vcc_lo, vcc_lo, exec_lo
	s_or_b32 s14, s14, vcc_lo
	s_or_b32 exec_lo, exec_lo, s37
	s_and_saveexec_b32 s36, s14
	s_cbranch_execnz .LBB4_3712
	s_branch .LBB4_3713
.LBB4_3919:                             ;   in Loop: Header=BB4_3280 Depth=4
	s_mov_b32 s14, -1
	s_mov_b32 s38, exec_lo
                                        ; implicit-def: $sgpr36
	v_cmpx_eq_u16_e64 0x80, v163
; %bb.3920:                             ;   in Loop: Header=BB4_3280 Depth=4
	s_mov_b32 s36, 0x7f800001
	s_xor_b32 s14, exec_lo, -1
; %bb.3921:                             ;   in Loop: Header=BB4_3280 Depth=4
	s_or_b32 exec_lo, exec_lo, s38
	s_delay_alu instid0(SALU_CYCLE_1)
	s_and_b32 s14, s14, exec_lo
	s_or_saveexec_b32 s37, s37
	v_mov_b32_e32 v146, s36
	s_xor_b32 exec_lo, exec_lo, s37
	s_cbranch_execz .LBB4_3723
.LBB4_3922:                             ;   in Loop: Header=BB4_3280 Depth=4
	v_cmp_ne_u16_e64 vcc_lo, 0, v163
	v_mov_b32_e32 v146, 0
	s_and_not1_b32 s14, s14, exec_lo
	s_delay_alu instid0(VALU_DEP_2) | instskip(NEXT) | instid1(SALU_CYCLE_1)
	s_and_b32 vcc_lo, vcc_lo, exec_lo
	s_or_b32 s14, s14, vcc_lo
	s_or_b32 exec_lo, exec_lo, s37
	s_and_saveexec_b32 s36, s14
	s_cbranch_execnz .LBB4_3724
	s_branch .LBB4_3725
.LBB4_3923:                             ;   in Loop: Header=BB4_3280 Depth=4
	s_mov_b32 s14, -1
	s_mov_b32 s38, exec_lo
                                        ; implicit-def: $sgpr36
	v_cmpx_eq_u16_e64 0x80, v144
; %bb.3924:                             ;   in Loop: Header=BB4_3280 Depth=4
	s_mov_b32 s36, 0x7f800001
	s_xor_b32 s14, exec_lo, -1
; %bb.3925:                             ;   in Loop: Header=BB4_3280 Depth=4
	s_or_b32 exec_lo, exec_lo, s38
	s_delay_alu instid0(SALU_CYCLE_1)
	s_and_b32 s14, s14, exec_lo
	s_or_saveexec_b32 s37, s37
	v_mov_b32_e32 v163, s36
	s_xor_b32 exec_lo, exec_lo, s37
	s_cbranch_execz .LBB4_3727
.LBB4_3926:                             ;   in Loop: Header=BB4_3280 Depth=4
	v_cmp_ne_u16_e64 vcc_lo, 0, v144
	v_mov_b32_e32 v163, 0
	s_and_not1_b32 s14, s14, exec_lo
	s_delay_alu instid0(VALU_DEP_2) | instskip(NEXT) | instid1(SALU_CYCLE_1)
	s_and_b32 vcc_lo, vcc_lo, exec_lo
	s_or_b32 s14, s14, vcc_lo
	s_or_b32 exec_lo, exec_lo, s37
	s_and_saveexec_b32 s36, s14
	s_cbranch_execnz .LBB4_3728
	s_branch .LBB4_3729
.LBB4_3927:                             ;   in Loop: Header=BB4_1895 Depth=3
	s_or_b32 exec_lo, exec_lo, s34
.LBB4_3928:                             ;   in Loop: Header=BB4_1895 Depth=3
	s_delay_alu instid0(SALU_CYCLE_1) | instskip(SKIP_3) | instid1(VALU_DEP_1)
	s_or_b32 exec_lo, exec_lo, s31
	v_dual_mov_b32 v64, 0 :: v_dual_and_b32 v9, 15, v53
	s_mov_b32 s14, 0
	s_mov_b32 s31, exec_lo
                                        ; implicit-def: $vgpr66
                                        ; implicit-def: $vgpr8
	v_cndmask_b32_e64 v65, v69, v9, s13
	s_delay_alu instid0(VALU_DEP_1)
	v_cmpx_ne_u32_e32 0, v65
	s_cbranch_execz .LBB4_3930
; %bb.3929:                             ;   in Loop: Header=BB4_1895 Depth=3
	v_cmp_lt_i32_e32 vcc_lo, 0, v131
	v_sub_nc_u32_e32 v9, v69, v9
	s_mov_b32 s14, exec_lo
	v_cndmask_b32_e32 v8, 0, v81, vcc_lo
	s_delay_alu instid0(VALU_DEP_2) | instskip(NEXT) | instid1(VALU_DEP_2)
	v_cndmask_b32_e64 v9, 0, v9, s13
	v_sub_nc_u32_e32 v8, v8, v131
	s_delay_alu instid0(VALU_DEP_2) | instskip(NEXT) | instid1(VALU_DEP_2)
	v_add3_u32 v64, v2, v67, v9
	v_lshl_add_u32 v66, v8, 5, v68
	s_delay_alu instid0(VALU_DEP_1) | instskip(NEXT) | instid1(VALU_DEP_1)
	v_ashrrev_i32_e32 v8, 31, v66
	v_lshrrev_b32_e32 v8, 27, v8
	s_delay_alu instid0(VALU_DEP_1) | instskip(NEXT) | instid1(VALU_DEP_1)
	v_add_nc_u32_e32 v8, v66, v8
	v_ashrrev_i32_e32 v8, 5, v8
.LBB4_3930:                             ;   in Loop: Header=BB4_1895 Depth=3
	s_or_b32 exec_lo, exec_lo, s31
	s_delay_alu instid0(SALU_CYCLE_1)
	s_and_b32 s13, s14, exec_lo
.LBB4_3931:                             ;   in Loop: Header=BB4_1895 Depth=3
	s_or_b32 exec_lo, exec_lo, s30
.LBB4_3932:                             ;   in Loop: Header=BB4_1895 Depth=3
	s_and_saveexec_b32 s14, s13
	s_cbranch_execz .LBB4_4644
; %bb.3933:                             ;   in Loop: Header=BB4_1895 Depth=3
	s_delay_alu instid0(VALU_DEP_1) | instskip(SKIP_1) | instid1(VALU_DEP_1)
	v_ashrrev_i32_e32 v2, 31, v65
	s_mov_b32 s30, exec_lo
	v_lshrrev_b32_e32 v2, 23, v2
	s_delay_alu instid0(VALU_DEP_1) | instskip(NEXT) | instid1(VALU_DEP_1)
	v_add_nc_u32_e32 v2, v65, v2
	v_ashrrev_i32_e32 v67, 9, v2
	s_delay_alu instid0(VALU_DEP_1) | instskip(NEXT) | instid1(VALU_DEP_1)
	v_sub_nc_u32_e32 v2, v67, v8
	v_cmpx_lt_i32_e32 0, v2
	s_cbranch_execz .LBB4_4588
; %bb.3934:                             ;   in Loop: Header=BB4_1895 Depth=3
	s_cbranch_execz .LBB4_3935
; %bb.11609:
	s_getpc_b64 s[48:49]
.Lpost_getpc213:
	s_add_u32 s48, s48, (.LBB4_11161-.Lpost_getpc213)&4294967295
	s_addc_u32 s49, s49, (.LBB4_11161-.Lpost_getpc213)>>32
	s_setpc_b64 s[48:49]
.LBB4_3935:                             ;   in Loop: Header=BB4_1895 Depth=3
	v_ashrrev_i32_e32 v9, 31, v66
	ds_load_b64 v[13:14], v0
	v_lshlrev_b32_e32 v8, 9, v8
	s_mov_b32 s31, 0
	v_lshrrev_b32_e32 v9, 27, v9
	s_delay_alu instid0(VALU_DEP_1) | instskip(NEXT) | instid1(VALU_DEP_1)
	v_add_nc_u32_e32 v9, v66, v9
	v_and_b32_e32 v15, 0xffffffe0, v9
	ds_load_b128 v[9:12], v0
	v_sub_nc_u32_e32 v15, v66, v15
	s_waitcnt lgkmcnt(1)
	v_add_co_u32 v13, vcc_lo, 0x1e0, v13
	v_add_co_ci_u32_e32 v14, vcc_lo, 0, v14, vcc_lo
	s_delay_alu instid0(VALU_DEP_3) | instskip(NEXT) | instid1(VALU_DEP_1)
	v_add3_u32 v15, v64, v15, v8
	v_ashrrev_i32_e32 v68, 31, v15
	s_waitcnt lgkmcnt(0)
	v_add_co_u32 v8, vcc_lo, v9, v15
	s_delay_alu instid0(VALU_DEP_2)
	v_add_co_ci_u32_e32 v9, vcc_lo, v10, v68, vcc_lo
	v_add_co_u32 v10, vcc_lo, v11, v15
	v_add_co_ci_u32_e32 v11, vcc_lo, v12, v68, vcc_lo
	v_add_co_u32 v12, vcc_lo, v13, v15
	v_add_co_ci_u32_e32 v13, vcc_lo, v14, v68, vcc_lo
.LBB4_3936:                             ;   Parent Loop BB4_51 Depth=1
                                        ;     Parent Loop BB4_1893 Depth=2
                                        ;       Parent Loop BB4_1895 Depth=3
                                        ; =>      This Inner Loop Header: Depth=4
	s_cbranch_execz .LBB4_3937
; %bb.11611:
	s_getpc_b64 s[48:49]
.Lpost_getpc214:
	s_add_u32 s48, s48, (.LBB4_11165-.Lpost_getpc214)&4294967295
	s_addc_u32 s49, s49, (.LBB4_11165-.Lpost_getpc214)>>32
	s_setpc_b64 s[48:49]
.LBB4_3937:                             ;   in Loop: Header=BB4_3936 Depth=4
	ds_load_b64 v[14:15], v0
	s_waitcnt lgkmcnt(0)
	v_and_b32_e32 v15, 0xff, v14
	v_readfirstlane_b32 s13, v14
	s_delay_alu instid0(VALU_DEP_2)
	v_cmp_gt_i16_e32 vcc_lo, 0x80, v15
	s_cbranch_vccnz .LBB4_3941
; %bb.3938:                             ;   in Loop: Header=BB4_3936 Depth=4
	v_cmp_eq_u16_e32 vcc_lo, 0x80, v15
	s_mov_b32 s34, -1
                                        ; implicit-def: $sgpr35
	s_cbranch_vccz .LBB4_3940
; %bb.3939:                             ;   in Loop: Header=BB4_3936 Depth=4
	s_mov_b32 s34, 0
	s_mov_b32 s35, 0x7f800001
.LBB4_3940:                             ;   in Loop: Header=BB4_3936 Depth=4
	s_mov_b32 vcc_lo, 0
	s_branch .LBB4_3942
.LBB4_3941:                             ;   in Loop: Header=BB4_3936 Depth=4
	s_mov_b32 vcc_lo, -1
	s_mov_b32 s34, 0
                                        ; implicit-def: $sgpr35
.LBB4_3942:                             ;   in Loop: Header=BB4_3936 Depth=4
	s_and_b32 vcc_lo, exec_lo, vcc_lo
	s_cbranch_vccz .LBB4_3944
; %bb.3943:                             ;   in Loop: Header=BB4_3936 Depth=4
	v_cmp_ne_u16_e64 s34, 0, v15
	s_mov_b32 s35, 0
.LBB4_3944:                             ;   in Loop: Header=BB4_3936 Depth=4
	s_delay_alu instid0(SALU_CYCLE_1) | instskip(NEXT) | instid1(VALU_DEP_2)
	v_mov_b32_e32 v15, s35
	s_and_not1_b32 vcc_lo, exec_lo, s34
	s_cbranch_vccnz .LBB4_3946
; %bb.3945:                             ;   in Loop: Header=BB4_3936 Depth=4
	s_and_b32 vcc_lo, s13, 3
	s_bfe_u32 s35, s13, 0x50002
	s_clz_i32_u32 s34, vcc_lo
	v_lshlrev_b32_e32 v14, 24, v14
	s_min_u32 s34, s34, 32
	s_delay_alu instid0(SALU_CYCLE_1)
	s_sub_i32 s36, s34, 29
	s_sub_i32 s34, 30, s34
	s_lshl_b32 s13, s13, s36
	v_and_b32_e32 v14, 0x80000000, v14
	s_and_b32 s13, s13, 3
	s_cmp_eq_u32 s35, 0
	s_cselect_b32 s34, s34, s35
	s_cselect_b32 s13, s13, vcc_lo
	s_lshl_b32 vcc_lo, s34, 23
	s_lshl_b32 s13, s13, 21
	s_add_i32 vcc_lo, vcc_lo, 0x37800000
	s_delay_alu instid0(SALU_CYCLE_1) | instskip(NEXT) | instid1(VALU_DEP_1)
	v_or_b32_e32 v14, vcc_lo, v14
	v_or_b32_e32 v15, s13, v14
.LBB4_3946:                             ;   in Loop: Header=BB4_3936 Depth=4
	flat_load_u8 v14, v[8:9] slc dlc
	s_mov_b32 s13, 0
	s_mov_b32 s35, exec_lo
                                        ; implicit-def: $sgpr34
	s_waitcnt vmcnt(0) lgkmcnt(0)
	v_cmpx_lt_i16_e32 0x7f, v14
	s_xor_b32 s35, exec_lo, s35
	s_cbranch_execnz .LBB4_4395
; %bb.3947:                             ;   in Loop: Header=BB4_3936 Depth=4
	s_or_saveexec_b32 s35, s35
	v_mov_b32_e32 v68, s34
	s_xor_b32 exec_lo, exec_lo, s35
	s_cbranch_execnz .LBB4_4398
.LBB4_3948:                             ;   in Loop: Header=BB4_3936 Depth=4
	s_or_b32 exec_lo, exec_lo, s35
	s_and_saveexec_b32 s34, s13
	s_cbranch_execz .LBB4_3950
.LBB4_3949:                             ;   in Loop: Header=BB4_3936 Depth=4
	v_and_b32_e32 v68, 0xffff, v14
	v_lshlrev_b32_e32 v14, 24, v14
	s_delay_alu instid0(VALU_DEP_2) | instskip(NEXT) | instid1(VALU_DEP_2)
	v_and_b32_e32 v69, 3, v68
	v_and_b32_e32 v14, 0x80000000, v14
	s_delay_alu instid0(VALU_DEP_2) | instskip(NEXT) | instid1(VALU_DEP_1)
	v_clz_i32_u32_e32 v131, v69
	v_min_u32_e32 v131, 32, v131
	s_delay_alu instid0(VALU_DEP_1) | instskip(SKIP_1) | instid1(VALU_DEP_2)
	v_subrev_nc_u32_e32 v132, 29, v131
	v_sub_nc_u32_e32 v131, 30, v131
	v_lshlrev_b32_e32 v132, v132, v68
	v_bfe_u32 v68, v68, 2, 5
	s_delay_alu instid0(VALU_DEP_2) | instskip(NEXT) | instid1(VALU_DEP_2)
	v_and_b32_e32 v132, 3, v132
	v_cmp_eq_u32_e32 vcc_lo, 0, v68
	s_delay_alu instid0(VALU_DEP_2) | instskip(NEXT) | instid1(VALU_DEP_1)
	v_dual_cndmask_b32 v68, v68, v131 :: v_dual_cndmask_b32 v69, v69, v132
	v_lshl_add_u32 v68, v68, 23, 0x37800000
	s_delay_alu instid0(VALU_DEP_2) | instskip(NEXT) | instid1(VALU_DEP_1)
	v_lshlrev_b32_e32 v69, 21, v69
	v_or3_b32 v68, v14, v68, v69
.LBB4_3950:                             ;   in Loop: Header=BB4_3936 Depth=4
	s_or_b32 exec_lo, exec_lo, s34
	s_delay_alu instid0(VALU_DEP_1) | instskip(NEXT) | instid1(VALU_DEP_1)
	v_mul_f32_e32 v14, v15, v68
	v_and_b32_e32 v68, 0x7f800000, v14
	s_delay_alu instid0(VALU_DEP_1)
	v_cmp_ne_u32_e32 vcc_lo, 0x7f800000, v68
	v_mov_b32_e32 v68, 0x80
	s_and_saveexec_b32 s34, vcc_lo
	s_cbranch_execz .LBB4_3958
; %bb.3951:                             ;   in Loop: Header=BB4_3936 Depth=4
	v_mov_b32_e32 v68, 0
	s_mov_b32 s35, exec_lo
	v_cmpx_ne_u32_e32 0, v14
	s_cbranch_execz .LBB4_3957
; %bb.3952:                             ;   in Loop: Header=BB4_3936 Depth=4
	v_bfe_u32 v68, v14, 23, 8
	v_and_b32_e32 v69, 0x7fffff, v14
	s_delay_alu instid0(VALU_DEP_2) | instskip(SKIP_1) | instid1(VALU_DEP_3)
	v_sub_nc_u32_e32 v131, 0x70, v68
	v_cmp_gt_u32_e32 vcc_lo, 0x71, v68
	v_or_b32_e32 v132, 0x800000, v69
	s_delay_alu instid0(VALU_DEP_3) | instskip(SKIP_2) | instid1(VALU_DEP_3)
	v_cndmask_b32_e32 v131, 0, v131, vcc_lo
	v_cmp_eq_u32_e32 vcc_lo, 0, v68
	v_add_nc_u32_e32 v68, 0xffffff91, v68
	v_cndmask_b32_e64 v131, v131, 0x6f, vcc_lo
	v_cndmask_b32_e32 v69, v132, v69, vcc_lo
	s_delay_alu instid0(VALU_DEP_3) | instskip(NEXT) | instid1(VALU_DEP_3)
	v_cndmask_b32_e64 v68, v68, 0xffffff92, vcc_lo
	v_lshl_add_u32 v132, 0x200000, v131, -1
	s_delay_alu instid0(VALU_DEP_3) | instskip(SKIP_1) | instid1(VALU_DEP_4)
	v_lshrrev_b32_e32 v133, v131, v69
	v_lshlrev_b32_e64 v135, v131, 0x100000
	v_add_nc_u32_e32 v131, v131, v68
	s_delay_alu instid0(VALU_DEP_4) | instskip(NEXT) | instid1(VALU_DEP_4)
	v_and_b32_e32 v69, v132, v69
	v_bfe_u32 v134, v133, 21, 1
	s_delay_alu instid0(VALU_DEP_2) | instskip(NEXT) | instid1(VALU_DEP_2)
	v_cmp_eq_u32_e64 s13, v69, v135
	v_add_nc_u32_e32 v132, -1, v134
	s_delay_alu instid0(VALU_DEP_1) | instskip(SKIP_2) | instid1(VALU_DEP_2)
	v_cndmask_b32_e64 v69, 0, v132, s13
	v_lshrrev_b32_e32 v132, 23, v133
	s_mov_b32 s13, exec_lo
	v_add_nc_u32_e32 v69, v69, v133
	s_delay_alu instid0(VALU_DEP_2) | instskip(NEXT) | instid1(VALU_DEP_2)
	v_xor_b32_e32 v132, 1, v132
	v_and_b32_e32 v68, 0x1fffff, v69
	s_delay_alu instid0(VALU_DEP_1) | instskip(NEXT) | instid1(VALU_DEP_3)
	v_add_nc_u32_e32 v69, v68, v133
                                        ; implicit-def: $vgpr68
	v_cmpx_ne_u32_e64 v131, v132
	s_xor_b32 s13, exec_lo, s13
; %bb.3953:                             ;   in Loop: Header=BB4_3936 Depth=4
	s_delay_alu instid0(VALU_DEP_2) | instskip(SKIP_2) | instid1(VALU_DEP_2)
	v_cmp_lt_u32_e32 vcc_lo, 0xffffff, v69
	v_sub_nc_u32_e32 v68, v131, v132
	v_cndmask_b32_e64 v131, 0, 1, vcc_lo
	v_add_co_ci_u32_e32 v68, vcc_lo, 0, v68, vcc_lo
	s_delay_alu instid0(VALU_DEP_2)
	v_lshrrev_b32_e32 v69, v131, v69
; %bb.3954:                             ;   in Loop: Header=BB4_3936 Depth=4
	s_and_not1_saveexec_b32 s13, s13
; %bb.3955:                             ;   in Loop: Header=BB4_3936 Depth=4
	s_delay_alu instid0(VALU_DEP_1)
	v_bfe_u32 v68, v69, 23, 1
; %bb.3956:                             ;   in Loop: Header=BB4_3936 Depth=4
	s_or_b32 exec_lo, exec_lo, s13
	v_lshrrev_b32_e32 v69, 21, v69
	s_delay_alu instid0(VALU_DEP_2) | instskip(SKIP_2) | instid1(VALU_DEP_2)
	v_cmp_gt_i32_e32 vcc_lo, 32, v68
	v_lshrrev_b32_e32 v14, 24, v14
	v_min_i32_e32 v131, 31, v68
	v_dual_cndmask_b32 v69, 3, v69 :: v_dual_and_b32 v14, 0x80, v14
	s_delay_alu instid0(VALU_DEP_1) | instskip(SKIP_1) | instid1(VALU_DEP_2)
	v_or_b32_e32 v68, v68, v69
	v_and_b32_e32 v132, 3, v69
	v_cmp_ne_u32_e32 vcc_lo, 0, v68
	v_lshlrev_b32_e32 v131, 2, v131
	s_delay_alu instid0(VALU_DEP_1) | instskip(NEXT) | instid1(VALU_DEP_1)
	v_or3_b32 v14, v131, v14, v132
	v_cndmask_b32_e32 v68, 0, v14, vcc_lo
.LBB4_3957:                             ;   in Loop: Header=BB4_3936 Depth=4
	s_or_b32 exec_lo, exec_lo, s35
.LBB4_3958:                             ;   in Loop: Header=BB4_3936 Depth=4
	s_delay_alu instid0(SALU_CYCLE_1)
	s_or_b32 exec_lo, exec_lo, s34
	flat_load_u8 v14, v[8:9] offset:32 slc dlc
	s_mov_b32 s13, 0
	s_mov_b32 s35, exec_lo
                                        ; implicit-def: $sgpr34
	s_waitcnt vmcnt(0) lgkmcnt(0)
	v_cmpx_lt_i16_e32 0x7f, v14
	s_xor_b32 s35, exec_lo, s35
	s_cbranch_execnz .LBB4_4399
; %bb.3959:                             ;   in Loop: Header=BB4_3936 Depth=4
	s_or_saveexec_b32 s35, s35
	v_mov_b32_e32 v69, s34
	s_xor_b32 exec_lo, exec_lo, s35
	s_cbranch_execnz .LBB4_4402
.LBB4_3960:                             ;   in Loop: Header=BB4_3936 Depth=4
	s_or_b32 exec_lo, exec_lo, s35
	s_and_saveexec_b32 s34, s13
	s_cbranch_execz .LBB4_3962
.LBB4_3961:                             ;   in Loop: Header=BB4_3936 Depth=4
	v_and_b32_e32 v69, 0xffff, v14
	s_delay_alu instid0(VALU_DEP_1) | instskip(NEXT) | instid1(VALU_DEP_1)
	v_and_b32_e32 v131, 3, v69
	v_clz_i32_u32_e32 v132, v131
	s_delay_alu instid0(VALU_DEP_1) | instskip(NEXT) | instid1(VALU_DEP_1)
	v_min_u32_e32 v132, 32, v132
	v_subrev_nc_u32_e32 v133, 29, v132
	v_sub_nc_u32_e32 v132, 30, v132
	s_delay_alu instid0(VALU_DEP_2) | instskip(SKIP_1) | instid1(VALU_DEP_2)
	v_lshlrev_b32_e32 v133, v133, v69
	v_bfe_u32 v69, v69, 2, 5
	v_and_b32_e32 v133, 3, v133
	s_delay_alu instid0(VALU_DEP_2) | instskip(SKIP_1) | instid1(VALU_DEP_1)
	v_cmp_eq_u32_e32 vcc_lo, 0, v69
	v_dual_cndmask_b32 v69, v69, v132 :: v_dual_lshlrev_b32 v14, 24, v14
	v_dual_cndmask_b32 v131, v131, v133 :: v_dual_and_b32 v14, 0x80000000, v14
	s_delay_alu instid0(VALU_DEP_2) | instskip(NEXT) | instid1(VALU_DEP_2)
	v_lshl_add_u32 v69, v69, 23, 0x37800000
	v_lshlrev_b32_e32 v131, 21, v131
	s_delay_alu instid0(VALU_DEP_1)
	v_or3_b32 v69, v14, v69, v131
.LBB4_3962:                             ;   in Loop: Header=BB4_3936 Depth=4
	s_or_b32 exec_lo, exec_lo, s34
	s_delay_alu instid0(VALU_DEP_1) | instskip(SKIP_2) | instid1(VALU_DEP_2)
	v_mul_f32_e32 v14, v15, v69
	v_mov_b32_e32 v134, 0x80
	s_mov_b32 s34, exec_lo
	v_and_b32_e32 v69, 0x7f800000, v14
	s_delay_alu instid0(VALU_DEP_1)
	v_cmpx_ne_u32_e32 0x7f800000, v69
	s_cbranch_execz .LBB4_3970
; %bb.3963:                             ;   in Loop: Header=BB4_3936 Depth=4
	v_mov_b32_e32 v134, 0
	s_mov_b32 s35, exec_lo
	v_cmpx_ne_u32_e32 0, v14
	s_cbranch_execz .LBB4_3969
; %bb.3964:                             ;   in Loop: Header=BB4_3936 Depth=4
	v_bfe_u32 v69, v14, 23, 8
	s_delay_alu instid0(VALU_DEP_1) | instskip(SKIP_1) | instid1(VALU_DEP_2)
	v_sub_nc_u32_e32 v132, 0x70, v69
	v_cmp_gt_u32_e32 vcc_lo, 0x71, v69
	v_dual_cndmask_b32 v132, 0, v132 :: v_dual_and_b32 v131, 0x7fffff, v14
	s_delay_alu instid0(VALU_DEP_1) | instskip(SKIP_2) | instid1(VALU_DEP_4)
	v_or_b32_e32 v133, 0x800000, v131
	v_cmp_eq_u32_e32 vcc_lo, 0, v69
	v_add_nc_u32_e32 v69, 0xffffff91, v69
	v_cndmask_b32_e64 v132, v132, 0x6f, vcc_lo
	s_delay_alu instid0(VALU_DEP_2) | instskip(SKIP_1) | instid1(VALU_DEP_3)
	v_cndmask_b32_e64 v69, v69, 0xffffff92, vcc_lo
	v_cndmask_b32_e32 v131, v133, v131, vcc_lo
	v_lshl_add_u32 v133, 0x200000, v132, -1
	v_lshlrev_b32_e64 v144, v132, 0x100000
	s_delay_alu instid0(VALU_DEP_3) | instskip(SKIP_1) | instid1(VALU_DEP_4)
	v_lshrrev_b32_e32 v134, v132, v131
	v_add_nc_u32_e32 v132, v132, v69
	v_and_b32_e32 v131, v133, v131
	s_delay_alu instid0(VALU_DEP_3) | instskip(NEXT) | instid1(VALU_DEP_2)
	v_bfe_u32 v135, v134, 21, 1
	v_cmp_eq_u32_e64 s13, v131, v144
	s_delay_alu instid0(VALU_DEP_2) | instskip(NEXT) | instid1(VALU_DEP_1)
	v_add_nc_u32_e32 v133, -1, v135
	v_cndmask_b32_e64 v131, 0, v133, s13
	v_lshrrev_b32_e32 v133, 23, v134
	s_mov_b32 s13, exec_lo
	s_delay_alu instid0(VALU_DEP_2) | instskip(NEXT) | instid1(VALU_DEP_2)
	v_add_nc_u32_e32 v131, v131, v134
	v_xor_b32_e32 v133, 1, v133
	s_delay_alu instid0(VALU_DEP_2) | instskip(NEXT) | instid1(VALU_DEP_1)
	v_and_b32_e32 v69, 0x1fffff, v131
	v_add_nc_u32_e32 v131, v69, v134
                                        ; implicit-def: $vgpr69
	s_delay_alu instid0(VALU_DEP_3)
	v_cmpx_ne_u32_e64 v132, v133
	s_xor_b32 s13, exec_lo, s13
; %bb.3965:                             ;   in Loop: Header=BB4_3936 Depth=4
	s_delay_alu instid0(VALU_DEP_2) | instskip(SKIP_2) | instid1(VALU_DEP_2)
	v_cmp_lt_u32_e32 vcc_lo, 0xffffff, v131
	v_sub_nc_u32_e32 v69, v132, v133
	v_cndmask_b32_e64 v132, 0, 1, vcc_lo
	v_add_co_ci_u32_e32 v69, vcc_lo, 0, v69, vcc_lo
	s_delay_alu instid0(VALU_DEP_2)
	v_lshrrev_b32_e32 v131, v132, v131
; %bb.3966:                             ;   in Loop: Header=BB4_3936 Depth=4
	s_and_not1_saveexec_b32 s13, s13
; %bb.3967:                             ;   in Loop: Header=BB4_3936 Depth=4
	s_delay_alu instid0(VALU_DEP_1)
	v_bfe_u32 v69, v131, 23, 1
; %bb.3968:                             ;   in Loop: Header=BB4_3936 Depth=4
	s_or_b32 exec_lo, exec_lo, s13
	v_lshrrev_b32_e32 v131, 21, v131
	s_delay_alu instid0(VALU_DEP_2) | instskip(SKIP_2) | instid1(VALU_DEP_2)
	v_cmp_gt_i32_e32 vcc_lo, 32, v69
	v_lshrrev_b32_e32 v14, 24, v14
	v_min_i32_e32 v132, 31, v69
	v_dual_cndmask_b32 v131, 3, v131 :: v_dual_and_b32 v14, 0x80, v14
	s_delay_alu instid0(VALU_DEP_2) | instskip(NEXT) | instid1(VALU_DEP_2)
	v_lshlrev_b32_e32 v132, 2, v132
	v_or_b32_e32 v69, v69, v131
	s_delay_alu instid0(VALU_DEP_1) | instskip(SKIP_1) | instid1(VALU_DEP_1)
	v_cmp_ne_u32_e32 vcc_lo, 0, v69
	v_and_b32_e32 v133, 3, v131
	v_or3_b32 v14, v132, v14, v133
	s_delay_alu instid0(VALU_DEP_1)
	v_cndmask_b32_e32 v134, 0, v14, vcc_lo
.LBB4_3969:                             ;   in Loop: Header=BB4_3936 Depth=4
	s_or_b32 exec_lo, exec_lo, s35
.LBB4_3970:                             ;   in Loop: Header=BB4_3936 Depth=4
	s_delay_alu instid0(SALU_CYCLE_1)
	s_or_b32 exec_lo, exec_lo, s34
	flat_load_u8 v14, v[8:9] offset:64 slc dlc
	s_mov_b32 s13, 0
	s_mov_b32 s35, exec_lo
                                        ; implicit-def: $sgpr34
	s_waitcnt vmcnt(0) lgkmcnt(0)
	v_cmpx_lt_i16_e32 0x7f, v14
	s_xor_b32 s35, exec_lo, s35
	s_cbranch_execnz .LBB4_4403
; %bb.3971:                             ;   in Loop: Header=BB4_3936 Depth=4
	s_or_saveexec_b32 s35, s35
	v_mov_b32_e32 v69, s34
	s_xor_b32 exec_lo, exec_lo, s35
	s_cbranch_execnz .LBB4_4406
.LBB4_3972:                             ;   in Loop: Header=BB4_3936 Depth=4
	s_or_b32 exec_lo, exec_lo, s35
	s_and_saveexec_b32 s34, s13
	s_cbranch_execz .LBB4_3974
.LBB4_3973:                             ;   in Loop: Header=BB4_3936 Depth=4
	v_and_b32_e32 v69, 0xffff, v14
	s_delay_alu instid0(VALU_DEP_1) | instskip(NEXT) | instid1(VALU_DEP_1)
	v_and_b32_e32 v131, 3, v69
	v_clz_i32_u32_e32 v132, v131
	s_delay_alu instid0(VALU_DEP_1) | instskip(NEXT) | instid1(VALU_DEP_1)
	v_min_u32_e32 v132, 32, v132
	v_subrev_nc_u32_e32 v133, 29, v132
	v_sub_nc_u32_e32 v132, 30, v132
	s_delay_alu instid0(VALU_DEP_2) | instskip(SKIP_1) | instid1(VALU_DEP_2)
	v_lshlrev_b32_e32 v133, v133, v69
	v_bfe_u32 v69, v69, 2, 5
	v_and_b32_e32 v133, 3, v133
	s_delay_alu instid0(VALU_DEP_2) | instskip(SKIP_1) | instid1(VALU_DEP_1)
	v_cmp_eq_u32_e32 vcc_lo, 0, v69
	v_dual_cndmask_b32 v69, v69, v132 :: v_dual_lshlrev_b32 v14, 24, v14
	v_dual_cndmask_b32 v131, v131, v133 :: v_dual_and_b32 v14, 0x80000000, v14
	s_delay_alu instid0(VALU_DEP_2) | instskip(NEXT) | instid1(VALU_DEP_2)
	v_lshl_add_u32 v69, v69, 23, 0x37800000
	v_lshlrev_b32_e32 v131, 21, v131
	s_delay_alu instid0(VALU_DEP_1)
	v_or3_b32 v69, v14, v69, v131
.LBB4_3974:                             ;   in Loop: Header=BB4_3936 Depth=4
	s_or_b32 exec_lo, exec_lo, s34
	s_delay_alu instid0(VALU_DEP_1) | instskip(SKIP_2) | instid1(VALU_DEP_2)
	v_mul_f32_e32 v14, v15, v69
	v_mov_b32_e32 v148, 0x80
	s_mov_b32 s34, exec_lo
	v_and_b32_e32 v69, 0x7f800000, v14
	s_delay_alu instid0(VALU_DEP_1)
	v_cmpx_ne_u32_e32 0x7f800000, v69
	s_cbranch_execz .LBB4_3982
; %bb.3975:                             ;   in Loop: Header=BB4_3936 Depth=4
	v_mov_b32_e32 v148, 0
	s_mov_b32 s35, exec_lo
	v_cmpx_ne_u32_e32 0, v14
	s_cbranch_execz .LBB4_3981
; %bb.3976:                             ;   in Loop: Header=BB4_3936 Depth=4
	v_bfe_u32 v69, v14, 23, 8
	s_delay_alu instid0(VALU_DEP_1) | instskip(SKIP_1) | instid1(VALU_DEP_2)
	v_sub_nc_u32_e32 v132, 0x70, v69
	v_cmp_gt_u32_e32 vcc_lo, 0x71, v69
	v_dual_cndmask_b32 v132, 0, v132 :: v_dual_and_b32 v131, 0x7fffff, v14
	s_delay_alu instid0(VALU_DEP_1) | instskip(SKIP_2) | instid1(VALU_DEP_4)
	v_or_b32_e32 v133, 0x800000, v131
	v_cmp_eq_u32_e32 vcc_lo, 0, v69
	v_add_nc_u32_e32 v69, 0xffffff91, v69
	v_cndmask_b32_e64 v132, v132, 0x6f, vcc_lo
	s_delay_alu instid0(VALU_DEP_2) | instskip(SKIP_1) | instid1(VALU_DEP_3)
	v_cndmask_b32_e64 v69, v69, 0xffffff92, vcc_lo
	v_cndmask_b32_e32 v131, v133, v131, vcc_lo
	v_lshl_add_u32 v133, 0x200000, v132, -1
	v_lshlrev_b32_e64 v145, v132, 0x100000
	s_delay_alu instid0(VALU_DEP_3) | instskip(SKIP_1) | instid1(VALU_DEP_4)
	v_lshrrev_b32_e32 v135, v132, v131
	v_add_nc_u32_e32 v132, v132, v69
	v_and_b32_e32 v131, v133, v131
	s_delay_alu instid0(VALU_DEP_3) | instskip(NEXT) | instid1(VALU_DEP_2)
	v_bfe_u32 v144, v135, 21, 1
	v_cmp_eq_u32_e64 s13, v131, v145
	s_delay_alu instid0(VALU_DEP_2) | instskip(NEXT) | instid1(VALU_DEP_1)
	v_add_nc_u32_e32 v133, -1, v144
	v_cndmask_b32_e64 v131, 0, v133, s13
	v_lshrrev_b32_e32 v133, 23, v135
	s_mov_b32 s13, exec_lo
	s_delay_alu instid0(VALU_DEP_2) | instskip(NEXT) | instid1(VALU_DEP_2)
	v_add_nc_u32_e32 v131, v131, v135
	v_xor_b32_e32 v133, 1, v133
	s_delay_alu instid0(VALU_DEP_2) | instskip(NEXT) | instid1(VALU_DEP_1)
	v_and_b32_e32 v69, 0x1fffff, v131
	v_add_nc_u32_e32 v131, v69, v135
                                        ; implicit-def: $vgpr69
	s_delay_alu instid0(VALU_DEP_3)
	v_cmpx_ne_u32_e64 v132, v133
	s_xor_b32 s13, exec_lo, s13
; %bb.3977:                             ;   in Loop: Header=BB4_3936 Depth=4
	s_delay_alu instid0(VALU_DEP_2) | instskip(SKIP_2) | instid1(VALU_DEP_2)
	v_cmp_lt_u32_e32 vcc_lo, 0xffffff, v131
	v_sub_nc_u32_e32 v69, v132, v133
	v_cndmask_b32_e64 v132, 0, 1, vcc_lo
	v_add_co_ci_u32_e32 v69, vcc_lo, 0, v69, vcc_lo
	s_delay_alu instid0(VALU_DEP_2)
	v_lshrrev_b32_e32 v131, v132, v131
; %bb.3978:                             ;   in Loop: Header=BB4_3936 Depth=4
	s_and_not1_saveexec_b32 s13, s13
; %bb.3979:                             ;   in Loop: Header=BB4_3936 Depth=4
	s_delay_alu instid0(VALU_DEP_1)
	v_bfe_u32 v69, v131, 23, 1
; %bb.3980:                             ;   in Loop: Header=BB4_3936 Depth=4
	s_or_b32 exec_lo, exec_lo, s13
	v_lshrrev_b32_e32 v131, 21, v131
	s_delay_alu instid0(VALU_DEP_2) | instskip(SKIP_2) | instid1(VALU_DEP_2)
	v_cmp_gt_i32_e32 vcc_lo, 32, v69
	v_lshrrev_b32_e32 v14, 24, v14
	v_min_i32_e32 v132, 31, v69
	v_dual_cndmask_b32 v131, 3, v131 :: v_dual_and_b32 v14, 0x80, v14
	s_delay_alu instid0(VALU_DEP_2) | instskip(NEXT) | instid1(VALU_DEP_2)
	v_lshlrev_b32_e32 v132, 2, v132
	v_or_b32_e32 v69, v69, v131
	s_delay_alu instid0(VALU_DEP_1) | instskip(SKIP_1) | instid1(VALU_DEP_1)
	v_cmp_ne_u32_e32 vcc_lo, 0, v69
	v_and_b32_e32 v133, 3, v131
	v_or3_b32 v14, v132, v14, v133
	s_delay_alu instid0(VALU_DEP_1)
	v_cndmask_b32_e32 v148, 0, v14, vcc_lo
.LBB4_3981:                             ;   in Loop: Header=BB4_3936 Depth=4
	s_or_b32 exec_lo, exec_lo, s35
.LBB4_3982:                             ;   in Loop: Header=BB4_3936 Depth=4
	s_delay_alu instid0(SALU_CYCLE_1)
	s_or_b32 exec_lo, exec_lo, s34
	flat_load_u8 v14, v[8:9] offset:96 slc dlc
	s_mov_b32 s13, 0
	s_mov_b32 s35, exec_lo
                                        ; implicit-def: $sgpr34
	s_waitcnt vmcnt(0) lgkmcnt(0)
	v_cmpx_lt_i16_e32 0x7f, v14
	s_xor_b32 s35, exec_lo, s35
	s_cbranch_execnz .LBB4_4407
; %bb.3983:                             ;   in Loop: Header=BB4_3936 Depth=4
	s_or_saveexec_b32 s35, s35
	v_mov_b32_e32 v69, s34
	s_xor_b32 exec_lo, exec_lo, s35
	s_cbranch_execnz .LBB4_4410
.LBB4_3984:                             ;   in Loop: Header=BB4_3936 Depth=4
	s_or_b32 exec_lo, exec_lo, s35
	s_and_saveexec_b32 s34, s13
	s_cbranch_execz .LBB4_3986
.LBB4_3985:                             ;   in Loop: Header=BB4_3936 Depth=4
	v_and_b32_e32 v69, 0xffff, v14
	s_delay_alu instid0(VALU_DEP_1) | instskip(NEXT) | instid1(VALU_DEP_1)
	v_and_b32_e32 v131, 3, v69
	v_clz_i32_u32_e32 v132, v131
	s_delay_alu instid0(VALU_DEP_1) | instskip(NEXT) | instid1(VALU_DEP_1)
	v_min_u32_e32 v132, 32, v132
	v_subrev_nc_u32_e32 v133, 29, v132
	v_sub_nc_u32_e32 v132, 30, v132
	s_delay_alu instid0(VALU_DEP_2) | instskip(SKIP_1) | instid1(VALU_DEP_2)
	v_lshlrev_b32_e32 v133, v133, v69
	v_bfe_u32 v69, v69, 2, 5
	v_and_b32_e32 v133, 3, v133
	s_delay_alu instid0(VALU_DEP_2) | instskip(SKIP_1) | instid1(VALU_DEP_1)
	v_cmp_eq_u32_e32 vcc_lo, 0, v69
	v_dual_cndmask_b32 v69, v69, v132 :: v_dual_lshlrev_b32 v14, 24, v14
	v_dual_cndmask_b32 v131, v131, v133 :: v_dual_and_b32 v14, 0x80000000, v14
	s_delay_alu instid0(VALU_DEP_2) | instskip(NEXT) | instid1(VALU_DEP_2)
	v_lshl_add_u32 v69, v69, 23, 0x37800000
	v_lshlrev_b32_e32 v131, 21, v131
	s_delay_alu instid0(VALU_DEP_1)
	v_or3_b32 v69, v14, v69, v131
.LBB4_3986:                             ;   in Loop: Header=BB4_3936 Depth=4
	s_or_b32 exec_lo, exec_lo, s34
	s_delay_alu instid0(VALU_DEP_1) | instskip(SKIP_1) | instid1(VALU_DEP_1)
	v_dual_mul_f32 v14, v15, v69 :: v_dual_mov_b32 v161, 0x80
	s_mov_b32 s34, exec_lo
	v_and_b32_e32 v69, 0x7f800000, v14
	s_delay_alu instid0(VALU_DEP_1)
	v_cmpx_ne_u32_e32 0x7f800000, v69
	s_cbranch_execz .LBB4_3994
; %bb.3987:                             ;   in Loop: Header=BB4_3936 Depth=4
	v_mov_b32_e32 v161, 0
	s_mov_b32 s35, exec_lo
	v_cmpx_ne_u32_e32 0, v14
	s_cbranch_execz .LBB4_3993
; %bb.3988:                             ;   in Loop: Header=BB4_3936 Depth=4
	v_bfe_u32 v69, v14, 23, 8
	s_delay_alu instid0(VALU_DEP_1) | instskip(SKIP_1) | instid1(VALU_DEP_2)
	v_sub_nc_u32_e32 v132, 0x70, v69
	v_cmp_gt_u32_e32 vcc_lo, 0x71, v69
	v_dual_cndmask_b32 v132, 0, v132 :: v_dual_and_b32 v131, 0x7fffff, v14
	s_delay_alu instid0(VALU_DEP_1) | instskip(SKIP_2) | instid1(VALU_DEP_4)
	v_or_b32_e32 v133, 0x800000, v131
	v_cmp_eq_u32_e32 vcc_lo, 0, v69
	v_add_nc_u32_e32 v69, 0xffffff91, v69
	v_cndmask_b32_e64 v132, v132, 0x6f, vcc_lo
	s_delay_alu instid0(VALU_DEP_2) | instskip(SKIP_1) | instid1(VALU_DEP_3)
	v_cndmask_b32_e64 v69, v69, 0xffffff92, vcc_lo
	v_cndmask_b32_e32 v131, v133, v131, vcc_lo
	v_lshl_add_u32 v133, 0x200000, v132, -1
	v_lshlrev_b32_e64 v145, v132, 0x100000
	s_delay_alu instid0(VALU_DEP_3) | instskip(SKIP_1) | instid1(VALU_DEP_4)
	v_lshrrev_b32_e32 v135, v132, v131
	v_add_nc_u32_e32 v132, v132, v69
	v_and_b32_e32 v131, v133, v131
	s_delay_alu instid0(VALU_DEP_3) | instskip(NEXT) | instid1(VALU_DEP_2)
	v_bfe_u32 v144, v135, 21, 1
	v_cmp_eq_u32_e64 s13, v131, v145
	s_delay_alu instid0(VALU_DEP_2) | instskip(NEXT) | instid1(VALU_DEP_1)
	v_add_nc_u32_e32 v133, -1, v144
	v_cndmask_b32_e64 v131, 0, v133, s13
	v_lshrrev_b32_e32 v133, 23, v135
	s_mov_b32 s13, exec_lo
	s_delay_alu instid0(VALU_DEP_2) | instskip(NEXT) | instid1(VALU_DEP_2)
	v_add_nc_u32_e32 v131, v131, v135
	v_xor_b32_e32 v133, 1, v133
	s_delay_alu instid0(VALU_DEP_2) | instskip(NEXT) | instid1(VALU_DEP_1)
	v_and_b32_e32 v69, 0x1fffff, v131
	v_add_nc_u32_e32 v131, v69, v135
                                        ; implicit-def: $vgpr69
	s_delay_alu instid0(VALU_DEP_3)
	v_cmpx_ne_u32_e64 v132, v133
	s_xor_b32 s13, exec_lo, s13
; %bb.3989:                             ;   in Loop: Header=BB4_3936 Depth=4
	s_delay_alu instid0(VALU_DEP_2) | instskip(SKIP_2) | instid1(VALU_DEP_2)
	v_cmp_lt_u32_e32 vcc_lo, 0xffffff, v131
	v_sub_nc_u32_e32 v69, v132, v133
	v_cndmask_b32_e64 v132, 0, 1, vcc_lo
	v_add_co_ci_u32_e32 v69, vcc_lo, 0, v69, vcc_lo
	s_delay_alu instid0(VALU_DEP_2)
	v_lshrrev_b32_e32 v131, v132, v131
; %bb.3990:                             ;   in Loop: Header=BB4_3936 Depth=4
	s_and_not1_saveexec_b32 s13, s13
; %bb.3991:                             ;   in Loop: Header=BB4_3936 Depth=4
	s_delay_alu instid0(VALU_DEP_1)
	v_bfe_u32 v69, v131, 23, 1
; %bb.3992:                             ;   in Loop: Header=BB4_3936 Depth=4
	s_or_b32 exec_lo, exec_lo, s13
	v_lshrrev_b32_e32 v131, 21, v131
	s_delay_alu instid0(VALU_DEP_2) | instskip(SKIP_2) | instid1(VALU_DEP_2)
	v_cmp_gt_i32_e32 vcc_lo, 32, v69
	v_lshrrev_b32_e32 v14, 24, v14
	v_min_i32_e32 v132, 31, v69
	v_dual_cndmask_b32 v131, 3, v131 :: v_dual_and_b32 v14, 0x80, v14
	s_delay_alu instid0(VALU_DEP_1) | instskip(SKIP_1) | instid1(VALU_DEP_2)
	v_or_b32_e32 v69, v69, v131
	v_and_b32_e32 v133, 3, v131
	v_cmp_ne_u32_e32 vcc_lo, 0, v69
	v_lshlrev_b32_e32 v132, 2, v132
	s_delay_alu instid0(VALU_DEP_1) | instskip(NEXT) | instid1(VALU_DEP_1)
	v_or3_b32 v14, v132, v14, v133
	v_cndmask_b32_e32 v161, 0, v14, vcc_lo
.LBB4_3993:                             ;   in Loop: Header=BB4_3936 Depth=4
	s_or_b32 exec_lo, exec_lo, s35
.LBB4_3994:                             ;   in Loop: Header=BB4_3936 Depth=4
	s_delay_alu instid0(SALU_CYCLE_1)
	s_or_b32 exec_lo, exec_lo, s34
	flat_load_u8 v14, v[8:9] offset:128 slc dlc
	s_mov_b32 s13, 0
	s_mov_b32 s35, exec_lo
                                        ; implicit-def: $sgpr34
	s_waitcnt vmcnt(0) lgkmcnt(0)
	v_cmpx_lt_i16_e32 0x7f, v14
	s_xor_b32 s35, exec_lo, s35
	s_cbranch_execnz .LBB4_4411
; %bb.3995:                             ;   in Loop: Header=BB4_3936 Depth=4
	s_or_saveexec_b32 s35, s35
	v_mov_b32_e32 v69, s34
	s_xor_b32 exec_lo, exec_lo, s35
	s_cbranch_execnz .LBB4_4414
.LBB4_3996:                             ;   in Loop: Header=BB4_3936 Depth=4
	s_or_b32 exec_lo, exec_lo, s35
	s_and_saveexec_b32 s34, s13
	s_cbranch_execz .LBB4_3998
.LBB4_3997:                             ;   in Loop: Header=BB4_3936 Depth=4
	v_and_b32_e32 v69, 0xffff, v14
	s_delay_alu instid0(VALU_DEP_1) | instskip(NEXT) | instid1(VALU_DEP_1)
	v_and_b32_e32 v131, 3, v69
	v_clz_i32_u32_e32 v132, v131
	s_delay_alu instid0(VALU_DEP_1) | instskip(NEXT) | instid1(VALU_DEP_1)
	v_min_u32_e32 v132, 32, v132
	v_subrev_nc_u32_e32 v133, 29, v132
	v_sub_nc_u32_e32 v132, 30, v132
	s_delay_alu instid0(VALU_DEP_2) | instskip(SKIP_1) | instid1(VALU_DEP_2)
	v_lshlrev_b32_e32 v133, v133, v69
	v_bfe_u32 v69, v69, 2, 5
	v_and_b32_e32 v133, 3, v133
	s_delay_alu instid0(VALU_DEP_2) | instskip(SKIP_1) | instid1(VALU_DEP_1)
	v_cmp_eq_u32_e32 vcc_lo, 0, v69
	v_dual_cndmask_b32 v69, v69, v132 :: v_dual_lshlrev_b32 v14, 24, v14
	v_dual_cndmask_b32 v131, v131, v133 :: v_dual_and_b32 v14, 0x80000000, v14
	s_delay_alu instid0(VALU_DEP_2) | instskip(NEXT) | instid1(VALU_DEP_2)
	v_lshl_add_u32 v69, v69, 23, 0x37800000
	v_lshlrev_b32_e32 v131, 21, v131
	s_delay_alu instid0(VALU_DEP_1)
	v_or3_b32 v69, v14, v69, v131
.LBB4_3998:                             ;   in Loop: Header=BB4_3936 Depth=4
	s_or_b32 exec_lo, exec_lo, s34
	s_delay_alu instid0(VALU_DEP_1) | instskip(SKIP_2) | instid1(VALU_DEP_2)
	v_mul_f32_e32 v14, v15, v69
	v_mov_b32_e32 v162, 0x80
	s_mov_b32 s34, exec_lo
	v_and_b32_e32 v69, 0x7f800000, v14
	s_delay_alu instid0(VALU_DEP_1)
	v_cmpx_ne_u32_e32 0x7f800000, v69
	s_cbranch_execz .LBB4_4006
; %bb.3999:                             ;   in Loop: Header=BB4_3936 Depth=4
	v_mov_b32_e32 v162, 0
	s_mov_b32 s35, exec_lo
	v_cmpx_ne_u32_e32 0, v14
	s_cbranch_execz .LBB4_4005
; %bb.4000:                             ;   in Loop: Header=BB4_3936 Depth=4
	v_bfe_u32 v69, v14, 23, 8
	s_delay_alu instid0(VALU_DEP_1) | instskip(SKIP_1) | instid1(VALU_DEP_2)
	v_sub_nc_u32_e32 v132, 0x70, v69
	v_cmp_gt_u32_e32 vcc_lo, 0x71, v69
	v_dual_cndmask_b32 v132, 0, v132 :: v_dual_and_b32 v131, 0x7fffff, v14
	s_delay_alu instid0(VALU_DEP_1) | instskip(SKIP_2) | instid1(VALU_DEP_4)
	v_or_b32_e32 v133, 0x800000, v131
	v_cmp_eq_u32_e32 vcc_lo, 0, v69
	v_add_nc_u32_e32 v69, 0xffffff91, v69
	v_cndmask_b32_e64 v132, v132, 0x6f, vcc_lo
	s_delay_alu instid0(VALU_DEP_2) | instskip(SKIP_1) | instid1(VALU_DEP_3)
	v_cndmask_b32_e64 v69, v69, 0xffffff92, vcc_lo
	v_cndmask_b32_e32 v131, v133, v131, vcc_lo
	v_lshl_add_u32 v133, 0x200000, v132, -1
	v_lshlrev_b32_e64 v145, v132, 0x100000
	s_delay_alu instid0(VALU_DEP_3) | instskip(SKIP_1) | instid1(VALU_DEP_4)
	v_lshrrev_b32_e32 v135, v132, v131
	v_add_nc_u32_e32 v132, v132, v69
	v_and_b32_e32 v131, v133, v131
	s_delay_alu instid0(VALU_DEP_3) | instskip(NEXT) | instid1(VALU_DEP_2)
	v_bfe_u32 v144, v135, 21, 1
	v_cmp_eq_u32_e64 s13, v131, v145
	s_delay_alu instid0(VALU_DEP_2) | instskip(NEXT) | instid1(VALU_DEP_1)
	v_add_nc_u32_e32 v133, -1, v144
	v_cndmask_b32_e64 v131, 0, v133, s13
	v_lshrrev_b32_e32 v133, 23, v135
	s_mov_b32 s13, exec_lo
	s_delay_alu instid0(VALU_DEP_2) | instskip(NEXT) | instid1(VALU_DEP_2)
	v_add_nc_u32_e32 v131, v131, v135
	v_xor_b32_e32 v133, 1, v133
	s_delay_alu instid0(VALU_DEP_2) | instskip(NEXT) | instid1(VALU_DEP_1)
	v_and_b32_e32 v69, 0x1fffff, v131
	v_add_nc_u32_e32 v131, v69, v135
                                        ; implicit-def: $vgpr69
	s_delay_alu instid0(VALU_DEP_3)
	v_cmpx_ne_u32_e64 v132, v133
	s_xor_b32 s13, exec_lo, s13
; %bb.4001:                             ;   in Loop: Header=BB4_3936 Depth=4
	s_delay_alu instid0(VALU_DEP_2) | instskip(SKIP_2) | instid1(VALU_DEP_2)
	v_cmp_lt_u32_e32 vcc_lo, 0xffffff, v131
	v_sub_nc_u32_e32 v69, v132, v133
	v_cndmask_b32_e64 v132, 0, 1, vcc_lo
	v_add_co_ci_u32_e32 v69, vcc_lo, 0, v69, vcc_lo
	s_delay_alu instid0(VALU_DEP_2)
	v_lshrrev_b32_e32 v131, v132, v131
; %bb.4002:                             ;   in Loop: Header=BB4_3936 Depth=4
	s_and_not1_saveexec_b32 s13, s13
; %bb.4003:                             ;   in Loop: Header=BB4_3936 Depth=4
	s_delay_alu instid0(VALU_DEP_1)
	v_bfe_u32 v69, v131, 23, 1
; %bb.4004:                             ;   in Loop: Header=BB4_3936 Depth=4
	s_or_b32 exec_lo, exec_lo, s13
	v_lshrrev_b32_e32 v131, 21, v131
	s_delay_alu instid0(VALU_DEP_2) | instskip(SKIP_2) | instid1(VALU_DEP_2)
	v_cmp_gt_i32_e32 vcc_lo, 32, v69
	v_lshrrev_b32_e32 v14, 24, v14
	v_min_i32_e32 v132, 31, v69
	v_dual_cndmask_b32 v131, 3, v131 :: v_dual_and_b32 v14, 0x80, v14
	s_delay_alu instid0(VALU_DEP_2) | instskip(NEXT) | instid1(VALU_DEP_2)
	v_lshlrev_b32_e32 v132, 2, v132
	v_or_b32_e32 v69, v69, v131
	s_delay_alu instid0(VALU_DEP_1) | instskip(SKIP_1) | instid1(VALU_DEP_1)
	v_cmp_ne_u32_e32 vcc_lo, 0, v69
	v_and_b32_e32 v133, 3, v131
	v_or3_b32 v14, v132, v14, v133
	s_delay_alu instid0(VALU_DEP_1)
	v_cndmask_b32_e32 v162, 0, v14, vcc_lo
.LBB4_4005:                             ;   in Loop: Header=BB4_3936 Depth=4
	s_or_b32 exec_lo, exec_lo, s35
.LBB4_4006:                             ;   in Loop: Header=BB4_3936 Depth=4
	s_delay_alu instid0(SALU_CYCLE_1)
	s_or_b32 exec_lo, exec_lo, s34
	flat_load_u8 v14, v[8:9] offset:160 slc dlc
	s_mov_b32 s13, 0
	s_mov_b32 s35, exec_lo
                                        ; implicit-def: $sgpr34
	s_waitcnt vmcnt(0) lgkmcnt(0)
	v_cmpx_lt_i16_e32 0x7f, v14
	s_xor_b32 s35, exec_lo, s35
	s_cbranch_execnz .LBB4_4415
; %bb.4007:                             ;   in Loop: Header=BB4_3936 Depth=4
	s_or_saveexec_b32 s35, s35
	v_mov_b32_e32 v69, s34
	s_xor_b32 exec_lo, exec_lo, s35
	s_cbranch_execnz .LBB4_4418
.LBB4_4008:                             ;   in Loop: Header=BB4_3936 Depth=4
	s_or_b32 exec_lo, exec_lo, s35
	s_and_saveexec_b32 s34, s13
	s_cbranch_execz .LBB4_4010
.LBB4_4009:                             ;   in Loop: Header=BB4_3936 Depth=4
	v_and_b32_e32 v69, 0xffff, v14
	s_delay_alu instid0(VALU_DEP_1) | instskip(NEXT) | instid1(VALU_DEP_1)
	v_and_b32_e32 v131, 3, v69
	v_clz_i32_u32_e32 v132, v131
	s_delay_alu instid0(VALU_DEP_1) | instskip(NEXT) | instid1(VALU_DEP_1)
	v_min_u32_e32 v132, 32, v132
	v_subrev_nc_u32_e32 v133, 29, v132
	v_sub_nc_u32_e32 v132, 30, v132
	s_delay_alu instid0(VALU_DEP_2) | instskip(SKIP_1) | instid1(VALU_DEP_2)
	v_lshlrev_b32_e32 v133, v133, v69
	v_bfe_u32 v69, v69, 2, 5
	v_and_b32_e32 v133, 3, v133
	s_delay_alu instid0(VALU_DEP_2) | instskip(SKIP_1) | instid1(VALU_DEP_1)
	v_cmp_eq_u32_e32 vcc_lo, 0, v69
	v_dual_cndmask_b32 v69, v69, v132 :: v_dual_lshlrev_b32 v14, 24, v14
	v_dual_cndmask_b32 v131, v131, v133 :: v_dual_and_b32 v14, 0x80000000, v14
	s_delay_alu instid0(VALU_DEP_2) | instskip(NEXT) | instid1(VALU_DEP_2)
	v_lshl_add_u32 v69, v69, 23, 0x37800000
	v_lshlrev_b32_e32 v131, 21, v131
	s_delay_alu instid0(VALU_DEP_1)
	v_or3_b32 v69, v14, v69, v131
.LBB4_4010:                             ;   in Loop: Header=BB4_3936 Depth=4
	s_or_b32 exec_lo, exec_lo, s34
	s_delay_alu instid0(VALU_DEP_1) | instskip(SKIP_2) | instid1(VALU_DEP_2)
	v_mul_f32_e32 v14, v15, v69
	v_mov_b32_e32 v160, 0x80
	s_mov_b32 s34, exec_lo
	v_and_b32_e32 v69, 0x7f800000, v14
	s_delay_alu instid0(VALU_DEP_1)
	v_cmpx_ne_u32_e32 0x7f800000, v69
	s_cbranch_execz .LBB4_4018
; %bb.4011:                             ;   in Loop: Header=BB4_3936 Depth=4
	v_mov_b32_e32 v160, 0
	s_mov_b32 s35, exec_lo
	v_cmpx_ne_u32_e32 0, v14
	s_cbranch_execz .LBB4_4017
; %bb.4012:                             ;   in Loop: Header=BB4_3936 Depth=4
	v_bfe_u32 v69, v14, 23, 8
	s_delay_alu instid0(VALU_DEP_1) | instskip(SKIP_1) | instid1(VALU_DEP_2)
	v_sub_nc_u32_e32 v132, 0x70, v69
	v_cmp_gt_u32_e32 vcc_lo, 0x71, v69
	v_dual_cndmask_b32 v132, 0, v132 :: v_dual_and_b32 v131, 0x7fffff, v14
	s_delay_alu instid0(VALU_DEP_1) | instskip(SKIP_2) | instid1(VALU_DEP_4)
	v_or_b32_e32 v133, 0x800000, v131
	v_cmp_eq_u32_e32 vcc_lo, 0, v69
	v_add_nc_u32_e32 v69, 0xffffff91, v69
	v_cndmask_b32_e64 v132, v132, 0x6f, vcc_lo
	s_delay_alu instid0(VALU_DEP_2) | instskip(SKIP_1) | instid1(VALU_DEP_3)
	v_cndmask_b32_e64 v69, v69, 0xffffff92, vcc_lo
	v_cndmask_b32_e32 v131, v133, v131, vcc_lo
	v_lshl_add_u32 v133, 0x200000, v132, -1
	v_lshlrev_b32_e64 v145, v132, 0x100000
	s_delay_alu instid0(VALU_DEP_3) | instskip(SKIP_1) | instid1(VALU_DEP_4)
	v_lshrrev_b32_e32 v135, v132, v131
	v_add_nc_u32_e32 v132, v132, v69
	v_and_b32_e32 v131, v133, v131
	s_delay_alu instid0(VALU_DEP_3) | instskip(NEXT) | instid1(VALU_DEP_2)
	v_bfe_u32 v144, v135, 21, 1
	v_cmp_eq_u32_e64 s13, v131, v145
	s_delay_alu instid0(VALU_DEP_2) | instskip(NEXT) | instid1(VALU_DEP_1)
	v_add_nc_u32_e32 v133, -1, v144
	v_cndmask_b32_e64 v131, 0, v133, s13
	v_lshrrev_b32_e32 v133, 23, v135
	s_mov_b32 s13, exec_lo
	s_delay_alu instid0(VALU_DEP_2) | instskip(NEXT) | instid1(VALU_DEP_2)
	v_add_nc_u32_e32 v131, v131, v135
	v_xor_b32_e32 v133, 1, v133
	s_delay_alu instid0(VALU_DEP_2) | instskip(NEXT) | instid1(VALU_DEP_1)
	v_and_b32_e32 v69, 0x1fffff, v131
	v_add_nc_u32_e32 v131, v69, v135
                                        ; implicit-def: $vgpr69
	s_delay_alu instid0(VALU_DEP_3)
	v_cmpx_ne_u32_e64 v132, v133
	s_xor_b32 s13, exec_lo, s13
; %bb.4013:                             ;   in Loop: Header=BB4_3936 Depth=4
	s_delay_alu instid0(VALU_DEP_2) | instskip(SKIP_2) | instid1(VALU_DEP_2)
	v_cmp_lt_u32_e32 vcc_lo, 0xffffff, v131
	v_sub_nc_u32_e32 v69, v132, v133
	v_cndmask_b32_e64 v132, 0, 1, vcc_lo
	v_add_co_ci_u32_e32 v69, vcc_lo, 0, v69, vcc_lo
	s_delay_alu instid0(VALU_DEP_2)
	v_lshrrev_b32_e32 v131, v132, v131
; %bb.4014:                             ;   in Loop: Header=BB4_3936 Depth=4
	s_and_not1_saveexec_b32 s13, s13
; %bb.4015:                             ;   in Loop: Header=BB4_3936 Depth=4
	s_delay_alu instid0(VALU_DEP_1)
	v_bfe_u32 v69, v131, 23, 1
; %bb.4016:                             ;   in Loop: Header=BB4_3936 Depth=4
	s_or_b32 exec_lo, exec_lo, s13
	v_lshrrev_b32_e32 v131, 21, v131
	s_delay_alu instid0(VALU_DEP_2) | instskip(SKIP_2) | instid1(VALU_DEP_2)
	v_cmp_gt_i32_e32 vcc_lo, 32, v69
	v_lshrrev_b32_e32 v14, 24, v14
	v_min_i32_e32 v132, 31, v69
	v_dual_cndmask_b32 v131, 3, v131 :: v_dual_and_b32 v14, 0x80, v14
	s_delay_alu instid0(VALU_DEP_2) | instskip(NEXT) | instid1(VALU_DEP_2)
	v_lshlrev_b32_e32 v132, 2, v132
	v_or_b32_e32 v69, v69, v131
	s_delay_alu instid0(VALU_DEP_1) | instskip(SKIP_1) | instid1(VALU_DEP_1)
	v_cmp_ne_u32_e32 vcc_lo, 0, v69
	v_and_b32_e32 v133, 3, v131
	v_or3_b32 v14, v132, v14, v133
	s_delay_alu instid0(VALU_DEP_1)
	v_cndmask_b32_e32 v160, 0, v14, vcc_lo
.LBB4_4017:                             ;   in Loop: Header=BB4_3936 Depth=4
	s_or_b32 exec_lo, exec_lo, s35
.LBB4_4018:                             ;   in Loop: Header=BB4_3936 Depth=4
	s_delay_alu instid0(SALU_CYCLE_1)
	s_or_b32 exec_lo, exec_lo, s34
	flat_load_u8 v14, v[8:9] offset:192 slc dlc
	s_mov_b32 s13, 0
	s_mov_b32 s35, exec_lo
                                        ; implicit-def: $sgpr34
	s_waitcnt vmcnt(0) lgkmcnt(0)
	v_cmpx_lt_i16_e32 0x7f, v14
	s_xor_b32 s35, exec_lo, s35
	s_cbranch_execnz .LBB4_4419
; %bb.4019:                             ;   in Loop: Header=BB4_3936 Depth=4
	s_or_saveexec_b32 s35, s35
	v_mov_b32_e32 v69, s34
	s_xor_b32 exec_lo, exec_lo, s35
	s_cbranch_execnz .LBB4_4422
.LBB4_4020:                             ;   in Loop: Header=BB4_3936 Depth=4
	s_or_b32 exec_lo, exec_lo, s35
	s_and_saveexec_b32 s34, s13
	s_cbranch_execz .LBB4_4022
.LBB4_4021:                             ;   in Loop: Header=BB4_3936 Depth=4
	v_and_b32_e32 v69, 0xffff, v14
	s_delay_alu instid0(VALU_DEP_1) | instskip(NEXT) | instid1(VALU_DEP_1)
	v_and_b32_e32 v131, 3, v69
	v_clz_i32_u32_e32 v132, v131
	s_delay_alu instid0(VALU_DEP_1) | instskip(NEXT) | instid1(VALU_DEP_1)
	v_min_u32_e32 v132, 32, v132
	v_subrev_nc_u32_e32 v133, 29, v132
	v_sub_nc_u32_e32 v132, 30, v132
	s_delay_alu instid0(VALU_DEP_2) | instskip(SKIP_1) | instid1(VALU_DEP_2)
	v_lshlrev_b32_e32 v133, v133, v69
	v_bfe_u32 v69, v69, 2, 5
	v_and_b32_e32 v133, 3, v133
	s_delay_alu instid0(VALU_DEP_2) | instskip(SKIP_1) | instid1(VALU_DEP_1)
	v_cmp_eq_u32_e32 vcc_lo, 0, v69
	v_dual_cndmask_b32 v69, v69, v132 :: v_dual_lshlrev_b32 v14, 24, v14
	v_dual_cndmask_b32 v131, v131, v133 :: v_dual_and_b32 v14, 0x80000000, v14
	s_delay_alu instid0(VALU_DEP_2) | instskip(NEXT) | instid1(VALU_DEP_2)
	v_lshl_add_u32 v69, v69, 23, 0x37800000
	v_lshlrev_b32_e32 v131, 21, v131
	s_delay_alu instid0(VALU_DEP_1)
	v_or3_b32 v69, v14, v69, v131
.LBB4_4022:                             ;   in Loop: Header=BB4_3936 Depth=4
	s_or_b32 exec_lo, exec_lo, s34
	s_delay_alu instid0(VALU_DEP_1) | instskip(SKIP_1) | instid1(VALU_DEP_1)
	v_dual_mul_f32 v14, v15, v69 :: v_dual_mov_b32 v151, 0x80
	s_mov_b32 s34, exec_lo
	v_and_b32_e32 v69, 0x7f800000, v14
	s_delay_alu instid0(VALU_DEP_1)
	v_cmpx_ne_u32_e32 0x7f800000, v69
	s_cbranch_execz .LBB4_4030
; %bb.4023:                             ;   in Loop: Header=BB4_3936 Depth=4
	v_mov_b32_e32 v151, 0
	s_mov_b32 s35, exec_lo
	v_cmpx_ne_u32_e32 0, v14
	s_cbranch_execz .LBB4_4029
; %bb.4024:                             ;   in Loop: Header=BB4_3936 Depth=4
	v_bfe_u32 v69, v14, 23, 8
	s_delay_alu instid0(VALU_DEP_1) | instskip(SKIP_1) | instid1(VALU_DEP_2)
	v_sub_nc_u32_e32 v132, 0x70, v69
	v_cmp_gt_u32_e32 vcc_lo, 0x71, v69
	v_dual_cndmask_b32 v132, 0, v132 :: v_dual_and_b32 v131, 0x7fffff, v14
	s_delay_alu instid0(VALU_DEP_1) | instskip(SKIP_2) | instid1(VALU_DEP_4)
	v_or_b32_e32 v133, 0x800000, v131
	v_cmp_eq_u32_e32 vcc_lo, 0, v69
	v_add_nc_u32_e32 v69, 0xffffff91, v69
	v_cndmask_b32_e64 v132, v132, 0x6f, vcc_lo
	s_delay_alu instid0(VALU_DEP_2) | instskip(SKIP_1) | instid1(VALU_DEP_3)
	v_cndmask_b32_e64 v69, v69, 0xffffff92, vcc_lo
	v_cndmask_b32_e32 v131, v133, v131, vcc_lo
	v_lshl_add_u32 v133, 0x200000, v132, -1
	v_lshlrev_b32_e64 v145, v132, 0x100000
	s_delay_alu instid0(VALU_DEP_3) | instskip(SKIP_1) | instid1(VALU_DEP_4)
	v_lshrrev_b32_e32 v135, v132, v131
	v_add_nc_u32_e32 v132, v132, v69
	v_and_b32_e32 v131, v133, v131
	s_delay_alu instid0(VALU_DEP_3) | instskip(NEXT) | instid1(VALU_DEP_2)
	v_bfe_u32 v144, v135, 21, 1
	v_cmp_eq_u32_e64 s13, v131, v145
	s_delay_alu instid0(VALU_DEP_2) | instskip(NEXT) | instid1(VALU_DEP_1)
	v_add_nc_u32_e32 v133, -1, v144
	v_cndmask_b32_e64 v131, 0, v133, s13
	v_lshrrev_b32_e32 v133, 23, v135
	s_mov_b32 s13, exec_lo
	s_delay_alu instid0(VALU_DEP_2) | instskip(NEXT) | instid1(VALU_DEP_2)
	v_add_nc_u32_e32 v131, v131, v135
	v_xor_b32_e32 v133, 1, v133
	s_delay_alu instid0(VALU_DEP_2) | instskip(NEXT) | instid1(VALU_DEP_1)
	v_and_b32_e32 v69, 0x1fffff, v131
	v_add_nc_u32_e32 v131, v69, v135
                                        ; implicit-def: $vgpr69
	s_delay_alu instid0(VALU_DEP_3)
	v_cmpx_ne_u32_e64 v132, v133
	s_xor_b32 s13, exec_lo, s13
; %bb.4025:                             ;   in Loop: Header=BB4_3936 Depth=4
	s_delay_alu instid0(VALU_DEP_2) | instskip(SKIP_2) | instid1(VALU_DEP_2)
	v_cmp_lt_u32_e32 vcc_lo, 0xffffff, v131
	v_sub_nc_u32_e32 v69, v132, v133
	v_cndmask_b32_e64 v132, 0, 1, vcc_lo
	v_add_co_ci_u32_e32 v69, vcc_lo, 0, v69, vcc_lo
	s_delay_alu instid0(VALU_DEP_2)
	v_lshrrev_b32_e32 v131, v132, v131
; %bb.4026:                             ;   in Loop: Header=BB4_3936 Depth=4
	s_and_not1_saveexec_b32 s13, s13
; %bb.4027:                             ;   in Loop: Header=BB4_3936 Depth=4
	s_delay_alu instid0(VALU_DEP_1)
	v_bfe_u32 v69, v131, 23, 1
; %bb.4028:                             ;   in Loop: Header=BB4_3936 Depth=4
	s_or_b32 exec_lo, exec_lo, s13
	v_lshrrev_b32_e32 v131, 21, v131
	s_delay_alu instid0(VALU_DEP_2) | instskip(SKIP_2) | instid1(VALU_DEP_2)
	v_cmp_gt_i32_e32 vcc_lo, 32, v69
	v_lshrrev_b32_e32 v14, 24, v14
	v_min_i32_e32 v132, 31, v69
	v_dual_cndmask_b32 v131, 3, v131 :: v_dual_and_b32 v14, 0x80, v14
	s_delay_alu instid0(VALU_DEP_1) | instskip(SKIP_1) | instid1(VALU_DEP_2)
	v_or_b32_e32 v69, v69, v131
	v_and_b32_e32 v133, 3, v131
	v_cmp_ne_u32_e32 vcc_lo, 0, v69
	v_lshlrev_b32_e32 v132, 2, v132
	s_delay_alu instid0(VALU_DEP_1) | instskip(NEXT) | instid1(VALU_DEP_1)
	v_or3_b32 v14, v132, v14, v133
	v_cndmask_b32_e32 v151, 0, v14, vcc_lo
.LBB4_4029:                             ;   in Loop: Header=BB4_3936 Depth=4
	s_or_b32 exec_lo, exec_lo, s35
.LBB4_4030:                             ;   in Loop: Header=BB4_3936 Depth=4
	s_delay_alu instid0(SALU_CYCLE_1)
	s_or_b32 exec_lo, exec_lo, s34
	flat_load_u8 v14, v[8:9] offset:224 slc dlc
	s_mov_b32 s13, 0
	s_mov_b32 s35, exec_lo
                                        ; implicit-def: $sgpr34
	s_waitcnt vmcnt(0) lgkmcnt(0)
	v_cmpx_lt_i16_e32 0x7f, v14
	s_xor_b32 s35, exec_lo, s35
	s_cbranch_execnz .LBB4_4423
; %bb.4031:                             ;   in Loop: Header=BB4_3936 Depth=4
	s_or_saveexec_b32 s35, s35
	v_mov_b32_e32 v69, s34
	s_xor_b32 exec_lo, exec_lo, s35
	s_cbranch_execnz .LBB4_4426
.LBB4_4032:                             ;   in Loop: Header=BB4_3936 Depth=4
	s_or_b32 exec_lo, exec_lo, s35
	s_and_saveexec_b32 s34, s13
	s_cbranch_execz .LBB4_4034
.LBB4_4033:                             ;   in Loop: Header=BB4_3936 Depth=4
	v_and_b32_e32 v69, 0xffff, v14
	s_delay_alu instid0(VALU_DEP_1) | instskip(NEXT) | instid1(VALU_DEP_1)
	v_and_b32_e32 v131, 3, v69
	v_clz_i32_u32_e32 v132, v131
	s_delay_alu instid0(VALU_DEP_1) | instskip(NEXT) | instid1(VALU_DEP_1)
	v_min_u32_e32 v132, 32, v132
	v_subrev_nc_u32_e32 v133, 29, v132
	v_sub_nc_u32_e32 v132, 30, v132
	s_delay_alu instid0(VALU_DEP_2) | instskip(SKIP_1) | instid1(VALU_DEP_2)
	v_lshlrev_b32_e32 v133, v133, v69
	v_bfe_u32 v69, v69, 2, 5
	v_and_b32_e32 v133, 3, v133
	s_delay_alu instid0(VALU_DEP_2) | instskip(SKIP_1) | instid1(VALU_DEP_1)
	v_cmp_eq_u32_e32 vcc_lo, 0, v69
	v_dual_cndmask_b32 v69, v69, v132 :: v_dual_lshlrev_b32 v14, 24, v14
	v_dual_cndmask_b32 v131, v131, v133 :: v_dual_and_b32 v14, 0x80000000, v14
	s_delay_alu instid0(VALU_DEP_2) | instskip(NEXT) | instid1(VALU_DEP_2)
	v_lshl_add_u32 v69, v69, 23, 0x37800000
	v_lshlrev_b32_e32 v131, 21, v131
	s_delay_alu instid0(VALU_DEP_1)
	v_or3_b32 v69, v14, v69, v131
.LBB4_4034:                             ;   in Loop: Header=BB4_3936 Depth=4
	s_or_b32 exec_lo, exec_lo, s34
	s_delay_alu instid0(VALU_DEP_1) | instskip(SKIP_1) | instid1(VALU_DEP_1)
	v_dual_mul_f32 v14, v15, v69 :: v_dual_mov_b32 v149, 0x80
	s_mov_b32 s34, exec_lo
	v_and_b32_e32 v69, 0x7f800000, v14
	s_delay_alu instid0(VALU_DEP_1)
	v_cmpx_ne_u32_e32 0x7f800000, v69
	s_cbranch_execz .LBB4_4042
; %bb.4035:                             ;   in Loop: Header=BB4_3936 Depth=4
	v_mov_b32_e32 v149, 0
	s_mov_b32 s35, exec_lo
	v_cmpx_ne_u32_e32 0, v14
	s_cbranch_execz .LBB4_4041
; %bb.4036:                             ;   in Loop: Header=BB4_3936 Depth=4
	v_bfe_u32 v69, v14, 23, 8
	s_delay_alu instid0(VALU_DEP_1) | instskip(SKIP_1) | instid1(VALU_DEP_2)
	v_sub_nc_u32_e32 v132, 0x70, v69
	v_cmp_gt_u32_e32 vcc_lo, 0x71, v69
	v_dual_cndmask_b32 v132, 0, v132 :: v_dual_and_b32 v131, 0x7fffff, v14
	s_delay_alu instid0(VALU_DEP_1) | instskip(SKIP_2) | instid1(VALU_DEP_4)
	v_or_b32_e32 v133, 0x800000, v131
	v_cmp_eq_u32_e32 vcc_lo, 0, v69
	v_add_nc_u32_e32 v69, 0xffffff91, v69
	v_cndmask_b32_e64 v132, v132, 0x6f, vcc_lo
	s_delay_alu instid0(VALU_DEP_2) | instskip(SKIP_1) | instid1(VALU_DEP_3)
	v_cndmask_b32_e64 v69, v69, 0xffffff92, vcc_lo
	v_cndmask_b32_e32 v131, v133, v131, vcc_lo
	v_lshl_add_u32 v133, 0x200000, v132, -1
	v_lshlrev_b32_e64 v145, v132, 0x100000
	s_delay_alu instid0(VALU_DEP_3) | instskip(SKIP_1) | instid1(VALU_DEP_4)
	v_lshrrev_b32_e32 v135, v132, v131
	v_add_nc_u32_e32 v132, v132, v69
	v_and_b32_e32 v131, v133, v131
	s_delay_alu instid0(VALU_DEP_3) | instskip(NEXT) | instid1(VALU_DEP_2)
	v_bfe_u32 v144, v135, 21, 1
	v_cmp_eq_u32_e64 s13, v131, v145
	s_delay_alu instid0(VALU_DEP_2) | instskip(NEXT) | instid1(VALU_DEP_1)
	v_add_nc_u32_e32 v133, -1, v144
	v_cndmask_b32_e64 v131, 0, v133, s13
	v_lshrrev_b32_e32 v133, 23, v135
	s_mov_b32 s13, exec_lo
	s_delay_alu instid0(VALU_DEP_2) | instskip(NEXT) | instid1(VALU_DEP_2)
	v_add_nc_u32_e32 v131, v131, v135
	v_xor_b32_e32 v133, 1, v133
	s_delay_alu instid0(VALU_DEP_2) | instskip(NEXT) | instid1(VALU_DEP_1)
	v_and_b32_e32 v69, 0x1fffff, v131
	v_add_nc_u32_e32 v131, v69, v135
                                        ; implicit-def: $vgpr69
	s_delay_alu instid0(VALU_DEP_3)
	v_cmpx_ne_u32_e64 v132, v133
	s_xor_b32 s13, exec_lo, s13
; %bb.4037:                             ;   in Loop: Header=BB4_3936 Depth=4
	s_delay_alu instid0(VALU_DEP_2) | instskip(SKIP_2) | instid1(VALU_DEP_2)
	v_cmp_lt_u32_e32 vcc_lo, 0xffffff, v131
	v_sub_nc_u32_e32 v69, v132, v133
	v_cndmask_b32_e64 v132, 0, 1, vcc_lo
	v_add_co_ci_u32_e32 v69, vcc_lo, 0, v69, vcc_lo
	s_delay_alu instid0(VALU_DEP_2)
	v_lshrrev_b32_e32 v131, v132, v131
; %bb.4038:                             ;   in Loop: Header=BB4_3936 Depth=4
	s_and_not1_saveexec_b32 s13, s13
; %bb.4039:                             ;   in Loop: Header=BB4_3936 Depth=4
	s_delay_alu instid0(VALU_DEP_1)
	v_bfe_u32 v69, v131, 23, 1
; %bb.4040:                             ;   in Loop: Header=BB4_3936 Depth=4
	s_or_b32 exec_lo, exec_lo, s13
	v_lshrrev_b32_e32 v131, 21, v131
	s_delay_alu instid0(VALU_DEP_2) | instskip(SKIP_2) | instid1(VALU_DEP_2)
	v_cmp_gt_i32_e32 vcc_lo, 32, v69
	v_lshrrev_b32_e32 v14, 24, v14
	v_min_i32_e32 v132, 31, v69
	v_dual_cndmask_b32 v131, 3, v131 :: v_dual_and_b32 v14, 0x80, v14
	s_delay_alu instid0(VALU_DEP_1) | instskip(SKIP_1) | instid1(VALU_DEP_2)
	v_or_b32_e32 v69, v69, v131
	v_and_b32_e32 v133, 3, v131
	v_cmp_ne_u32_e32 vcc_lo, 0, v69
	v_lshlrev_b32_e32 v132, 2, v132
	s_delay_alu instid0(VALU_DEP_1) | instskip(NEXT) | instid1(VALU_DEP_1)
	v_or3_b32 v14, v132, v14, v133
	v_cndmask_b32_e32 v149, 0, v14, vcc_lo
.LBB4_4041:                             ;   in Loop: Header=BB4_3936 Depth=4
	s_or_b32 exec_lo, exec_lo, s35
.LBB4_4042:                             ;   in Loop: Header=BB4_3936 Depth=4
	s_delay_alu instid0(SALU_CYCLE_1)
	s_or_b32 exec_lo, exec_lo, s34
	flat_load_u8 v14, v[8:9] offset:256 slc dlc
	s_mov_b32 s13, 0
	s_mov_b32 s35, exec_lo
                                        ; implicit-def: $sgpr34
	s_waitcnt vmcnt(0) lgkmcnt(0)
	v_cmpx_lt_i16_e32 0x7f, v14
	s_xor_b32 s35, exec_lo, s35
	s_cbranch_execnz .LBB4_4427
; %bb.4043:                             ;   in Loop: Header=BB4_3936 Depth=4
	s_or_saveexec_b32 s35, s35
	v_mov_b32_e32 v69, s34
	s_xor_b32 exec_lo, exec_lo, s35
	s_cbranch_execnz .LBB4_4430
.LBB4_4044:                             ;   in Loop: Header=BB4_3936 Depth=4
	s_or_b32 exec_lo, exec_lo, s35
	s_and_saveexec_b32 s34, s13
	s_cbranch_execz .LBB4_4046
.LBB4_4045:                             ;   in Loop: Header=BB4_3936 Depth=4
	v_and_b32_e32 v69, 0xffff, v14
	s_delay_alu instid0(VALU_DEP_1) | instskip(NEXT) | instid1(VALU_DEP_1)
	v_and_b32_e32 v131, 3, v69
	v_clz_i32_u32_e32 v132, v131
	s_delay_alu instid0(VALU_DEP_1) | instskip(NEXT) | instid1(VALU_DEP_1)
	v_min_u32_e32 v132, 32, v132
	v_subrev_nc_u32_e32 v133, 29, v132
	v_sub_nc_u32_e32 v132, 30, v132
	s_delay_alu instid0(VALU_DEP_2) | instskip(SKIP_1) | instid1(VALU_DEP_2)
	v_lshlrev_b32_e32 v133, v133, v69
	v_bfe_u32 v69, v69, 2, 5
	v_and_b32_e32 v133, 3, v133
	s_delay_alu instid0(VALU_DEP_2) | instskip(SKIP_1) | instid1(VALU_DEP_1)
	v_cmp_eq_u32_e32 vcc_lo, 0, v69
	v_dual_cndmask_b32 v69, v69, v132 :: v_dual_lshlrev_b32 v14, 24, v14
	v_dual_cndmask_b32 v131, v131, v133 :: v_dual_and_b32 v14, 0x80000000, v14
	s_delay_alu instid0(VALU_DEP_2) | instskip(NEXT) | instid1(VALU_DEP_2)
	v_lshl_add_u32 v69, v69, 23, 0x37800000
	v_lshlrev_b32_e32 v131, 21, v131
	s_delay_alu instid0(VALU_DEP_1)
	v_or3_b32 v69, v14, v69, v131
.LBB4_4046:                             ;   in Loop: Header=BB4_3936 Depth=4
	s_or_b32 exec_lo, exec_lo, s34
	s_delay_alu instid0(VALU_DEP_1) | instskip(SKIP_1) | instid1(VALU_DEP_1)
	v_dual_mul_f32 v14, v15, v69 :: v_dual_mov_b32 v147, 0x80
	s_mov_b32 s34, exec_lo
	v_and_b32_e32 v69, 0x7f800000, v14
	s_delay_alu instid0(VALU_DEP_1)
	v_cmpx_ne_u32_e32 0x7f800000, v69
	s_cbranch_execz .LBB4_4054
; %bb.4047:                             ;   in Loop: Header=BB4_3936 Depth=4
	v_mov_b32_e32 v147, 0
	s_mov_b32 s35, exec_lo
	v_cmpx_ne_u32_e32 0, v14
	s_cbranch_execz .LBB4_4053
; %bb.4048:                             ;   in Loop: Header=BB4_3936 Depth=4
	v_bfe_u32 v69, v14, 23, 8
	s_delay_alu instid0(VALU_DEP_1) | instskip(SKIP_1) | instid1(VALU_DEP_2)
	v_sub_nc_u32_e32 v132, 0x70, v69
	v_cmp_gt_u32_e32 vcc_lo, 0x71, v69
	v_dual_cndmask_b32 v132, 0, v132 :: v_dual_and_b32 v131, 0x7fffff, v14
	s_delay_alu instid0(VALU_DEP_1) | instskip(SKIP_2) | instid1(VALU_DEP_4)
	v_or_b32_e32 v133, 0x800000, v131
	v_cmp_eq_u32_e32 vcc_lo, 0, v69
	v_add_nc_u32_e32 v69, 0xffffff91, v69
	v_cndmask_b32_e64 v132, v132, 0x6f, vcc_lo
	s_delay_alu instid0(VALU_DEP_2) | instskip(SKIP_1) | instid1(VALU_DEP_3)
	v_cndmask_b32_e64 v69, v69, 0xffffff92, vcc_lo
	v_cndmask_b32_e32 v131, v133, v131, vcc_lo
	v_lshl_add_u32 v133, 0x200000, v132, -1
	v_lshlrev_b32_e64 v145, v132, 0x100000
	s_delay_alu instid0(VALU_DEP_3) | instskip(SKIP_1) | instid1(VALU_DEP_4)
	v_lshrrev_b32_e32 v135, v132, v131
	v_add_nc_u32_e32 v132, v132, v69
	v_and_b32_e32 v131, v133, v131
	s_delay_alu instid0(VALU_DEP_3) | instskip(NEXT) | instid1(VALU_DEP_2)
	v_bfe_u32 v144, v135, 21, 1
	v_cmp_eq_u32_e64 s13, v131, v145
	s_delay_alu instid0(VALU_DEP_2) | instskip(NEXT) | instid1(VALU_DEP_1)
	v_add_nc_u32_e32 v133, -1, v144
	v_cndmask_b32_e64 v131, 0, v133, s13
	v_lshrrev_b32_e32 v133, 23, v135
	s_mov_b32 s13, exec_lo
	s_delay_alu instid0(VALU_DEP_2) | instskip(NEXT) | instid1(VALU_DEP_2)
	v_add_nc_u32_e32 v131, v131, v135
	v_xor_b32_e32 v133, 1, v133
	s_delay_alu instid0(VALU_DEP_2) | instskip(NEXT) | instid1(VALU_DEP_1)
	v_and_b32_e32 v69, 0x1fffff, v131
	v_add_nc_u32_e32 v131, v69, v135
                                        ; implicit-def: $vgpr69
	s_delay_alu instid0(VALU_DEP_3)
	v_cmpx_ne_u32_e64 v132, v133
	s_xor_b32 s13, exec_lo, s13
; %bb.4049:                             ;   in Loop: Header=BB4_3936 Depth=4
	s_delay_alu instid0(VALU_DEP_2) | instskip(SKIP_2) | instid1(VALU_DEP_2)
	v_cmp_lt_u32_e32 vcc_lo, 0xffffff, v131
	v_sub_nc_u32_e32 v69, v132, v133
	v_cndmask_b32_e64 v132, 0, 1, vcc_lo
	v_add_co_ci_u32_e32 v69, vcc_lo, 0, v69, vcc_lo
	s_delay_alu instid0(VALU_DEP_2)
	v_lshrrev_b32_e32 v131, v132, v131
; %bb.4050:                             ;   in Loop: Header=BB4_3936 Depth=4
	s_and_not1_saveexec_b32 s13, s13
; %bb.4051:                             ;   in Loop: Header=BB4_3936 Depth=4
	s_delay_alu instid0(VALU_DEP_1)
	v_bfe_u32 v69, v131, 23, 1
; %bb.4052:                             ;   in Loop: Header=BB4_3936 Depth=4
	s_or_b32 exec_lo, exec_lo, s13
	v_lshrrev_b32_e32 v131, 21, v131
	s_delay_alu instid0(VALU_DEP_2) | instskip(SKIP_2) | instid1(VALU_DEP_2)
	v_cmp_gt_i32_e32 vcc_lo, 32, v69
	v_lshrrev_b32_e32 v14, 24, v14
	v_min_i32_e32 v132, 31, v69
	v_dual_cndmask_b32 v131, 3, v131 :: v_dual_and_b32 v14, 0x80, v14
	s_delay_alu instid0(VALU_DEP_1) | instskip(SKIP_1) | instid1(VALU_DEP_2)
	v_or_b32_e32 v69, v69, v131
	v_and_b32_e32 v133, 3, v131
	v_cmp_ne_u32_e32 vcc_lo, 0, v69
	v_lshlrev_b32_e32 v132, 2, v132
	s_delay_alu instid0(VALU_DEP_1) | instskip(NEXT) | instid1(VALU_DEP_1)
	v_or3_b32 v14, v132, v14, v133
	v_cndmask_b32_e32 v147, 0, v14, vcc_lo
.LBB4_4053:                             ;   in Loop: Header=BB4_3936 Depth=4
	s_or_b32 exec_lo, exec_lo, s35
.LBB4_4054:                             ;   in Loop: Header=BB4_3936 Depth=4
	s_delay_alu instid0(SALU_CYCLE_1)
	s_or_b32 exec_lo, exec_lo, s34
	flat_load_u8 v14, v[8:9] offset:288 slc dlc
	s_mov_b32 s13, 0
	s_mov_b32 s35, exec_lo
                                        ; implicit-def: $sgpr34
	s_waitcnt vmcnt(0) lgkmcnt(0)
	v_cmpx_lt_i16_e32 0x7f, v14
	s_xor_b32 s35, exec_lo, s35
	s_cbranch_execnz .LBB4_4431
; %bb.4055:                             ;   in Loop: Header=BB4_3936 Depth=4
	s_or_saveexec_b32 s35, s35
	v_mov_b32_e32 v69, s34
	s_xor_b32 exec_lo, exec_lo, s35
	s_cbranch_execnz .LBB4_4434
.LBB4_4056:                             ;   in Loop: Header=BB4_3936 Depth=4
	s_or_b32 exec_lo, exec_lo, s35
	s_and_saveexec_b32 s34, s13
	s_cbranch_execz .LBB4_4058
.LBB4_4057:                             ;   in Loop: Header=BB4_3936 Depth=4
	v_and_b32_e32 v69, 0xffff, v14
	s_delay_alu instid0(VALU_DEP_1) | instskip(NEXT) | instid1(VALU_DEP_1)
	v_and_b32_e32 v131, 3, v69
	v_clz_i32_u32_e32 v132, v131
	s_delay_alu instid0(VALU_DEP_1) | instskip(NEXT) | instid1(VALU_DEP_1)
	v_min_u32_e32 v132, 32, v132
	v_subrev_nc_u32_e32 v133, 29, v132
	v_sub_nc_u32_e32 v132, 30, v132
	s_delay_alu instid0(VALU_DEP_2) | instskip(SKIP_1) | instid1(VALU_DEP_2)
	v_lshlrev_b32_e32 v133, v133, v69
	v_bfe_u32 v69, v69, 2, 5
	v_and_b32_e32 v133, 3, v133
	s_delay_alu instid0(VALU_DEP_2) | instskip(SKIP_1) | instid1(VALU_DEP_1)
	v_cmp_eq_u32_e32 vcc_lo, 0, v69
	v_dual_cndmask_b32 v69, v69, v132 :: v_dual_lshlrev_b32 v14, 24, v14
	v_dual_cndmask_b32 v131, v131, v133 :: v_dual_and_b32 v14, 0x80000000, v14
	s_delay_alu instid0(VALU_DEP_2) | instskip(NEXT) | instid1(VALU_DEP_2)
	v_lshl_add_u32 v69, v69, 23, 0x37800000
	v_lshlrev_b32_e32 v131, 21, v131
	s_delay_alu instid0(VALU_DEP_1)
	v_or3_b32 v69, v14, v69, v131
.LBB4_4058:                             ;   in Loop: Header=BB4_3936 Depth=4
	s_or_b32 exec_lo, exec_lo, s34
	s_delay_alu instid0(VALU_DEP_1) | instskip(SKIP_2) | instid1(VALU_DEP_2)
	v_mul_f32_e32 v14, v15, v69
	v_mov_b32_e32 v146, 0x80
	s_mov_b32 s34, exec_lo
	v_and_b32_e32 v69, 0x7f800000, v14
	s_delay_alu instid0(VALU_DEP_1)
	v_cmpx_ne_u32_e32 0x7f800000, v69
	s_cbranch_execz .LBB4_4066
; %bb.4059:                             ;   in Loop: Header=BB4_3936 Depth=4
	v_mov_b32_e32 v146, 0
	s_mov_b32 s35, exec_lo
	v_cmpx_ne_u32_e32 0, v14
	s_cbranch_execz .LBB4_4065
; %bb.4060:                             ;   in Loop: Header=BB4_3936 Depth=4
	v_bfe_u32 v69, v14, 23, 8
	s_delay_alu instid0(VALU_DEP_1) | instskip(SKIP_1) | instid1(VALU_DEP_2)
	v_sub_nc_u32_e32 v132, 0x70, v69
	v_cmp_gt_u32_e32 vcc_lo, 0x71, v69
	v_dual_cndmask_b32 v132, 0, v132 :: v_dual_and_b32 v131, 0x7fffff, v14
	s_delay_alu instid0(VALU_DEP_1) | instskip(SKIP_2) | instid1(VALU_DEP_4)
	v_or_b32_e32 v133, 0x800000, v131
	v_cmp_eq_u32_e32 vcc_lo, 0, v69
	v_add_nc_u32_e32 v69, 0xffffff91, v69
	v_cndmask_b32_e64 v132, v132, 0x6f, vcc_lo
	s_delay_alu instid0(VALU_DEP_2) | instskip(SKIP_1) | instid1(VALU_DEP_3)
	v_cndmask_b32_e64 v69, v69, 0xffffff92, vcc_lo
	v_cndmask_b32_e32 v131, v133, v131, vcc_lo
	v_lshl_add_u32 v133, 0x200000, v132, -1
	v_lshlrev_b32_e64 v145, v132, 0x100000
	s_delay_alu instid0(VALU_DEP_3) | instskip(SKIP_1) | instid1(VALU_DEP_4)
	v_lshrrev_b32_e32 v135, v132, v131
	v_add_nc_u32_e32 v132, v132, v69
	v_and_b32_e32 v131, v133, v131
	s_delay_alu instid0(VALU_DEP_3) | instskip(NEXT) | instid1(VALU_DEP_2)
	v_bfe_u32 v144, v135, 21, 1
	v_cmp_eq_u32_e64 s13, v131, v145
	s_delay_alu instid0(VALU_DEP_2) | instskip(NEXT) | instid1(VALU_DEP_1)
	v_add_nc_u32_e32 v133, -1, v144
	v_cndmask_b32_e64 v131, 0, v133, s13
	v_lshrrev_b32_e32 v133, 23, v135
	s_mov_b32 s13, exec_lo
	s_delay_alu instid0(VALU_DEP_2) | instskip(NEXT) | instid1(VALU_DEP_2)
	v_add_nc_u32_e32 v131, v131, v135
	v_xor_b32_e32 v133, 1, v133
	s_delay_alu instid0(VALU_DEP_2) | instskip(NEXT) | instid1(VALU_DEP_1)
	v_and_b32_e32 v69, 0x1fffff, v131
	v_add_nc_u32_e32 v131, v69, v135
                                        ; implicit-def: $vgpr69
	s_delay_alu instid0(VALU_DEP_3)
	v_cmpx_ne_u32_e64 v132, v133
	s_xor_b32 s13, exec_lo, s13
; %bb.4061:                             ;   in Loop: Header=BB4_3936 Depth=4
	s_delay_alu instid0(VALU_DEP_2) | instskip(SKIP_2) | instid1(VALU_DEP_2)
	v_cmp_lt_u32_e32 vcc_lo, 0xffffff, v131
	v_sub_nc_u32_e32 v69, v132, v133
	v_cndmask_b32_e64 v132, 0, 1, vcc_lo
	v_add_co_ci_u32_e32 v69, vcc_lo, 0, v69, vcc_lo
	s_delay_alu instid0(VALU_DEP_2)
	v_lshrrev_b32_e32 v131, v132, v131
; %bb.4062:                             ;   in Loop: Header=BB4_3936 Depth=4
	s_and_not1_saveexec_b32 s13, s13
; %bb.4063:                             ;   in Loop: Header=BB4_3936 Depth=4
	s_delay_alu instid0(VALU_DEP_1)
	v_bfe_u32 v69, v131, 23, 1
; %bb.4064:                             ;   in Loop: Header=BB4_3936 Depth=4
	s_or_b32 exec_lo, exec_lo, s13
	v_lshrrev_b32_e32 v131, 21, v131
	s_delay_alu instid0(VALU_DEP_2) | instskip(SKIP_2) | instid1(VALU_DEP_2)
	v_cmp_gt_i32_e32 vcc_lo, 32, v69
	v_lshrrev_b32_e32 v14, 24, v14
	v_min_i32_e32 v132, 31, v69
	v_dual_cndmask_b32 v131, 3, v131 :: v_dual_and_b32 v14, 0x80, v14
	s_delay_alu instid0(VALU_DEP_2) | instskip(NEXT) | instid1(VALU_DEP_2)
	v_lshlrev_b32_e32 v132, 2, v132
	v_or_b32_e32 v69, v69, v131
	s_delay_alu instid0(VALU_DEP_1) | instskip(SKIP_1) | instid1(VALU_DEP_1)
	v_cmp_ne_u32_e32 vcc_lo, 0, v69
	v_and_b32_e32 v133, 3, v131
	v_or3_b32 v14, v132, v14, v133
	s_delay_alu instid0(VALU_DEP_1)
	v_cndmask_b32_e32 v146, 0, v14, vcc_lo
.LBB4_4065:                             ;   in Loop: Header=BB4_3936 Depth=4
	s_or_b32 exec_lo, exec_lo, s35
.LBB4_4066:                             ;   in Loop: Header=BB4_3936 Depth=4
	s_delay_alu instid0(SALU_CYCLE_1)
	s_or_b32 exec_lo, exec_lo, s34
	flat_load_u8 v14, v[8:9] offset:320 slc dlc
	s_mov_b32 s13, 0
	s_mov_b32 s35, exec_lo
                                        ; implicit-def: $sgpr34
	s_waitcnt vmcnt(0) lgkmcnt(0)
	v_cmpx_lt_i16_e32 0x7f, v14
	s_xor_b32 s35, exec_lo, s35
	s_cbranch_execnz .LBB4_4435
; %bb.4067:                             ;   in Loop: Header=BB4_3936 Depth=4
	s_or_saveexec_b32 s35, s35
	v_mov_b32_e32 v69, s34
	s_xor_b32 exec_lo, exec_lo, s35
	s_cbranch_execnz .LBB4_4438
.LBB4_4068:                             ;   in Loop: Header=BB4_3936 Depth=4
	s_or_b32 exec_lo, exec_lo, s35
	s_and_saveexec_b32 s34, s13
	s_cbranch_execz .LBB4_4070
.LBB4_4069:                             ;   in Loop: Header=BB4_3936 Depth=4
	v_and_b32_e32 v69, 0xffff, v14
	s_delay_alu instid0(VALU_DEP_1) | instskip(NEXT) | instid1(VALU_DEP_1)
	v_and_b32_e32 v131, 3, v69
	v_clz_i32_u32_e32 v132, v131
	s_delay_alu instid0(VALU_DEP_1) | instskip(NEXT) | instid1(VALU_DEP_1)
	v_min_u32_e32 v132, 32, v132
	v_subrev_nc_u32_e32 v133, 29, v132
	v_sub_nc_u32_e32 v132, 30, v132
	s_delay_alu instid0(VALU_DEP_2) | instskip(SKIP_1) | instid1(VALU_DEP_2)
	v_lshlrev_b32_e32 v133, v133, v69
	v_bfe_u32 v69, v69, 2, 5
	v_and_b32_e32 v133, 3, v133
	s_delay_alu instid0(VALU_DEP_2) | instskip(SKIP_1) | instid1(VALU_DEP_1)
	v_cmp_eq_u32_e32 vcc_lo, 0, v69
	v_dual_cndmask_b32 v69, v69, v132 :: v_dual_lshlrev_b32 v14, 24, v14
	v_dual_cndmask_b32 v131, v131, v133 :: v_dual_and_b32 v14, 0x80000000, v14
	s_delay_alu instid0(VALU_DEP_2) | instskip(NEXT) | instid1(VALU_DEP_2)
	v_lshl_add_u32 v69, v69, 23, 0x37800000
	v_lshlrev_b32_e32 v131, 21, v131
	s_delay_alu instid0(VALU_DEP_1)
	v_or3_b32 v69, v14, v69, v131
.LBB4_4070:                             ;   in Loop: Header=BB4_3936 Depth=4
	s_or_b32 exec_lo, exec_lo, s34
	s_delay_alu instid0(VALU_DEP_1) | instskip(SKIP_2) | instid1(VALU_DEP_2)
	v_mul_f32_e32 v14, v15, v69
	v_mov_b32_e32 v144, 0x80
	s_mov_b32 s34, exec_lo
	v_and_b32_e32 v69, 0x7f800000, v14
	s_delay_alu instid0(VALU_DEP_1)
	v_cmpx_ne_u32_e32 0x7f800000, v69
	s_cbranch_execz .LBB4_4078
; %bb.4071:                             ;   in Loop: Header=BB4_3936 Depth=4
	v_mov_b32_e32 v144, 0
	s_mov_b32 s35, exec_lo
	v_cmpx_ne_u32_e32 0, v14
	s_cbranch_execz .LBB4_4077
; %bb.4072:                             ;   in Loop: Header=BB4_3936 Depth=4
	v_bfe_u32 v69, v14, 23, 8
	s_delay_alu instid0(VALU_DEP_1) | instskip(SKIP_1) | instid1(VALU_DEP_2)
	v_sub_nc_u32_e32 v132, 0x70, v69
	v_cmp_gt_u32_e32 vcc_lo, 0x71, v69
	v_dual_cndmask_b32 v132, 0, v132 :: v_dual_and_b32 v131, 0x7fffff, v14
	s_delay_alu instid0(VALU_DEP_1) | instskip(SKIP_2) | instid1(VALU_DEP_4)
	v_or_b32_e32 v133, 0x800000, v131
	v_cmp_eq_u32_e32 vcc_lo, 0, v69
	v_add_nc_u32_e32 v69, 0xffffff91, v69
	v_cndmask_b32_e64 v132, v132, 0x6f, vcc_lo
	s_delay_alu instid0(VALU_DEP_2) | instskip(SKIP_1) | instid1(VALU_DEP_3)
	v_cndmask_b32_e64 v69, v69, 0xffffff92, vcc_lo
	v_cndmask_b32_e32 v131, v133, v131, vcc_lo
	v_lshl_add_u32 v133, 0x200000, v132, -1
	v_lshlrev_b32_e64 v145, v132, 0x100000
	s_delay_alu instid0(VALU_DEP_3) | instskip(SKIP_1) | instid1(VALU_DEP_4)
	v_lshrrev_b32_e32 v135, v132, v131
	v_add_nc_u32_e32 v132, v132, v69
	v_and_b32_e32 v131, v133, v131
	s_delay_alu instid0(VALU_DEP_3) | instskip(NEXT) | instid1(VALU_DEP_2)
	v_bfe_u32 v144, v135, 21, 1
	v_cmp_eq_u32_e64 s13, v131, v145
	s_delay_alu instid0(VALU_DEP_2) | instskip(NEXT) | instid1(VALU_DEP_1)
	v_add_nc_u32_e32 v133, -1, v144
	v_cndmask_b32_e64 v131, 0, v133, s13
	v_lshrrev_b32_e32 v133, 23, v135
	s_mov_b32 s13, exec_lo
	s_delay_alu instid0(VALU_DEP_2) | instskip(NEXT) | instid1(VALU_DEP_2)
	v_add_nc_u32_e32 v131, v131, v135
	v_xor_b32_e32 v133, 1, v133
	s_delay_alu instid0(VALU_DEP_2) | instskip(NEXT) | instid1(VALU_DEP_1)
	v_and_b32_e32 v69, 0x1fffff, v131
	v_add_nc_u32_e32 v131, v69, v135
                                        ; implicit-def: $vgpr69
	s_delay_alu instid0(VALU_DEP_3)
	v_cmpx_ne_u32_e64 v132, v133
	s_xor_b32 s13, exec_lo, s13
; %bb.4073:                             ;   in Loop: Header=BB4_3936 Depth=4
	s_delay_alu instid0(VALU_DEP_2) | instskip(SKIP_2) | instid1(VALU_DEP_2)
	v_cmp_lt_u32_e32 vcc_lo, 0xffffff, v131
	v_sub_nc_u32_e32 v69, v132, v133
	v_cndmask_b32_e64 v132, 0, 1, vcc_lo
	v_add_co_ci_u32_e32 v69, vcc_lo, 0, v69, vcc_lo
	s_delay_alu instid0(VALU_DEP_2)
	v_lshrrev_b32_e32 v131, v132, v131
; %bb.4074:                             ;   in Loop: Header=BB4_3936 Depth=4
	s_and_not1_saveexec_b32 s13, s13
; %bb.4075:                             ;   in Loop: Header=BB4_3936 Depth=4
	s_delay_alu instid0(VALU_DEP_1)
	v_bfe_u32 v69, v131, 23, 1
; %bb.4076:                             ;   in Loop: Header=BB4_3936 Depth=4
	s_or_b32 exec_lo, exec_lo, s13
	v_lshrrev_b32_e32 v131, 21, v131
	s_delay_alu instid0(VALU_DEP_2) | instskip(SKIP_2) | instid1(VALU_DEP_2)
	v_cmp_gt_i32_e32 vcc_lo, 32, v69
	v_lshrrev_b32_e32 v14, 24, v14
	v_min_i32_e32 v132, 31, v69
	v_dual_cndmask_b32 v131, 3, v131 :: v_dual_and_b32 v14, 0x80, v14
	s_delay_alu instid0(VALU_DEP_2) | instskip(NEXT) | instid1(VALU_DEP_2)
	v_lshlrev_b32_e32 v132, 2, v132
	v_or_b32_e32 v69, v69, v131
	s_delay_alu instid0(VALU_DEP_1) | instskip(SKIP_1) | instid1(VALU_DEP_1)
	v_cmp_ne_u32_e32 vcc_lo, 0, v69
	v_and_b32_e32 v133, 3, v131
	v_or3_b32 v14, v132, v14, v133
	s_delay_alu instid0(VALU_DEP_1)
	v_cndmask_b32_e32 v144, 0, v14, vcc_lo
.LBB4_4077:                             ;   in Loop: Header=BB4_3936 Depth=4
	s_or_b32 exec_lo, exec_lo, s35
.LBB4_4078:                             ;   in Loop: Header=BB4_3936 Depth=4
	s_delay_alu instid0(SALU_CYCLE_1)
	s_or_b32 exec_lo, exec_lo, s34
	flat_load_u8 v14, v[8:9] offset:352 slc dlc
	s_mov_b32 s13, 0
	s_mov_b32 s35, exec_lo
                                        ; implicit-def: $sgpr34
	s_waitcnt vmcnt(0) lgkmcnt(0)
	v_cmpx_lt_i16_e32 0x7f, v14
	s_xor_b32 s35, exec_lo, s35
	s_cbranch_execnz .LBB4_4439
; %bb.4079:                             ;   in Loop: Header=BB4_3936 Depth=4
	s_or_saveexec_b32 s35, s35
	v_mov_b32_e32 v69, s34
	s_xor_b32 exec_lo, exec_lo, s35
	s_cbranch_execnz .LBB4_4442
.LBB4_4080:                             ;   in Loop: Header=BB4_3936 Depth=4
	s_or_b32 exec_lo, exec_lo, s35
	s_and_saveexec_b32 s34, s13
	s_cbranch_execz .LBB4_4082
.LBB4_4081:                             ;   in Loop: Header=BB4_3936 Depth=4
	v_and_b32_e32 v69, 0xffff, v14
	s_delay_alu instid0(VALU_DEP_1) | instskip(NEXT) | instid1(VALU_DEP_1)
	v_and_b32_e32 v131, 3, v69
	v_clz_i32_u32_e32 v132, v131
	s_delay_alu instid0(VALU_DEP_1) | instskip(NEXT) | instid1(VALU_DEP_1)
	v_min_u32_e32 v132, 32, v132
	v_subrev_nc_u32_e32 v133, 29, v132
	v_sub_nc_u32_e32 v132, 30, v132
	s_delay_alu instid0(VALU_DEP_2) | instskip(SKIP_1) | instid1(VALU_DEP_2)
	v_lshlrev_b32_e32 v133, v133, v69
	v_bfe_u32 v69, v69, 2, 5
	v_and_b32_e32 v133, 3, v133
	s_delay_alu instid0(VALU_DEP_2) | instskip(SKIP_1) | instid1(VALU_DEP_1)
	v_cmp_eq_u32_e32 vcc_lo, 0, v69
	v_dual_cndmask_b32 v69, v69, v132 :: v_dual_lshlrev_b32 v14, 24, v14
	v_dual_cndmask_b32 v131, v131, v133 :: v_dual_and_b32 v14, 0x80000000, v14
	s_delay_alu instid0(VALU_DEP_2) | instskip(NEXT) | instid1(VALU_DEP_2)
	v_lshl_add_u32 v69, v69, 23, 0x37800000
	v_lshlrev_b32_e32 v131, 21, v131
	s_delay_alu instid0(VALU_DEP_1)
	v_or3_b32 v69, v14, v69, v131
.LBB4_4082:                             ;   in Loop: Header=BB4_3936 Depth=4
	s_or_b32 exec_lo, exec_lo, s34
	s_delay_alu instid0(VALU_DEP_1) | instskip(SKIP_1) | instid1(VALU_DEP_1)
	v_dual_mul_f32 v14, v15, v69 :: v_dual_mov_b32 v135, 0x80
	s_mov_b32 s34, exec_lo
	v_and_b32_e32 v69, 0x7f800000, v14
	s_delay_alu instid0(VALU_DEP_1)
	v_cmpx_ne_u32_e32 0x7f800000, v69
	s_cbranch_execz .LBB4_4090
; %bb.4083:                             ;   in Loop: Header=BB4_3936 Depth=4
	v_mov_b32_e32 v135, 0
	s_mov_b32 s35, exec_lo
	v_cmpx_ne_u32_e32 0, v14
	s_cbranch_execz .LBB4_4089
; %bb.4084:                             ;   in Loop: Header=BB4_3936 Depth=4
	v_bfe_u32 v69, v14, 23, 8
	s_delay_alu instid0(VALU_DEP_1) | instskip(SKIP_1) | instid1(VALU_DEP_2)
	v_sub_nc_u32_e32 v132, 0x70, v69
	v_cmp_gt_u32_e32 vcc_lo, 0x71, v69
	v_dual_cndmask_b32 v132, 0, v132 :: v_dual_and_b32 v131, 0x7fffff, v14
	s_delay_alu instid0(VALU_DEP_1) | instskip(SKIP_2) | instid1(VALU_DEP_4)
	v_or_b32_e32 v133, 0x800000, v131
	v_cmp_eq_u32_e32 vcc_lo, 0, v69
	v_add_nc_u32_e32 v69, 0xffffff91, v69
	v_cndmask_b32_e64 v132, v132, 0x6f, vcc_lo
	s_delay_alu instid0(VALU_DEP_2) | instskip(SKIP_1) | instid1(VALU_DEP_3)
	v_cndmask_b32_e64 v69, v69, 0xffffff92, vcc_lo
	v_cndmask_b32_e32 v131, v133, v131, vcc_lo
	v_lshl_add_u32 v133, 0x200000, v132, -1
	v_lshlrev_b32_e64 v150, v132, 0x100000
	s_delay_alu instid0(VALU_DEP_3) | instskip(SKIP_1) | instid1(VALU_DEP_4)
	v_lshrrev_b32_e32 v135, v132, v131
	v_add_nc_u32_e32 v132, v132, v69
	v_and_b32_e32 v131, v133, v131
	s_delay_alu instid0(VALU_DEP_3) | instskip(NEXT) | instid1(VALU_DEP_2)
	v_bfe_u32 v145, v135, 21, 1
	v_cmp_eq_u32_e64 s13, v131, v150
	s_delay_alu instid0(VALU_DEP_2) | instskip(NEXT) | instid1(VALU_DEP_1)
	v_add_nc_u32_e32 v133, -1, v145
	v_cndmask_b32_e64 v131, 0, v133, s13
	v_lshrrev_b32_e32 v133, 23, v135
	s_mov_b32 s13, exec_lo
	s_delay_alu instid0(VALU_DEP_2) | instskip(NEXT) | instid1(VALU_DEP_2)
	v_add_nc_u32_e32 v131, v131, v135
	v_xor_b32_e32 v133, 1, v133
	s_delay_alu instid0(VALU_DEP_2) | instskip(NEXT) | instid1(VALU_DEP_1)
	v_and_b32_e32 v69, 0x1fffff, v131
	v_add_nc_u32_e32 v131, v69, v135
                                        ; implicit-def: $vgpr69
	s_delay_alu instid0(VALU_DEP_3)
	v_cmpx_ne_u32_e64 v132, v133
	s_xor_b32 s13, exec_lo, s13
; %bb.4085:                             ;   in Loop: Header=BB4_3936 Depth=4
	s_delay_alu instid0(VALU_DEP_2) | instskip(SKIP_2) | instid1(VALU_DEP_2)
	v_cmp_lt_u32_e32 vcc_lo, 0xffffff, v131
	v_sub_nc_u32_e32 v69, v132, v133
	v_cndmask_b32_e64 v132, 0, 1, vcc_lo
	v_add_co_ci_u32_e32 v69, vcc_lo, 0, v69, vcc_lo
	s_delay_alu instid0(VALU_DEP_2)
	v_lshrrev_b32_e32 v131, v132, v131
; %bb.4086:                             ;   in Loop: Header=BB4_3936 Depth=4
	s_and_not1_saveexec_b32 s13, s13
; %bb.4087:                             ;   in Loop: Header=BB4_3936 Depth=4
	s_delay_alu instid0(VALU_DEP_1)
	v_bfe_u32 v69, v131, 23, 1
; %bb.4088:                             ;   in Loop: Header=BB4_3936 Depth=4
	s_or_b32 exec_lo, exec_lo, s13
	v_lshrrev_b32_e32 v131, 21, v131
	s_delay_alu instid0(VALU_DEP_2) | instskip(SKIP_2) | instid1(VALU_DEP_2)
	v_cmp_gt_i32_e32 vcc_lo, 32, v69
	v_lshrrev_b32_e32 v14, 24, v14
	v_min_i32_e32 v132, 31, v69
	v_dual_cndmask_b32 v131, 3, v131 :: v_dual_and_b32 v14, 0x80, v14
	s_delay_alu instid0(VALU_DEP_1) | instskip(SKIP_1) | instid1(VALU_DEP_2)
	v_or_b32_e32 v69, v69, v131
	v_and_b32_e32 v133, 3, v131
	v_cmp_ne_u32_e32 vcc_lo, 0, v69
	v_lshlrev_b32_e32 v132, 2, v132
	s_delay_alu instid0(VALU_DEP_1) | instskip(NEXT) | instid1(VALU_DEP_1)
	v_or3_b32 v14, v132, v14, v133
	v_cndmask_b32_e32 v135, 0, v14, vcc_lo
.LBB4_4089:                             ;   in Loop: Header=BB4_3936 Depth=4
	s_or_b32 exec_lo, exec_lo, s35
.LBB4_4090:                             ;   in Loop: Header=BB4_3936 Depth=4
	s_delay_alu instid0(SALU_CYCLE_1)
	s_or_b32 exec_lo, exec_lo, s34
	flat_load_u8 v14, v[8:9] offset:384 slc dlc
	s_mov_b32 s13, 0
	s_mov_b32 s35, exec_lo
                                        ; implicit-def: $sgpr34
	s_waitcnt vmcnt(0) lgkmcnt(0)
	v_cmpx_lt_i16_e32 0x7f, v14
	s_xor_b32 s35, exec_lo, s35
	s_cbranch_execnz .LBB4_4443
; %bb.4091:                             ;   in Loop: Header=BB4_3936 Depth=4
	s_or_saveexec_b32 s35, s35
	v_mov_b32_e32 v69, s34
	s_xor_b32 exec_lo, exec_lo, s35
	s_cbranch_execnz .LBB4_4446
.LBB4_4092:                             ;   in Loop: Header=BB4_3936 Depth=4
	s_or_b32 exec_lo, exec_lo, s35
	s_and_saveexec_b32 s34, s13
	s_cbranch_execz .LBB4_4094
.LBB4_4093:                             ;   in Loop: Header=BB4_3936 Depth=4
	v_and_b32_e32 v69, 0xffff, v14
	s_delay_alu instid0(VALU_DEP_1) | instskip(NEXT) | instid1(VALU_DEP_1)
	v_and_b32_e32 v131, 3, v69
	v_clz_i32_u32_e32 v132, v131
	s_delay_alu instid0(VALU_DEP_1) | instskip(NEXT) | instid1(VALU_DEP_1)
	v_min_u32_e32 v132, 32, v132
	v_subrev_nc_u32_e32 v133, 29, v132
	v_sub_nc_u32_e32 v132, 30, v132
	s_delay_alu instid0(VALU_DEP_2) | instskip(SKIP_1) | instid1(VALU_DEP_2)
	v_lshlrev_b32_e32 v133, v133, v69
	v_bfe_u32 v69, v69, 2, 5
	v_and_b32_e32 v133, 3, v133
	s_delay_alu instid0(VALU_DEP_2) | instskip(SKIP_1) | instid1(VALU_DEP_1)
	v_cmp_eq_u32_e32 vcc_lo, 0, v69
	v_dual_cndmask_b32 v69, v69, v132 :: v_dual_lshlrev_b32 v14, 24, v14
	v_dual_cndmask_b32 v131, v131, v133 :: v_dual_and_b32 v14, 0x80000000, v14
	s_delay_alu instid0(VALU_DEP_2) | instskip(NEXT) | instid1(VALU_DEP_2)
	v_lshl_add_u32 v69, v69, 23, 0x37800000
	v_lshlrev_b32_e32 v131, 21, v131
	s_delay_alu instid0(VALU_DEP_1)
	v_or3_b32 v69, v14, v69, v131
.LBB4_4094:                             ;   in Loop: Header=BB4_3936 Depth=4
	s_or_b32 exec_lo, exec_lo, s34
	s_delay_alu instid0(VALU_DEP_1) | instskip(SKIP_1) | instid1(VALU_DEP_1)
	v_dual_mul_f32 v14, v15, v69 :: v_dual_mov_b32 v133, 0x80
	s_mov_b32 s34, exec_lo
	v_and_b32_e32 v69, 0x7f800000, v14
	s_delay_alu instid0(VALU_DEP_1)
	v_cmpx_ne_u32_e32 0x7f800000, v69
	s_cbranch_execz .LBB4_4102
; %bb.4095:                             ;   in Loop: Header=BB4_3936 Depth=4
	v_mov_b32_e32 v133, 0
	s_mov_b32 s35, exec_lo
	v_cmpx_ne_u32_e32 0, v14
	s_cbranch_execz .LBB4_4101
; %bb.4096:                             ;   in Loop: Header=BB4_3936 Depth=4
	v_bfe_u32 v69, v14, 23, 8
	s_delay_alu instid0(VALU_DEP_1) | instskip(SKIP_1) | instid1(VALU_DEP_2)
	v_sub_nc_u32_e32 v132, 0x70, v69
	v_cmp_gt_u32_e32 vcc_lo, 0x71, v69
	v_dual_cndmask_b32 v132, 0, v132 :: v_dual_and_b32 v131, 0x7fffff, v14
	s_delay_alu instid0(VALU_DEP_1) | instskip(SKIP_2) | instid1(VALU_DEP_4)
	v_or_b32_e32 v133, 0x800000, v131
	v_cmp_eq_u32_e32 vcc_lo, 0, v69
	v_add_nc_u32_e32 v69, 0xffffff91, v69
	v_cndmask_b32_e64 v132, v132, 0x6f, vcc_lo
	s_delay_alu instid0(VALU_DEP_2) | instskip(SKIP_1) | instid1(VALU_DEP_3)
	v_cndmask_b32_e64 v69, v69, 0xffffff92, vcc_lo
	v_cndmask_b32_e32 v131, v133, v131, vcc_lo
	v_lshl_add_u32 v133, 0x200000, v132, -1
	v_lshlrev_b32_e64 v163, v132, 0x100000
	s_delay_alu instid0(VALU_DEP_3) | instskip(SKIP_1) | instid1(VALU_DEP_4)
	v_lshrrev_b32_e32 v145, v132, v131
	v_add_nc_u32_e32 v132, v132, v69
	v_and_b32_e32 v131, v133, v131
	s_delay_alu instid0(VALU_DEP_3) | instskip(NEXT) | instid1(VALU_DEP_2)
	v_bfe_u32 v150, v145, 21, 1
	v_cmp_eq_u32_e64 s13, v131, v163
	s_delay_alu instid0(VALU_DEP_2) | instskip(NEXT) | instid1(VALU_DEP_1)
	v_add_nc_u32_e32 v133, -1, v150
	v_cndmask_b32_e64 v131, 0, v133, s13
	v_lshrrev_b32_e32 v133, 23, v145
	s_mov_b32 s13, exec_lo
	s_delay_alu instid0(VALU_DEP_2) | instskip(NEXT) | instid1(VALU_DEP_2)
	v_add_nc_u32_e32 v131, v131, v145
	v_xor_b32_e32 v133, 1, v133
	s_delay_alu instid0(VALU_DEP_2) | instskip(NEXT) | instid1(VALU_DEP_1)
	v_and_b32_e32 v69, 0x1fffff, v131
	v_add_nc_u32_e32 v131, v69, v145
                                        ; implicit-def: $vgpr69
	s_delay_alu instid0(VALU_DEP_3)
	v_cmpx_ne_u32_e64 v132, v133
	s_xor_b32 s13, exec_lo, s13
; %bb.4097:                             ;   in Loop: Header=BB4_3936 Depth=4
	s_delay_alu instid0(VALU_DEP_2) | instskip(SKIP_2) | instid1(VALU_DEP_2)
	v_cmp_lt_u32_e32 vcc_lo, 0xffffff, v131
	v_sub_nc_u32_e32 v69, v132, v133
	v_cndmask_b32_e64 v132, 0, 1, vcc_lo
	v_add_co_ci_u32_e32 v69, vcc_lo, 0, v69, vcc_lo
	s_delay_alu instid0(VALU_DEP_2)
	v_lshrrev_b32_e32 v131, v132, v131
; %bb.4098:                             ;   in Loop: Header=BB4_3936 Depth=4
	s_and_not1_saveexec_b32 s13, s13
; %bb.4099:                             ;   in Loop: Header=BB4_3936 Depth=4
	s_delay_alu instid0(VALU_DEP_1)
	v_bfe_u32 v69, v131, 23, 1
; %bb.4100:                             ;   in Loop: Header=BB4_3936 Depth=4
	s_or_b32 exec_lo, exec_lo, s13
	v_lshrrev_b32_e32 v131, 21, v131
	s_delay_alu instid0(VALU_DEP_2) | instskip(SKIP_2) | instid1(VALU_DEP_2)
	v_cmp_gt_i32_e32 vcc_lo, 32, v69
	v_lshrrev_b32_e32 v14, 24, v14
	v_min_i32_e32 v132, 31, v69
	v_dual_cndmask_b32 v131, 3, v131 :: v_dual_and_b32 v14, 0x80, v14
	s_delay_alu instid0(VALU_DEP_1) | instskip(SKIP_1) | instid1(VALU_DEP_2)
	v_or_b32_e32 v69, v69, v131
	v_and_b32_e32 v133, 3, v131
	v_cmp_ne_u32_e32 vcc_lo, 0, v69
	v_lshlrev_b32_e32 v132, 2, v132
	s_delay_alu instid0(VALU_DEP_1) | instskip(NEXT) | instid1(VALU_DEP_1)
	v_or3_b32 v14, v132, v14, v133
	v_cndmask_b32_e32 v133, 0, v14, vcc_lo
.LBB4_4101:                             ;   in Loop: Header=BB4_3936 Depth=4
	s_or_b32 exec_lo, exec_lo, s35
.LBB4_4102:                             ;   in Loop: Header=BB4_3936 Depth=4
	s_delay_alu instid0(SALU_CYCLE_1)
	s_or_b32 exec_lo, exec_lo, s34
	flat_load_u8 v14, v[8:9] offset:416 slc dlc
	s_mov_b32 s13, 0
	s_mov_b32 s35, exec_lo
                                        ; implicit-def: $sgpr34
	s_waitcnt vmcnt(0) lgkmcnt(0)
	v_cmpx_lt_i16_e32 0x7f, v14
	s_xor_b32 s35, exec_lo, s35
	s_cbranch_execnz .LBB4_4447
; %bb.4103:                             ;   in Loop: Header=BB4_3936 Depth=4
	s_or_saveexec_b32 s35, s35
	v_mov_b32_e32 v69, s34
	s_xor_b32 exec_lo, exec_lo, s35
	s_cbranch_execnz .LBB4_4450
.LBB4_4104:                             ;   in Loop: Header=BB4_3936 Depth=4
	s_or_b32 exec_lo, exec_lo, s35
	s_and_saveexec_b32 s34, s13
	s_cbranch_execz .LBB4_4106
.LBB4_4105:                             ;   in Loop: Header=BB4_3936 Depth=4
	v_and_b32_e32 v69, 0xffff, v14
	s_delay_alu instid0(VALU_DEP_1) | instskip(NEXT) | instid1(VALU_DEP_1)
	v_and_b32_e32 v131, 3, v69
	v_clz_i32_u32_e32 v132, v131
	s_delay_alu instid0(VALU_DEP_1) | instskip(NEXT) | instid1(VALU_DEP_1)
	v_min_u32_e32 v132, 32, v132
	v_subrev_nc_u32_e32 v145, 29, v132
	v_sub_nc_u32_e32 v132, 30, v132
	s_delay_alu instid0(VALU_DEP_2) | instskip(SKIP_1) | instid1(VALU_DEP_2)
	v_lshlrev_b32_e32 v145, v145, v69
	v_bfe_u32 v69, v69, 2, 5
	v_and_b32_e32 v145, 3, v145
	s_delay_alu instid0(VALU_DEP_2) | instskip(SKIP_1) | instid1(VALU_DEP_1)
	v_cmp_eq_u32_e32 vcc_lo, 0, v69
	v_dual_cndmask_b32 v69, v69, v132 :: v_dual_lshlrev_b32 v14, 24, v14
	v_dual_cndmask_b32 v131, v131, v145 :: v_dual_and_b32 v14, 0x80000000, v14
	s_delay_alu instid0(VALU_DEP_2) | instskip(NEXT) | instid1(VALU_DEP_2)
	v_lshl_add_u32 v69, v69, 23, 0x37800000
	v_lshlrev_b32_e32 v131, 21, v131
	s_delay_alu instid0(VALU_DEP_1)
	v_or3_b32 v69, v14, v69, v131
.LBB4_4106:                             ;   in Loop: Header=BB4_3936 Depth=4
	s_or_b32 exec_lo, exec_lo, s34
	s_delay_alu instid0(VALU_DEP_1) | instskip(SKIP_1) | instid1(VALU_DEP_1)
	v_dual_mul_f32 v14, v15, v69 :: v_dual_mov_b32 v131, 0x80
	s_mov_b32 s34, exec_lo
	v_and_b32_e32 v69, 0x7f800000, v14
	s_delay_alu instid0(VALU_DEP_1)
	v_cmpx_ne_u32_e32 0x7f800000, v69
	s_cbranch_execz .LBB4_4114
; %bb.4107:                             ;   in Loop: Header=BB4_3936 Depth=4
	v_mov_b32_e32 v131, 0
	s_mov_b32 s35, exec_lo
	v_cmpx_ne_u32_e32 0, v14
	s_cbranch_execz .LBB4_4113
; %bb.4108:                             ;   in Loop: Header=BB4_3936 Depth=4
	v_bfe_u32 v69, v14, 23, 8
	s_delay_alu instid0(VALU_DEP_1) | instskip(SKIP_1) | instid1(VALU_DEP_2)
	v_sub_nc_u32_e32 v132, 0x70, v69
	v_cmp_gt_u32_e32 vcc_lo, 0x71, v69
	v_dual_cndmask_b32 v132, 0, v132 :: v_dual_and_b32 v131, 0x7fffff, v14
	s_delay_alu instid0(VALU_DEP_1) | instskip(SKIP_2) | instid1(VALU_DEP_4)
	v_or_b32_e32 v145, 0x800000, v131
	v_cmp_eq_u32_e32 vcc_lo, 0, v69
	v_add_nc_u32_e32 v69, 0xffffff91, v69
	v_cndmask_b32_e64 v132, v132, 0x6f, vcc_lo
	s_delay_alu instid0(VALU_DEP_2) | instskip(SKIP_1) | instid1(VALU_DEP_3)
	v_cndmask_b32_e64 v69, v69, 0xffffff92, vcc_lo
	v_cndmask_b32_e32 v131, v145, v131, vcc_lo
	v_lshl_add_u32 v145, 0x200000, v132, -1
	v_lshlrev_b32_e64 v164, v132, 0x100000
	s_delay_alu instid0(VALU_DEP_3) | instskip(SKIP_1) | instid1(VALU_DEP_4)
	v_lshrrev_b32_e32 v150, v132, v131
	v_add_nc_u32_e32 v132, v132, v69
	v_and_b32_e32 v131, v145, v131
	s_delay_alu instid0(VALU_DEP_3) | instskip(NEXT) | instid1(VALU_DEP_2)
	v_bfe_u32 v163, v150, 21, 1
	v_cmp_eq_u32_e64 s13, v131, v164
	s_delay_alu instid0(VALU_DEP_2) | instskip(NEXT) | instid1(VALU_DEP_1)
	v_add_nc_u32_e32 v145, -1, v163
	v_cndmask_b32_e64 v131, 0, v145, s13
	v_lshrrev_b32_e32 v145, 23, v150
	s_mov_b32 s13, exec_lo
	s_delay_alu instid0(VALU_DEP_2) | instskip(NEXT) | instid1(VALU_DEP_2)
	v_add_nc_u32_e32 v131, v131, v150
	v_xor_b32_e32 v145, 1, v145
	s_delay_alu instid0(VALU_DEP_2) | instskip(NEXT) | instid1(VALU_DEP_1)
	v_and_b32_e32 v69, 0x1fffff, v131
	v_add_nc_u32_e32 v131, v69, v150
                                        ; implicit-def: $vgpr69
	s_delay_alu instid0(VALU_DEP_3)
	v_cmpx_ne_u32_e64 v132, v145
	s_xor_b32 s13, exec_lo, s13
; %bb.4109:                             ;   in Loop: Header=BB4_3936 Depth=4
	s_delay_alu instid0(VALU_DEP_2) | instskip(SKIP_2) | instid1(VALU_DEP_2)
	v_cmp_lt_u32_e32 vcc_lo, 0xffffff, v131
	v_sub_nc_u32_e32 v69, v132, v145
	v_cndmask_b32_e64 v132, 0, 1, vcc_lo
	v_add_co_ci_u32_e32 v69, vcc_lo, 0, v69, vcc_lo
	s_delay_alu instid0(VALU_DEP_2)
	v_lshrrev_b32_e32 v131, v132, v131
; %bb.4110:                             ;   in Loop: Header=BB4_3936 Depth=4
	s_and_not1_saveexec_b32 s13, s13
; %bb.4111:                             ;   in Loop: Header=BB4_3936 Depth=4
	s_delay_alu instid0(VALU_DEP_1)
	v_bfe_u32 v69, v131, 23, 1
; %bb.4112:                             ;   in Loop: Header=BB4_3936 Depth=4
	s_or_b32 exec_lo, exec_lo, s13
	v_lshrrev_b32_e32 v131, 21, v131
	s_delay_alu instid0(VALU_DEP_2) | instskip(SKIP_2) | instid1(VALU_DEP_2)
	v_cmp_gt_i32_e32 vcc_lo, 32, v69
	v_lshrrev_b32_e32 v14, 24, v14
	v_min_i32_e32 v132, 31, v69
	v_dual_cndmask_b32 v131, 3, v131 :: v_dual_and_b32 v14, 0x80, v14
	s_delay_alu instid0(VALU_DEP_1) | instskip(SKIP_1) | instid1(VALU_DEP_2)
	v_or_b32_e32 v69, v69, v131
	v_and_b32_e32 v145, 3, v131
	v_cmp_ne_u32_e32 vcc_lo, 0, v69
	v_lshlrev_b32_e32 v132, 2, v132
	s_delay_alu instid0(VALU_DEP_1) | instskip(NEXT) | instid1(VALU_DEP_1)
	v_or3_b32 v14, v132, v14, v145
	v_cndmask_b32_e32 v131, 0, v14, vcc_lo
.LBB4_4113:                             ;   in Loop: Header=BB4_3936 Depth=4
	s_or_b32 exec_lo, exec_lo, s35
.LBB4_4114:                             ;   in Loop: Header=BB4_3936 Depth=4
	s_delay_alu instid0(SALU_CYCLE_1)
	s_or_b32 exec_lo, exec_lo, s34
	flat_load_u8 v14, v[8:9] offset:448 slc dlc
	s_mov_b32 s13, 0
	s_mov_b32 s35, exec_lo
                                        ; implicit-def: $sgpr34
	s_waitcnt vmcnt(0) lgkmcnt(0)
	v_cmpx_lt_i16_e32 0x7f, v14
	s_xor_b32 s35, exec_lo, s35
	s_cbranch_execnz .LBB4_4451
; %bb.4115:                             ;   in Loop: Header=BB4_3936 Depth=4
	s_or_saveexec_b32 s35, s35
	v_mov_b32_e32 v69, s34
	s_xor_b32 exec_lo, exec_lo, s35
	s_cbranch_execnz .LBB4_4454
.LBB4_4116:                             ;   in Loop: Header=BB4_3936 Depth=4
	s_or_b32 exec_lo, exec_lo, s35
	s_and_saveexec_b32 s34, s13
	s_cbranch_execz .LBB4_4118
.LBB4_4117:                             ;   in Loop: Header=BB4_3936 Depth=4
	v_and_b32_e32 v69, 0xffff, v14
	v_lshlrev_b32_e32 v14, 24, v14
	s_delay_alu instid0(VALU_DEP_2) | instskip(NEXT) | instid1(VALU_DEP_2)
	v_and_b32_e32 v132, 3, v69
	v_and_b32_e32 v14, 0x80000000, v14
	s_delay_alu instid0(VALU_DEP_2) | instskip(NEXT) | instid1(VALU_DEP_1)
	v_clz_i32_u32_e32 v145, v132
	v_min_u32_e32 v145, 32, v145
	s_delay_alu instid0(VALU_DEP_1) | instskip(SKIP_1) | instid1(VALU_DEP_2)
	v_subrev_nc_u32_e32 v150, 29, v145
	v_sub_nc_u32_e32 v145, 30, v145
	v_lshlrev_b32_e32 v150, v150, v69
	v_bfe_u32 v69, v69, 2, 5
	s_delay_alu instid0(VALU_DEP_1) | instskip(NEXT) | instid1(VALU_DEP_3)
	v_cmp_eq_u32_e32 vcc_lo, 0, v69
	v_dual_cndmask_b32 v69, v69, v145 :: v_dual_and_b32 v150, 3, v150
	s_delay_alu instid0(VALU_DEP_1) | instskip(NEXT) | instid1(VALU_DEP_2)
	v_cndmask_b32_e32 v132, v132, v150, vcc_lo
	v_lshl_add_u32 v69, v69, 23, 0x37800000
	s_delay_alu instid0(VALU_DEP_2) | instskip(NEXT) | instid1(VALU_DEP_1)
	v_lshlrev_b32_e32 v132, 21, v132
	v_or3_b32 v69, v14, v69, v132
.LBB4_4118:                             ;   in Loop: Header=BB4_3936 Depth=4
	s_or_b32 exec_lo, exec_lo, s34
	s_delay_alu instid0(VALU_DEP_1) | instskip(NEXT) | instid1(VALU_DEP_1)
	v_mul_f32_e32 v14, v15, v69
	v_and_b32_e32 v69, 0x7f800000, v14
	s_delay_alu instid0(VALU_DEP_1)
	v_cmp_ne_u32_e32 vcc_lo, 0x7f800000, v69
	v_mov_b32_e32 v69, 0x80
	s_and_saveexec_b32 s34, vcc_lo
	s_cbranch_execz .LBB4_4126
; %bb.4119:                             ;   in Loop: Header=BB4_3936 Depth=4
	v_mov_b32_e32 v69, 0
	s_mov_b32 s35, exec_lo
	v_cmpx_ne_u32_e32 0, v14
	s_cbranch_execz .LBB4_4125
; %bb.4120:                             ;   in Loop: Header=BB4_3936 Depth=4
	v_bfe_u32 v69, v14, 23, 8
	s_delay_alu instid0(VALU_DEP_1) | instskip(SKIP_1) | instid1(VALU_DEP_2)
	v_sub_nc_u32_e32 v145, 0x70, v69
	v_cmp_gt_u32_e32 vcc_lo, 0x71, v69
	v_dual_cndmask_b32 v145, 0, v145 :: v_dual_and_b32 v132, 0x7fffff, v14
	s_delay_alu instid0(VALU_DEP_1) | instskip(SKIP_2) | instid1(VALU_DEP_4)
	v_or_b32_e32 v150, 0x800000, v132
	v_cmp_eq_u32_e32 vcc_lo, 0, v69
	v_add_nc_u32_e32 v69, 0xffffff91, v69
	v_cndmask_b32_e64 v145, v145, 0x6f, vcc_lo
	s_delay_alu instid0(VALU_DEP_4) | instskip(NEXT) | instid1(VALU_DEP_3)
	v_cndmask_b32_e32 v132, v150, v132, vcc_lo
	v_cndmask_b32_e64 v69, v69, 0xffffff92, vcc_lo
	s_delay_alu instid0(VALU_DEP_3) | instskip(NEXT) | instid1(VALU_DEP_3)
	v_lshl_add_u32 v150, 0x200000, v145, -1
	v_lshrrev_b32_e32 v163, v145, v132
	v_lshlrev_b32_e64 v165, v145, 0x100000
	s_delay_alu instid0(VALU_DEP_4) | instskip(NEXT) | instid1(VALU_DEP_4)
	v_add_nc_u32_e32 v145, v145, v69
	v_and_b32_e32 v132, v150, v132
	s_delay_alu instid0(VALU_DEP_4) | instskip(NEXT) | instid1(VALU_DEP_2)
	v_bfe_u32 v164, v163, 21, 1
	v_cmp_eq_u32_e64 s13, v132, v165
	s_delay_alu instid0(VALU_DEP_2) | instskip(NEXT) | instid1(VALU_DEP_1)
	v_add_nc_u32_e32 v150, -1, v164
	v_cndmask_b32_e64 v132, 0, v150, s13
	v_lshrrev_b32_e32 v150, 23, v163
	s_mov_b32 s13, exec_lo
	s_delay_alu instid0(VALU_DEP_2) | instskip(NEXT) | instid1(VALU_DEP_2)
	v_add_nc_u32_e32 v132, v132, v163
	v_xor_b32_e32 v150, 1, v150
	s_delay_alu instid0(VALU_DEP_2) | instskip(NEXT) | instid1(VALU_DEP_1)
	v_and_b32_e32 v69, 0x1fffff, v132
	v_add_nc_u32_e32 v132, v69, v163
                                        ; implicit-def: $vgpr69
	s_delay_alu instid0(VALU_DEP_3)
	v_cmpx_ne_u32_e64 v145, v150
	s_xor_b32 s13, exec_lo, s13
; %bb.4121:                             ;   in Loop: Header=BB4_3936 Depth=4
	s_delay_alu instid0(VALU_DEP_2) | instskip(SKIP_2) | instid1(VALU_DEP_2)
	v_cmp_lt_u32_e32 vcc_lo, 0xffffff, v132
	v_sub_nc_u32_e32 v69, v145, v150
	v_cndmask_b32_e64 v145, 0, 1, vcc_lo
	v_add_co_ci_u32_e32 v69, vcc_lo, 0, v69, vcc_lo
	s_delay_alu instid0(VALU_DEP_2)
	v_lshrrev_b32_e32 v132, v145, v132
; %bb.4122:                             ;   in Loop: Header=BB4_3936 Depth=4
	s_and_not1_saveexec_b32 s13, s13
; %bb.4123:                             ;   in Loop: Header=BB4_3936 Depth=4
	s_delay_alu instid0(VALU_DEP_1)
	v_bfe_u32 v69, v132, 23, 1
; %bb.4124:                             ;   in Loop: Header=BB4_3936 Depth=4
	s_or_b32 exec_lo, exec_lo, s13
	v_lshrrev_b32_e32 v132, 21, v132
	s_delay_alu instid0(VALU_DEP_2) | instskip(SKIP_2) | instid1(VALU_DEP_2)
	v_cmp_gt_i32_e32 vcc_lo, 32, v69
	v_min_i32_e32 v145, 31, v69
	v_lshrrev_b32_e32 v14, 24, v14
	v_dual_cndmask_b32 v132, 3, v132 :: v_dual_lshlrev_b32 v145, 2, v145
	s_delay_alu instid0(VALU_DEP_2) | instskip(NEXT) | instid1(VALU_DEP_2)
	v_and_b32_e32 v14, 0x80, v14
	v_or_b32_e32 v69, v69, v132
	s_delay_alu instid0(VALU_DEP_1) | instskip(SKIP_1) | instid1(VALU_DEP_1)
	v_cmp_ne_u32_e32 vcc_lo, 0, v69
	v_and_b32_e32 v150, 3, v132
	v_or3_b32 v14, v145, v14, v150
	s_delay_alu instid0(VALU_DEP_1)
	v_cndmask_b32_e32 v69, 0, v14, vcc_lo
.LBB4_4125:                             ;   in Loop: Header=BB4_3936 Depth=4
	s_or_b32 exec_lo, exec_lo, s35
.LBB4_4126:                             ;   in Loop: Header=BB4_3936 Depth=4
	s_delay_alu instid0(SALU_CYCLE_1)
	s_or_b32 exec_lo, exec_lo, s34
	flat_load_u8 v14, v[8:9] offset:480 slc dlc
	s_mov_b32 s13, 0
	s_mov_b32 s35, exec_lo
                                        ; implicit-def: $sgpr34
	s_waitcnt vmcnt(0) lgkmcnt(0)
	v_cmpx_lt_i16_e32 0x7f, v14
	s_xor_b32 s35, exec_lo, s35
	s_cbranch_execnz .LBB4_4455
; %bb.4127:                             ;   in Loop: Header=BB4_3936 Depth=4
	s_or_saveexec_b32 s35, s35
	v_mov_b32_e32 v132, s34
	s_xor_b32 exec_lo, exec_lo, s35
	s_cbranch_execnz .LBB4_4458
.LBB4_4128:                             ;   in Loop: Header=BB4_3936 Depth=4
	s_or_b32 exec_lo, exec_lo, s35
	s_and_saveexec_b32 s34, s13
	s_cbranch_execz .LBB4_4130
.LBB4_4129:                             ;   in Loop: Header=BB4_3936 Depth=4
	v_and_b32_e32 v132, 0xffff, v14
	v_lshlrev_b32_e32 v14, 24, v14
	s_delay_alu instid0(VALU_DEP_2) | instskip(NEXT) | instid1(VALU_DEP_2)
	v_and_b32_e32 v145, 3, v132
	v_and_b32_e32 v14, 0x80000000, v14
	s_delay_alu instid0(VALU_DEP_2) | instskip(NEXT) | instid1(VALU_DEP_1)
	v_clz_i32_u32_e32 v150, v145
	v_min_u32_e32 v150, 32, v150
	s_delay_alu instid0(VALU_DEP_1) | instskip(SKIP_1) | instid1(VALU_DEP_2)
	v_subrev_nc_u32_e32 v163, 29, v150
	v_sub_nc_u32_e32 v150, 30, v150
	v_lshlrev_b32_e32 v163, v163, v132
	v_bfe_u32 v132, v132, 2, 5
	s_delay_alu instid0(VALU_DEP_2) | instskip(NEXT) | instid1(VALU_DEP_2)
	v_and_b32_e32 v163, 3, v163
	v_cmp_eq_u32_e32 vcc_lo, 0, v132
	s_delay_alu instid0(VALU_DEP_2) | instskip(NEXT) | instid1(VALU_DEP_1)
	v_dual_cndmask_b32 v132, v132, v150 :: v_dual_cndmask_b32 v145, v145, v163
	v_lshl_add_u32 v132, v132, 23, 0x37800000
	s_delay_alu instid0(VALU_DEP_2) | instskip(NEXT) | instid1(VALU_DEP_1)
	v_lshlrev_b32_e32 v145, 21, v145
	v_or3_b32 v132, v14, v132, v145
.LBB4_4130:                             ;   in Loop: Header=BB4_3936 Depth=4
	s_or_b32 exec_lo, exec_lo, s34
	s_delay_alu instid0(VALU_DEP_1) | instskip(NEXT) | instid1(VALU_DEP_1)
	v_mul_f32_e32 v14, v15, v132
	v_and_b32_e32 v15, 0x7f800000, v14
	s_delay_alu instid0(VALU_DEP_1)
	v_cmp_ne_u32_e32 vcc_lo, 0x7f800000, v15
	v_mov_b32_e32 v15, 0x80
	s_and_saveexec_b32 s34, vcc_lo
	s_cbranch_execz .LBB4_4138
; %bb.4131:                             ;   in Loop: Header=BB4_3936 Depth=4
	v_mov_b32_e32 v15, 0
	s_mov_b32 s35, exec_lo
	v_cmpx_ne_u32_e32 0, v14
	s_cbranch_execz .LBB4_4137
; %bb.4132:                             ;   in Loop: Header=BB4_3936 Depth=4
	v_bfe_u32 v15, v14, 23, 8
	s_delay_alu instid0(VALU_DEP_1) | instskip(SKIP_1) | instid1(VALU_DEP_2)
	v_sub_nc_u32_e32 v145, 0x70, v15
	v_cmp_gt_u32_e32 vcc_lo, 0x71, v15
	v_dual_cndmask_b32 v145, 0, v145 :: v_dual_and_b32 v132, 0x7fffff, v14
	s_delay_alu instid0(VALU_DEP_1) | instskip(SKIP_2) | instid1(VALU_DEP_4)
	v_or_b32_e32 v150, 0x800000, v132
	v_cmp_eq_u32_e32 vcc_lo, 0, v15
	v_add_nc_u32_e32 v15, 0xffffff91, v15
	v_cndmask_b32_e64 v145, v145, 0x6f, vcc_lo
	s_delay_alu instid0(VALU_DEP_4) | instskip(NEXT) | instid1(VALU_DEP_3)
	v_cndmask_b32_e32 v132, v150, v132, vcc_lo
	v_cndmask_b32_e64 v15, v15, 0xffffff92, vcc_lo
	s_delay_alu instid0(VALU_DEP_3) | instskip(NEXT) | instid1(VALU_DEP_3)
	v_lshl_add_u32 v150, 0x200000, v145, -1
	v_lshrrev_b32_e32 v163, v145, v132
	v_lshlrev_b32_e64 v165, v145, 0x100000
	s_delay_alu instid0(VALU_DEP_4) | instskip(NEXT) | instid1(VALU_DEP_4)
	v_add_nc_u32_e32 v145, v145, v15
	v_and_b32_e32 v132, v150, v132
	s_delay_alu instid0(VALU_DEP_4) | instskip(NEXT) | instid1(VALU_DEP_2)
	v_bfe_u32 v164, v163, 21, 1
	v_cmp_eq_u32_e64 s13, v132, v165
	s_delay_alu instid0(VALU_DEP_2) | instskip(NEXT) | instid1(VALU_DEP_1)
	v_add_nc_u32_e32 v150, -1, v164
	v_cndmask_b32_e64 v132, 0, v150, s13
	v_lshrrev_b32_e32 v150, 23, v163
	s_mov_b32 s13, exec_lo
	s_delay_alu instid0(VALU_DEP_2) | instskip(NEXT) | instid1(VALU_DEP_2)
	v_add_nc_u32_e32 v132, v132, v163
	v_xor_b32_e32 v150, 1, v150
	s_delay_alu instid0(VALU_DEP_2) | instskip(NEXT) | instid1(VALU_DEP_1)
	v_and_b32_e32 v15, 0x1fffff, v132
	v_add_nc_u32_e32 v132, v15, v163
                                        ; implicit-def: $vgpr15
	s_delay_alu instid0(VALU_DEP_3)
	v_cmpx_ne_u32_e64 v145, v150
	s_xor_b32 s13, exec_lo, s13
; %bb.4133:                             ;   in Loop: Header=BB4_3936 Depth=4
	s_delay_alu instid0(VALU_DEP_2) | instskip(SKIP_2) | instid1(VALU_DEP_2)
	v_cmp_lt_u32_e32 vcc_lo, 0xffffff, v132
	v_sub_nc_u32_e32 v15, v145, v150
	v_cndmask_b32_e64 v145, 0, 1, vcc_lo
	v_add_co_ci_u32_e32 v15, vcc_lo, 0, v15, vcc_lo
	s_delay_alu instid0(VALU_DEP_2)
	v_lshrrev_b32_e32 v132, v145, v132
; %bb.4134:                             ;   in Loop: Header=BB4_3936 Depth=4
	s_and_not1_saveexec_b32 s13, s13
; %bb.4135:                             ;   in Loop: Header=BB4_3936 Depth=4
	s_delay_alu instid0(VALU_DEP_1)
	v_bfe_u32 v15, v132, 23, 1
; %bb.4136:                             ;   in Loop: Header=BB4_3936 Depth=4
	s_or_b32 exec_lo, exec_lo, s13
	v_lshrrev_b32_e32 v132, 21, v132
	s_delay_alu instid0(VALU_DEP_2) | instskip(SKIP_2) | instid1(VALU_DEP_2)
	v_cmp_gt_i32_e32 vcc_lo, 32, v15
	v_min_i32_e32 v145, 31, v15
	v_lshrrev_b32_e32 v14, 24, v14
	v_dual_cndmask_b32 v132, 3, v132 :: v_dual_lshlrev_b32 v145, 2, v145
	s_delay_alu instid0(VALU_DEP_2) | instskip(NEXT) | instid1(VALU_DEP_2)
	v_and_b32_e32 v14, 0x80, v14
	v_or_b32_e32 v15, v15, v132
	s_delay_alu instid0(VALU_DEP_1) | instskip(SKIP_1) | instid1(VALU_DEP_1)
	v_cmp_ne_u32_e32 vcc_lo, 0, v15
	v_and_b32_e32 v150, 3, v132
	v_or3_b32 v14, v145, v14, v150
	s_delay_alu instid0(VALU_DEP_1)
	v_cndmask_b32_e32 v15, 0, v14, vcc_lo
.LBB4_4137:                             ;   in Loop: Header=BB4_3936 Depth=4
	s_or_b32 exec_lo, exec_lo, s35
.LBB4_4138:                             ;   in Loop: Header=BB4_3936 Depth=4
	s_delay_alu instid0(SALU_CYCLE_1)
	s_or_b32 exec_lo, exec_lo, s34
	s_clause 0xf
	flat_load_u8 v182, v[10:11] slc dlc
	flat_load_u8 v181, v[10:11] offset:32 slc dlc
	flat_load_u8 v180, v[10:11] offset:64 slc dlc
	;; [unrolled: 1-line block ×15, first 2 shown]
	v_and_b32_e32 v40, 0xff, v68
	s_mov_b32 s13, 0
	s_mov_b32 s35, exec_lo
                                        ; implicit-def: $sgpr34
	s_delay_alu instid0(VALU_DEP_1)
	v_cmpx_lt_i16_e32 0x7f, v40
	s_xor_b32 s35, exec_lo, s35
	s_cbranch_execnz .LBB4_4459
; %bb.4139:                             ;   in Loop: Header=BB4_3936 Depth=4
	s_or_saveexec_b32 s35, s35
	v_mov_b32_e32 v183, s34
	s_xor_b32 exec_lo, exec_lo, s35
	s_cbranch_execnz .LBB4_4462
.LBB4_4140:                             ;   in Loop: Header=BB4_3936 Depth=4
	s_or_b32 exec_lo, exec_lo, s35
	s_and_saveexec_b32 s34, s13
	s_cbranch_execz .LBB4_4142
.LBB4_4141:                             ;   in Loop: Header=BB4_3936 Depth=4
	v_and_b32_e32 v183, 3, v68
	v_lshrrev_b16 v42, 2, v68
	s_delay_alu instid0(VALU_DEP_2) | instskip(NEXT) | instid1(VALU_DEP_1)
	v_clz_i32_u32_e32 v40, v183
	v_min_u32_e32 v40, 32, v40
	s_delay_alu instid0(VALU_DEP_1) | instskip(SKIP_1) | instid1(VALU_DEP_2)
	v_subrev_nc_u32_e32 v41, 29, v40
	v_sub_nc_u32_e32 v40, 30, v40
	v_lshlrev_b32_e32 v41, v41, v68
	v_lshlrev_b32_e32 v68, 24, v68
	s_delay_alu instid0(VALU_DEP_2) | instskip(SKIP_1) | instid1(VALU_DEP_3)
	v_and_b32_e32 v41, 3, v41
	v_and_b32_e32 v42, 31, v42
	;; [unrolled: 1-line block ×3, first 2 shown]
	s_delay_alu instid0(VALU_DEP_2) | instskip(NEXT) | instid1(VALU_DEP_4)
	v_cmp_eq_u32_e32 vcc_lo, 0, v42
	v_dual_cndmask_b32 v183, v183, v41 :: v_dual_cndmask_b32 v40, v42, v40
	s_delay_alu instid0(VALU_DEP_1) | instskip(NEXT) | instid1(VALU_DEP_2)
	v_lshlrev_b32_e32 v183, 21, v183
	v_lshl_add_u32 v40, v40, 23, 0x37800000
	s_delay_alu instid0(VALU_DEP_1)
	v_or3_b32 v183, v68, v40, v183
.LBB4_4142:                             ;   in Loop: Header=BB4_3936 Depth=4
	s_or_b32 exec_lo, exec_lo, s34
	s_waitcnt vmcnt(15) lgkmcnt(15)
	v_and_b32_e32 v40, 0xff, v182
	s_mov_b32 s13, 0
	s_mov_b32 s35, exec_lo
                                        ; implicit-def: $sgpr34
	s_delay_alu instid0(VALU_DEP_1)
	v_cmpx_lt_i16_e32 0x7f, v40
	s_xor_b32 s35, exec_lo, s35
	s_cbranch_execnz .LBB4_4463
; %bb.4143:                             ;   in Loop: Header=BB4_3936 Depth=4
	s_or_saveexec_b32 s35, s35
	v_mov_b32_e32 v68, s34
	s_xor_b32 exec_lo, exec_lo, s35
	s_cbranch_execnz .LBB4_4466
.LBB4_4144:                             ;   in Loop: Header=BB4_3936 Depth=4
	s_or_b32 exec_lo, exec_lo, s35
	s_and_saveexec_b32 s34, s13
	s_cbranch_execz .LBB4_4146
.LBB4_4145:                             ;   in Loop: Header=BB4_3936 Depth=4
	v_and_b32_e32 v68, 3, v182
	v_lshrrev_b16 v42, 2, v182
	s_delay_alu instid0(VALU_DEP_2) | instskip(NEXT) | instid1(VALU_DEP_2)
	v_clz_i32_u32_e32 v40, v68
	v_and_b32_e32 v42, 31, v42
	s_delay_alu instid0(VALU_DEP_2) | instskip(NEXT) | instid1(VALU_DEP_2)
	v_min_u32_e32 v40, 32, v40
	v_cmp_eq_u32_e32 vcc_lo, 0, v42
	s_delay_alu instid0(VALU_DEP_2) | instskip(SKIP_1) | instid1(VALU_DEP_1)
	v_subrev_nc_u32_e32 v41, 29, v40
	v_sub_nc_u32_e32 v40, 30, v40
	v_dual_cndmask_b32 v40, v42, v40 :: v_dual_lshlrev_b32 v41, v41, v182
	v_lshlrev_b32_e32 v182, 24, v182
	s_delay_alu instid0(VALU_DEP_2) | instskip(NEXT) | instid1(VALU_DEP_3)
	v_and_b32_e32 v41, 3, v41
	v_lshl_add_u32 v40, v40, 23, 0x37800000
	s_delay_alu instid0(VALU_DEP_3) | instskip(NEXT) | instid1(VALU_DEP_3)
	v_and_b32_e32 v182, 0x80000000, v182
	v_cndmask_b32_e32 v68, v68, v41, vcc_lo
	s_delay_alu instid0(VALU_DEP_1) | instskip(NEXT) | instid1(VALU_DEP_1)
	v_lshlrev_b32_e32 v68, 21, v68
	v_or3_b32 v68, v182, v40, v68
.LBB4_4146:                             ;   in Loop: Header=BB4_3936 Depth=4
	s_or_b32 exec_lo, exec_lo, s34
	s_delay_alu instid0(VALU_DEP_1) | instskip(NEXT) | instid1(VALU_DEP_1)
	v_add_f32_e32 v182, v183, v68
	v_and_b32_e32 v68, 0x7f800000, v182
	s_delay_alu instid0(VALU_DEP_1)
	v_cmp_ne_u32_e32 vcc_lo, 0x7f800000, v68
	v_mov_b32_e32 v68, 0x80
	s_and_saveexec_b32 s34, vcc_lo
	s_cbranch_execz .LBB4_4154
; %bb.4147:                             ;   in Loop: Header=BB4_3936 Depth=4
	v_mov_b32_e32 v68, 0
	s_mov_b32 s35, exec_lo
	v_cmpx_ne_u32_e32 0, v182
	s_cbranch_execz .LBB4_4153
; %bb.4148:                             ;   in Loop: Header=BB4_3936 Depth=4
	v_bfe_u32 v68, v182, 23, 8
	s_delay_alu instid0(VALU_DEP_1) | instskip(SKIP_1) | instid1(VALU_DEP_2)
	v_sub_nc_u32_e32 v40, 0x70, v68
	v_cmp_gt_u32_e32 vcc_lo, 0x71, v68
	v_dual_cndmask_b32 v40, 0, v40 :: v_dual_and_b32 v183, 0x7fffff, v182
	s_delay_alu instid0(VALU_DEP_1) | instskip(SKIP_2) | instid1(VALU_DEP_4)
	v_or_b32_e32 v41, 0x800000, v183
	v_cmp_eq_u32_e32 vcc_lo, 0, v68
	v_add_nc_u32_e32 v68, 0xffffff91, v68
	v_cndmask_b32_e64 v40, v40, 0x6f, vcc_lo
	s_delay_alu instid0(VALU_DEP_4) | instskip(NEXT) | instid1(VALU_DEP_3)
	v_cndmask_b32_e32 v183, v41, v183, vcc_lo
	v_cndmask_b32_e64 v68, v68, 0xffffff92, vcc_lo
	s_delay_alu instid0(VALU_DEP_3) | instskip(NEXT) | instid1(VALU_DEP_3)
	v_lshl_add_u32 v41, 0x200000, v40, -1
	v_lshrrev_b32_e32 v42, v40, v183
	v_lshlrev_b32_e64 v44, v40, 0x100000
	s_delay_alu instid0(VALU_DEP_4) | instskip(NEXT) | instid1(VALU_DEP_4)
	v_add_nc_u32_e32 v40, v40, v68
	v_and_b32_e32 v183, v41, v183
	s_delay_alu instid0(VALU_DEP_4) | instskip(NEXT) | instid1(VALU_DEP_2)
	v_bfe_u32 v43, v42, 21, 1
	v_cmp_eq_u32_e64 s13, v183, v44
	s_delay_alu instid0(VALU_DEP_2) | instskip(NEXT) | instid1(VALU_DEP_1)
	v_add_nc_u32_e32 v41, -1, v43
	v_cndmask_b32_e64 v183, 0, v41, s13
	v_lshrrev_b32_e32 v41, 23, v42
	s_mov_b32 s13, exec_lo
	s_delay_alu instid0(VALU_DEP_2) | instskip(NEXT) | instid1(VALU_DEP_2)
	v_add_nc_u32_e32 v183, v183, v42
	v_xor_b32_e32 v41, 1, v41
	s_delay_alu instid0(VALU_DEP_2) | instskip(NEXT) | instid1(VALU_DEP_1)
	v_and_b32_e32 v68, 0x1fffff, v183
	v_add_nc_u32_e32 v183, v68, v42
                                        ; implicit-def: $vgpr68
	s_delay_alu instid0(VALU_DEP_3)
	v_cmpx_ne_u32_e64 v40, v41
	s_xor_b32 s13, exec_lo, s13
; %bb.4149:                             ;   in Loop: Header=BB4_3936 Depth=4
	s_delay_alu instid0(VALU_DEP_2) | instskip(SKIP_2) | instid1(VALU_DEP_2)
	v_cmp_lt_u32_e32 vcc_lo, 0xffffff, v183
	v_sub_nc_u32_e32 v68, v40, v41
	v_cndmask_b32_e64 v40, 0, 1, vcc_lo
	v_add_co_ci_u32_e32 v68, vcc_lo, 0, v68, vcc_lo
	s_delay_alu instid0(VALU_DEP_2)
	v_lshrrev_b32_e32 v183, v40, v183
; %bb.4150:                             ;   in Loop: Header=BB4_3936 Depth=4
	s_and_not1_saveexec_b32 s13, s13
; %bb.4151:                             ;   in Loop: Header=BB4_3936 Depth=4
	s_delay_alu instid0(VALU_DEP_1)
	v_bfe_u32 v68, v183, 23, 1
; %bb.4152:                             ;   in Loop: Header=BB4_3936 Depth=4
	s_or_b32 exec_lo, exec_lo, s13
	v_lshrrev_b32_e32 v183, 21, v183
	s_delay_alu instid0(VALU_DEP_2) | instskip(SKIP_2) | instid1(VALU_DEP_2)
	v_cmp_gt_i32_e32 vcc_lo, 32, v68
	v_lshrrev_b32_e32 v182, 24, v182
	v_min_i32_e32 v40, 31, v68
	v_dual_cndmask_b32 v183, 3, v183 :: v_dual_and_b32 v182, 0x80, v182
	s_delay_alu instid0(VALU_DEP_2) | instskip(NEXT) | instid1(VALU_DEP_2)
	v_lshlrev_b32_e32 v40, 2, v40
	v_or_b32_e32 v68, v68, v183
	s_delay_alu instid0(VALU_DEP_1) | instskip(SKIP_1) | instid1(VALU_DEP_1)
	v_cmp_ne_u32_e32 vcc_lo, 0, v68
	v_and_b32_e32 v41, 3, v183
	v_or3_b32 v182, v40, v182, v41
	s_delay_alu instid0(VALU_DEP_1)
	v_cndmask_b32_e32 v68, 0, v182, vcc_lo
.LBB4_4153:                             ;   in Loop: Header=BB4_3936 Depth=4
	s_or_b32 exec_lo, exec_lo, s35
.LBB4_4154:                             ;   in Loop: Header=BB4_3936 Depth=4
	s_delay_alu instid0(SALU_CYCLE_1) | instskip(SKIP_3) | instid1(VALU_DEP_1)
	s_or_b32 exec_lo, exec_lo, s34
	v_and_b32_e32 v183, 0xff, v134
	s_mov_b32 s13, 0
	s_mov_b32 s35, exec_lo
                                        ; implicit-def: $sgpr34
	v_cmpx_lt_i16_e64 0x7f, v183
	s_xor_b32 s35, exec_lo, s35
	s_cbranch_execnz .LBB4_4467
; %bb.4155:                             ;   in Loop: Header=BB4_3936 Depth=4
	s_or_saveexec_b32 s35, s35
	v_mov_b32_e32 v182, s34
	s_xor_b32 exec_lo, exec_lo, s35
	s_cbranch_execnz .LBB4_4470
.LBB4_4156:                             ;   in Loop: Header=BB4_3936 Depth=4
	s_or_b32 exec_lo, exec_lo, s35
	s_and_saveexec_b32 s34, s13
	s_cbranch_execz .LBB4_4158
.LBB4_4157:                             ;   in Loop: Header=BB4_3936 Depth=4
	v_lshrrev_b16 v41, 2, v134
	s_delay_alu instid0(VALU_DEP_1) | instskip(NEXT) | instid1(VALU_DEP_1)
	v_and_b32_e32 v41, 31, v41
	v_cmp_eq_u32_e32 vcc_lo, 0, v41
	v_and_b32_e32 v182, 3, v134
	s_delay_alu instid0(VALU_DEP_1) | instskip(NEXT) | instid1(VALU_DEP_1)
	v_clz_i32_u32_e32 v183, v182
	v_min_u32_e32 v183, 32, v183
	s_delay_alu instid0(VALU_DEP_1) | instskip(SKIP_1) | instid1(VALU_DEP_1)
	v_subrev_nc_u32_e32 v40, 29, v183
	v_sub_nc_u32_e32 v183, 30, v183
	v_dual_cndmask_b32 v183, v41, v183 :: v_dual_lshlrev_b32 v40, v40, v134
	v_lshlrev_b32_e32 v134, 24, v134
	s_delay_alu instid0(VALU_DEP_2) | instskip(NEXT) | instid1(VALU_DEP_3)
	v_and_b32_e32 v40, 3, v40
	v_lshl_add_u32 v183, v183, 23, 0x37800000
	s_delay_alu instid0(VALU_DEP_3) | instskip(NEXT) | instid1(VALU_DEP_3)
	v_and_b32_e32 v134, 0x80000000, v134
	v_cndmask_b32_e32 v182, v182, v40, vcc_lo
	s_delay_alu instid0(VALU_DEP_1) | instskip(NEXT) | instid1(VALU_DEP_1)
	v_lshlrev_b32_e32 v182, 21, v182
	v_or3_b32 v182, v134, v183, v182
.LBB4_4158:                             ;   in Loop: Header=BB4_3936 Depth=4
	s_or_b32 exec_lo, exec_lo, s34
	s_waitcnt vmcnt(14) lgkmcnt(14)
	v_and_b32_e32 v183, 0xff, v181
	s_mov_b32 s13, 0
	s_mov_b32 s35, exec_lo
                                        ; implicit-def: $sgpr34
	s_delay_alu instid0(VALU_DEP_1)
	v_cmpx_lt_i16_e64 0x7f, v183
	s_xor_b32 s35, exec_lo, s35
	s_cbranch_execnz .LBB4_4471
; %bb.4159:                             ;   in Loop: Header=BB4_3936 Depth=4
	s_or_saveexec_b32 s35, s35
	v_mov_b32_e32 v134, s34
	s_xor_b32 exec_lo, exec_lo, s35
	s_cbranch_execnz .LBB4_4474
.LBB4_4160:                             ;   in Loop: Header=BB4_3936 Depth=4
	s_or_b32 exec_lo, exec_lo, s35
	s_and_saveexec_b32 s34, s13
	s_cbranch_execz .LBB4_4162
.LBB4_4161:                             ;   in Loop: Header=BB4_3936 Depth=4
	v_lshrrev_b16 v41, 2, v181
	s_delay_alu instid0(VALU_DEP_1) | instskip(NEXT) | instid1(VALU_DEP_1)
	v_and_b32_e32 v41, 31, v41
	v_cmp_eq_u32_e32 vcc_lo, 0, v41
	v_and_b32_e32 v134, 3, v181
	s_delay_alu instid0(VALU_DEP_1) | instskip(NEXT) | instid1(VALU_DEP_1)
	v_clz_i32_u32_e32 v183, v134
	v_min_u32_e32 v183, 32, v183
	s_delay_alu instid0(VALU_DEP_1) | instskip(SKIP_1) | instid1(VALU_DEP_1)
	v_subrev_nc_u32_e32 v40, 29, v183
	v_sub_nc_u32_e32 v183, 30, v183
	v_dual_cndmask_b32 v183, v41, v183 :: v_dual_lshlrev_b32 v40, v40, v181
	v_lshlrev_b32_e32 v181, 24, v181
	s_delay_alu instid0(VALU_DEP_2) | instskip(NEXT) | instid1(VALU_DEP_3)
	v_and_b32_e32 v40, 3, v40
	v_lshl_add_u32 v183, v183, 23, 0x37800000
	s_delay_alu instid0(VALU_DEP_2) | instskip(NEXT) | instid1(VALU_DEP_1)
	v_dual_cndmask_b32 v134, v134, v40 :: v_dual_and_b32 v181, 0x80000000, v181
	v_lshlrev_b32_e32 v134, 21, v134
	s_delay_alu instid0(VALU_DEP_1)
	v_or3_b32 v134, v181, v183, v134
.LBB4_4162:                             ;   in Loop: Header=BB4_3936 Depth=4
	s_or_b32 exec_lo, exec_lo, s34
	s_delay_alu instid0(VALU_DEP_1) | instskip(NEXT) | instid1(VALU_DEP_1)
	v_add_f32_e32 v181, v182, v134
	v_and_b32_e32 v134, 0x7f800000, v181
	s_delay_alu instid0(VALU_DEP_1)
	v_cmp_ne_u32_e32 vcc_lo, 0x7f800000, v134
	v_mov_b32_e32 v134, 0x80
	s_and_saveexec_b32 s34, vcc_lo
	s_cbranch_execz .LBB4_4170
; %bb.4163:                             ;   in Loop: Header=BB4_3936 Depth=4
	v_mov_b32_e32 v134, 0
	s_mov_b32 s35, exec_lo
	v_cmpx_ne_u32_e32 0, v181
	s_cbranch_execz .LBB4_4169
; %bb.4164:                             ;   in Loop: Header=BB4_3936 Depth=4
	v_bfe_u32 v134, v181, 23, 8
	s_delay_alu instid0(VALU_DEP_1) | instskip(SKIP_1) | instid1(VALU_DEP_2)
	v_sub_nc_u32_e32 v183, 0x70, v134
	v_cmp_gt_u32_e32 vcc_lo, 0x71, v134
	v_dual_cndmask_b32 v183, 0, v183 :: v_dual_and_b32 v182, 0x7fffff, v181
	s_delay_alu instid0(VALU_DEP_1) | instskip(SKIP_2) | instid1(VALU_DEP_4)
	v_or_b32_e32 v40, 0x800000, v182
	v_cmp_eq_u32_e32 vcc_lo, 0, v134
	v_add_nc_u32_e32 v134, 0xffffff91, v134
	v_cndmask_b32_e64 v183, v183, 0x6f, vcc_lo
	s_delay_alu instid0(VALU_DEP_4) | instskip(NEXT) | instid1(VALU_DEP_3)
	v_cndmask_b32_e32 v182, v40, v182, vcc_lo
	v_cndmask_b32_e64 v134, v134, 0xffffff92, vcc_lo
	s_delay_alu instid0(VALU_DEP_3) | instskip(NEXT) | instid1(VALU_DEP_3)
	v_lshl_add_u32 v40, 0x200000, v183, -1
	v_lshrrev_b32_e32 v41, v183, v182
	v_lshlrev_b32_e64 v43, v183, 0x100000
	s_delay_alu instid0(VALU_DEP_4) | instskip(NEXT) | instid1(VALU_DEP_4)
	v_add_nc_u32_e32 v183, v183, v134
	v_and_b32_e32 v182, v40, v182
	s_delay_alu instid0(VALU_DEP_4) | instskip(NEXT) | instid1(VALU_DEP_2)
	v_bfe_u32 v42, v41, 21, 1
	v_cmp_eq_u32_e64 s13, v182, v43
	s_delay_alu instid0(VALU_DEP_2) | instskip(NEXT) | instid1(VALU_DEP_1)
	v_add_nc_u32_e32 v40, -1, v42
	v_cndmask_b32_e64 v182, 0, v40, s13
	v_lshrrev_b32_e32 v40, 23, v41
	s_mov_b32 s13, exec_lo
	s_delay_alu instid0(VALU_DEP_2) | instskip(NEXT) | instid1(VALU_DEP_2)
	v_add_nc_u32_e32 v182, v182, v41
	v_xor_b32_e32 v40, 1, v40
	s_delay_alu instid0(VALU_DEP_2) | instskip(NEXT) | instid1(VALU_DEP_1)
	v_and_b32_e32 v134, 0x1fffff, v182
	v_add_nc_u32_e32 v182, v134, v41
                                        ; implicit-def: $vgpr134
	s_delay_alu instid0(VALU_DEP_3)
	v_cmpx_ne_u32_e64 v183, v40
	s_xor_b32 s13, exec_lo, s13
; %bb.4165:                             ;   in Loop: Header=BB4_3936 Depth=4
	s_delay_alu instid0(VALU_DEP_2) | instskip(SKIP_2) | instid1(VALU_DEP_2)
	v_cmp_lt_u32_e32 vcc_lo, 0xffffff, v182
	v_sub_nc_u32_e32 v134, v183, v40
	v_cndmask_b32_e64 v183, 0, 1, vcc_lo
	v_add_co_ci_u32_e32 v134, vcc_lo, 0, v134, vcc_lo
	s_delay_alu instid0(VALU_DEP_2)
	v_lshrrev_b32_e32 v182, v183, v182
; %bb.4166:                             ;   in Loop: Header=BB4_3936 Depth=4
	s_and_not1_saveexec_b32 s13, s13
; %bb.4167:                             ;   in Loop: Header=BB4_3936 Depth=4
	s_delay_alu instid0(VALU_DEP_1)
	v_bfe_u32 v134, v182, 23, 1
; %bb.4168:                             ;   in Loop: Header=BB4_3936 Depth=4
	s_or_b32 exec_lo, exec_lo, s13
	v_lshrrev_b32_e32 v182, 21, v182
	s_delay_alu instid0(VALU_DEP_2) | instskip(SKIP_2) | instid1(VALU_DEP_2)
	v_cmp_gt_i32_e32 vcc_lo, 32, v134
	v_lshrrev_b32_e32 v181, 24, v181
	v_min_i32_e32 v183, 31, v134
	v_dual_cndmask_b32 v182, 3, v182 :: v_dual_and_b32 v181, 0x80, v181
	s_delay_alu instid0(VALU_DEP_1) | instskip(SKIP_1) | instid1(VALU_DEP_2)
	v_or_b32_e32 v134, v134, v182
	v_and_b32_e32 v40, 3, v182
	v_cmp_ne_u32_e32 vcc_lo, 0, v134
	v_lshlrev_b32_e32 v183, 2, v183
	s_delay_alu instid0(VALU_DEP_1) | instskip(NEXT) | instid1(VALU_DEP_1)
	v_or3_b32 v181, v183, v181, v40
	v_cndmask_b32_e32 v134, 0, v181, vcc_lo
.LBB4_4169:                             ;   in Loop: Header=BB4_3936 Depth=4
	s_or_b32 exec_lo, exec_lo, s35
.LBB4_4170:                             ;   in Loop: Header=BB4_3936 Depth=4
	s_delay_alu instid0(SALU_CYCLE_1) | instskip(SKIP_3) | instid1(VALU_DEP_1)
	s_or_b32 exec_lo, exec_lo, s34
	v_and_b32_e32 v182, 0xff, v148
	s_mov_b32 s13, 0
	s_mov_b32 s35, exec_lo
                                        ; implicit-def: $sgpr34
	v_cmpx_lt_i16_e64 0x7f, v182
	s_xor_b32 s35, exec_lo, s35
	s_cbranch_execnz .LBB4_4475
; %bb.4171:                             ;   in Loop: Header=BB4_3936 Depth=4
	s_or_saveexec_b32 s35, s35
	v_mov_b32_e32 v181, s34
	s_xor_b32 exec_lo, exec_lo, s35
	s_cbranch_execnz .LBB4_4478
.LBB4_4172:                             ;   in Loop: Header=BB4_3936 Depth=4
	s_or_b32 exec_lo, exec_lo, s35
	s_and_saveexec_b32 s34, s13
	s_cbranch_execz .LBB4_4174
.LBB4_4173:                             ;   in Loop: Header=BB4_3936 Depth=4
	v_lshrrev_b16 v40, 2, v148
	s_delay_alu instid0(VALU_DEP_1) | instskip(NEXT) | instid1(VALU_DEP_1)
	v_and_b32_e32 v40, 31, v40
	v_cmp_eq_u32_e32 vcc_lo, 0, v40
	v_and_b32_e32 v181, 3, v148
	s_delay_alu instid0(VALU_DEP_1) | instskip(NEXT) | instid1(VALU_DEP_1)
	v_clz_i32_u32_e32 v182, v181
	v_min_u32_e32 v182, 32, v182
	s_delay_alu instid0(VALU_DEP_1) | instskip(SKIP_1) | instid1(VALU_DEP_1)
	v_subrev_nc_u32_e32 v183, 29, v182
	v_sub_nc_u32_e32 v182, 30, v182
	v_dual_cndmask_b32 v182, v40, v182 :: v_dual_lshlrev_b32 v183, v183, v148
	v_lshlrev_b32_e32 v148, 24, v148
	s_delay_alu instid0(VALU_DEP_2) | instskip(NEXT) | instid1(VALU_DEP_3)
	v_and_b32_e32 v183, 3, v183
	v_lshl_add_u32 v182, v182, 23, 0x37800000
	s_delay_alu instid0(VALU_DEP_2) | instskip(NEXT) | instid1(VALU_DEP_1)
	v_dual_cndmask_b32 v181, v181, v183 :: v_dual_and_b32 v148, 0x80000000, v148
	v_lshlrev_b32_e32 v181, 21, v181
	s_delay_alu instid0(VALU_DEP_1)
	v_or3_b32 v181, v148, v182, v181
.LBB4_4174:                             ;   in Loop: Header=BB4_3936 Depth=4
	s_or_b32 exec_lo, exec_lo, s34
	s_waitcnt vmcnt(13) lgkmcnt(13)
	v_and_b32_e32 v182, 0xff, v180
	s_mov_b32 s13, 0
	s_mov_b32 s35, exec_lo
                                        ; implicit-def: $sgpr34
	s_delay_alu instid0(VALU_DEP_1)
	v_cmpx_lt_i16_e64 0x7f, v182
	s_xor_b32 s35, exec_lo, s35
	s_cbranch_execnz .LBB4_4479
; %bb.4175:                             ;   in Loop: Header=BB4_3936 Depth=4
	s_or_saveexec_b32 s35, s35
	v_mov_b32_e32 v148, s34
	s_xor_b32 exec_lo, exec_lo, s35
	s_cbranch_execnz .LBB4_4482
.LBB4_4176:                             ;   in Loop: Header=BB4_3936 Depth=4
	s_or_b32 exec_lo, exec_lo, s35
	s_and_saveexec_b32 s34, s13
	s_cbranch_execz .LBB4_4178
.LBB4_4177:                             ;   in Loop: Header=BB4_3936 Depth=4
	v_and_b32_e32 v148, 3, v180
	v_lshrrev_b16 v40, 2, v180
	s_delay_alu instid0(VALU_DEP_2) | instskip(NEXT) | instid1(VALU_DEP_2)
	v_clz_i32_u32_e32 v182, v148
	v_and_b32_e32 v40, 31, v40
	s_delay_alu instid0(VALU_DEP_2) | instskip(NEXT) | instid1(VALU_DEP_2)
	v_min_u32_e32 v182, 32, v182
	v_cmp_eq_u32_e32 vcc_lo, 0, v40
	s_delay_alu instid0(VALU_DEP_2) | instskip(SKIP_1) | instid1(VALU_DEP_1)
	v_subrev_nc_u32_e32 v183, 29, v182
	v_sub_nc_u32_e32 v182, 30, v182
	v_dual_cndmask_b32 v182, v40, v182 :: v_dual_lshlrev_b32 v183, v183, v180
	v_lshlrev_b32_e32 v180, 24, v180
	s_delay_alu instid0(VALU_DEP_2) | instskip(NEXT) | instid1(VALU_DEP_3)
	v_and_b32_e32 v183, 3, v183
	v_lshl_add_u32 v182, v182, 23, 0x37800000
	s_delay_alu instid0(VALU_DEP_3) | instskip(NEXT) | instid1(VALU_DEP_3)
	v_and_b32_e32 v180, 0x80000000, v180
	v_cndmask_b32_e32 v148, v148, v183, vcc_lo
	s_delay_alu instid0(VALU_DEP_1) | instskip(NEXT) | instid1(VALU_DEP_1)
	v_lshlrev_b32_e32 v148, 21, v148
	v_or3_b32 v148, v180, v182, v148
.LBB4_4178:                             ;   in Loop: Header=BB4_3936 Depth=4
	s_or_b32 exec_lo, exec_lo, s34
	s_delay_alu instid0(VALU_DEP_1) | instskip(NEXT) | instid1(VALU_DEP_1)
	v_add_f32_e32 v180, v181, v148
	v_and_b32_e32 v148, 0x7f800000, v180
	s_delay_alu instid0(VALU_DEP_1)
	v_cmp_ne_u32_e32 vcc_lo, 0x7f800000, v148
	v_mov_b32_e32 v148, 0x80
	s_and_saveexec_b32 s34, vcc_lo
	s_cbranch_execz .LBB4_4186
; %bb.4179:                             ;   in Loop: Header=BB4_3936 Depth=4
	v_mov_b32_e32 v148, 0
	s_mov_b32 s35, exec_lo
	v_cmpx_ne_u32_e32 0, v180
	s_cbranch_execz .LBB4_4185
; %bb.4180:                             ;   in Loop: Header=BB4_3936 Depth=4
	v_bfe_u32 v148, v180, 23, 8
	s_delay_alu instid0(VALU_DEP_1) | instskip(SKIP_1) | instid1(VALU_DEP_2)
	v_sub_nc_u32_e32 v182, 0x70, v148
	v_cmp_gt_u32_e32 vcc_lo, 0x71, v148
	v_dual_cndmask_b32 v182, 0, v182 :: v_dual_and_b32 v181, 0x7fffff, v180
	s_delay_alu instid0(VALU_DEP_1) | instskip(SKIP_2) | instid1(VALU_DEP_4)
	v_or_b32_e32 v183, 0x800000, v181
	v_cmp_eq_u32_e32 vcc_lo, 0, v148
	v_add_nc_u32_e32 v148, 0xffffff91, v148
	v_cndmask_b32_e64 v182, v182, 0x6f, vcc_lo
	s_delay_alu instid0(VALU_DEP_4) | instskip(NEXT) | instid1(VALU_DEP_3)
	v_cndmask_b32_e32 v181, v183, v181, vcc_lo
	v_cndmask_b32_e64 v148, v148, 0xffffff92, vcc_lo
	s_delay_alu instid0(VALU_DEP_3) | instskip(NEXT) | instid1(VALU_DEP_3)
	v_lshl_add_u32 v183, 0x200000, v182, -1
	v_lshrrev_b32_e32 v40, v182, v181
	v_lshlrev_b32_e64 v42, v182, 0x100000
	s_delay_alu instid0(VALU_DEP_4) | instskip(NEXT) | instid1(VALU_DEP_4)
	v_add_nc_u32_e32 v182, v182, v148
	v_and_b32_e32 v181, v183, v181
	s_delay_alu instid0(VALU_DEP_4) | instskip(NEXT) | instid1(VALU_DEP_2)
	v_bfe_u32 v41, v40, 21, 1
	v_cmp_eq_u32_e64 s13, v181, v42
	s_delay_alu instid0(VALU_DEP_2) | instskip(NEXT) | instid1(VALU_DEP_1)
	v_add_nc_u32_e32 v183, -1, v41
	v_cndmask_b32_e64 v181, 0, v183, s13
	v_lshrrev_b32_e32 v183, 23, v40
	s_mov_b32 s13, exec_lo
	s_delay_alu instid0(VALU_DEP_2) | instskip(NEXT) | instid1(VALU_DEP_2)
	v_add_nc_u32_e32 v181, v181, v40
	v_xor_b32_e32 v183, 1, v183
	s_delay_alu instid0(VALU_DEP_2) | instskip(NEXT) | instid1(VALU_DEP_1)
	v_and_b32_e32 v148, 0x1fffff, v181
	v_add_nc_u32_e32 v181, v148, v40
                                        ; implicit-def: $vgpr148
	s_delay_alu instid0(VALU_DEP_3)
	v_cmpx_ne_u32_e64 v182, v183
	s_xor_b32 s13, exec_lo, s13
; %bb.4181:                             ;   in Loop: Header=BB4_3936 Depth=4
	s_delay_alu instid0(VALU_DEP_2) | instskip(SKIP_2) | instid1(VALU_DEP_2)
	v_cmp_lt_u32_e32 vcc_lo, 0xffffff, v181
	v_sub_nc_u32_e32 v148, v182, v183
	v_cndmask_b32_e64 v182, 0, 1, vcc_lo
	v_add_co_ci_u32_e32 v148, vcc_lo, 0, v148, vcc_lo
	s_delay_alu instid0(VALU_DEP_2)
	v_lshrrev_b32_e32 v181, v182, v181
; %bb.4182:                             ;   in Loop: Header=BB4_3936 Depth=4
	s_and_not1_saveexec_b32 s13, s13
; %bb.4183:                             ;   in Loop: Header=BB4_3936 Depth=4
	s_delay_alu instid0(VALU_DEP_1)
	v_bfe_u32 v148, v181, 23, 1
; %bb.4184:                             ;   in Loop: Header=BB4_3936 Depth=4
	s_or_b32 exec_lo, exec_lo, s13
	v_lshrrev_b32_e32 v181, 21, v181
	s_delay_alu instid0(VALU_DEP_2) | instskip(SKIP_2) | instid1(VALU_DEP_2)
	v_cmp_gt_i32_e32 vcc_lo, 32, v148
	v_lshrrev_b32_e32 v180, 24, v180
	v_min_i32_e32 v182, 31, v148
	v_dual_cndmask_b32 v181, 3, v181 :: v_dual_and_b32 v180, 0x80, v180
	s_delay_alu instid0(VALU_DEP_2) | instskip(NEXT) | instid1(VALU_DEP_2)
	v_lshlrev_b32_e32 v182, 2, v182
	v_or_b32_e32 v148, v148, v181
	s_delay_alu instid0(VALU_DEP_1) | instskip(SKIP_1) | instid1(VALU_DEP_1)
	v_cmp_ne_u32_e32 vcc_lo, 0, v148
	v_and_b32_e32 v183, 3, v181
	v_or3_b32 v180, v182, v180, v183
	s_delay_alu instid0(VALU_DEP_1)
	v_cndmask_b32_e32 v148, 0, v180, vcc_lo
.LBB4_4185:                             ;   in Loop: Header=BB4_3936 Depth=4
	s_or_b32 exec_lo, exec_lo, s35
.LBB4_4186:                             ;   in Loop: Header=BB4_3936 Depth=4
	s_delay_alu instid0(SALU_CYCLE_1) | instskip(SKIP_3) | instid1(VALU_DEP_1)
	s_or_b32 exec_lo, exec_lo, s34
	v_and_b32_e32 v181, 0xff, v161
	s_mov_b32 s13, 0
	s_mov_b32 s35, exec_lo
                                        ; implicit-def: $sgpr34
	v_cmpx_lt_i16_e64 0x7f, v181
	s_xor_b32 s35, exec_lo, s35
	s_cbranch_execnz .LBB4_4483
; %bb.4187:                             ;   in Loop: Header=BB4_3936 Depth=4
	s_or_saveexec_b32 s35, s35
	v_mov_b32_e32 v180, s34
	s_xor_b32 exec_lo, exec_lo, s35
	s_cbranch_execnz .LBB4_4486
.LBB4_4188:                             ;   in Loop: Header=BB4_3936 Depth=4
	s_or_b32 exec_lo, exec_lo, s35
	s_and_saveexec_b32 s34, s13
	s_cbranch_execz .LBB4_4190
.LBB4_4189:                             ;   in Loop: Header=BB4_3936 Depth=4
	v_and_b32_e32 v180, 3, v161
	v_lshrrev_b16 v183, 2, v161
	s_delay_alu instid0(VALU_DEP_2) | instskip(NEXT) | instid1(VALU_DEP_1)
	v_clz_i32_u32_e32 v181, v180
	v_min_u32_e32 v181, 32, v181
	s_delay_alu instid0(VALU_DEP_1) | instskip(SKIP_1) | instid1(VALU_DEP_2)
	v_subrev_nc_u32_e32 v182, 29, v181
	v_sub_nc_u32_e32 v181, 30, v181
	v_lshlrev_b32_e32 v182, v182, v161
	v_lshlrev_b32_e32 v161, 24, v161
	s_delay_alu instid0(VALU_DEP_2) | instskip(SKIP_1) | instid1(VALU_DEP_3)
	v_and_b32_e32 v182, 3, v182
	v_and_b32_e32 v183, 31, v183
	v_and_b32_e32 v161, 0x80000000, v161
	s_delay_alu instid0(VALU_DEP_2) | instskip(NEXT) | instid1(VALU_DEP_4)
	v_cmp_eq_u32_e32 vcc_lo, 0, v183
	v_dual_cndmask_b32 v180, v180, v182 :: v_dual_cndmask_b32 v181, v183, v181
	s_delay_alu instid0(VALU_DEP_1) | instskip(NEXT) | instid1(VALU_DEP_2)
	v_lshlrev_b32_e32 v180, 21, v180
	v_lshl_add_u32 v181, v181, 23, 0x37800000
	s_delay_alu instid0(VALU_DEP_1)
	v_or3_b32 v180, v161, v181, v180
.LBB4_4190:                             ;   in Loop: Header=BB4_3936 Depth=4
	s_or_b32 exec_lo, exec_lo, s34
	s_waitcnt vmcnt(12) lgkmcnt(12)
	v_and_b32_e32 v181, 0xff, v179
	s_mov_b32 s13, 0
	s_mov_b32 s35, exec_lo
                                        ; implicit-def: $sgpr34
	s_delay_alu instid0(VALU_DEP_1)
	v_cmpx_lt_i16_e64 0x7f, v181
	s_xor_b32 s35, exec_lo, s35
	s_cbranch_execnz .LBB4_4487
; %bb.4191:                             ;   in Loop: Header=BB4_3936 Depth=4
	s_or_saveexec_b32 s35, s35
	v_mov_b32_e32 v161, s34
	s_xor_b32 exec_lo, exec_lo, s35
	s_cbranch_execnz .LBB4_4490
.LBB4_4192:                             ;   in Loop: Header=BB4_3936 Depth=4
	s_or_b32 exec_lo, exec_lo, s35
	s_and_saveexec_b32 s34, s13
	s_cbranch_execz .LBB4_4194
.LBB4_4193:                             ;   in Loop: Header=BB4_3936 Depth=4
	v_and_b32_e32 v161, 3, v179
	v_lshrrev_b16 v183, 2, v179
	s_delay_alu instid0(VALU_DEP_2) | instskip(NEXT) | instid1(VALU_DEP_2)
	v_clz_i32_u32_e32 v181, v161
	v_and_b32_e32 v183, 31, v183
	s_delay_alu instid0(VALU_DEP_2) | instskip(NEXT) | instid1(VALU_DEP_2)
	v_min_u32_e32 v181, 32, v181
	v_cmp_eq_u32_e32 vcc_lo, 0, v183
	s_delay_alu instid0(VALU_DEP_2) | instskip(SKIP_1) | instid1(VALU_DEP_1)
	v_subrev_nc_u32_e32 v182, 29, v181
	v_sub_nc_u32_e32 v181, 30, v181
	v_dual_cndmask_b32 v181, v183, v181 :: v_dual_lshlrev_b32 v182, v182, v179
	v_lshlrev_b32_e32 v179, 24, v179
	s_delay_alu instid0(VALU_DEP_2) | instskip(NEXT) | instid1(VALU_DEP_3)
	v_and_b32_e32 v182, 3, v182
	v_lshl_add_u32 v181, v181, 23, 0x37800000
	s_delay_alu instid0(VALU_DEP_3) | instskip(NEXT) | instid1(VALU_DEP_3)
	v_and_b32_e32 v179, 0x80000000, v179
	v_cndmask_b32_e32 v161, v161, v182, vcc_lo
	s_delay_alu instid0(VALU_DEP_1) | instskip(NEXT) | instid1(VALU_DEP_1)
	v_lshlrev_b32_e32 v161, 21, v161
	v_or3_b32 v161, v179, v181, v161
.LBB4_4194:                             ;   in Loop: Header=BB4_3936 Depth=4
	s_or_b32 exec_lo, exec_lo, s34
	s_delay_alu instid0(VALU_DEP_1) | instskip(NEXT) | instid1(VALU_DEP_1)
	v_add_f32_e32 v179, v180, v161
	v_and_b32_e32 v161, 0x7f800000, v179
	s_delay_alu instid0(VALU_DEP_1)
	v_cmp_ne_u32_e32 vcc_lo, 0x7f800000, v161
	v_mov_b32_e32 v161, 0x80
	s_and_saveexec_b32 s34, vcc_lo
	s_cbranch_execz .LBB4_4202
; %bb.4195:                             ;   in Loop: Header=BB4_3936 Depth=4
	v_mov_b32_e32 v161, 0
	s_mov_b32 s35, exec_lo
	v_cmpx_ne_u32_e32 0, v179
	s_cbranch_execz .LBB4_4201
; %bb.4196:                             ;   in Loop: Header=BB4_3936 Depth=4
	v_bfe_u32 v161, v179, 23, 8
	s_delay_alu instid0(VALU_DEP_1) | instskip(SKIP_1) | instid1(VALU_DEP_2)
	v_sub_nc_u32_e32 v181, 0x70, v161
	v_cmp_gt_u32_e32 vcc_lo, 0x71, v161
	v_dual_cndmask_b32 v181, 0, v181 :: v_dual_and_b32 v180, 0x7fffff, v179
	s_delay_alu instid0(VALU_DEP_1) | instskip(SKIP_2) | instid1(VALU_DEP_4)
	v_or_b32_e32 v182, 0x800000, v180
	v_cmp_eq_u32_e32 vcc_lo, 0, v161
	v_add_nc_u32_e32 v161, 0xffffff91, v161
	v_cndmask_b32_e64 v181, v181, 0x6f, vcc_lo
	s_delay_alu instid0(VALU_DEP_4) | instskip(NEXT) | instid1(VALU_DEP_3)
	v_cndmask_b32_e32 v180, v182, v180, vcc_lo
	v_cndmask_b32_e64 v161, v161, 0xffffff92, vcc_lo
	s_delay_alu instid0(VALU_DEP_3) | instskip(NEXT) | instid1(VALU_DEP_3)
	v_lshl_add_u32 v182, 0x200000, v181, -1
	v_lshrrev_b32_e32 v183, v181, v180
	v_lshlrev_b32_e64 v41, v181, 0x100000
	s_delay_alu instid0(VALU_DEP_4) | instskip(NEXT) | instid1(VALU_DEP_4)
	v_add_nc_u32_e32 v181, v181, v161
	v_and_b32_e32 v180, v182, v180
	s_delay_alu instid0(VALU_DEP_4) | instskip(NEXT) | instid1(VALU_DEP_2)
	v_bfe_u32 v40, v183, 21, 1
	v_cmp_eq_u32_e64 s13, v180, v41
	s_delay_alu instid0(VALU_DEP_2) | instskip(NEXT) | instid1(VALU_DEP_1)
	v_add_nc_u32_e32 v182, -1, v40
	v_cndmask_b32_e64 v180, 0, v182, s13
	v_lshrrev_b32_e32 v182, 23, v183
	s_mov_b32 s13, exec_lo
	s_delay_alu instid0(VALU_DEP_2) | instskip(NEXT) | instid1(VALU_DEP_2)
	v_add_nc_u32_e32 v180, v180, v183
	v_xor_b32_e32 v182, 1, v182
	s_delay_alu instid0(VALU_DEP_2) | instskip(NEXT) | instid1(VALU_DEP_1)
	v_and_b32_e32 v161, 0x1fffff, v180
	v_add_nc_u32_e32 v180, v161, v183
                                        ; implicit-def: $vgpr161
	s_delay_alu instid0(VALU_DEP_3)
	v_cmpx_ne_u32_e64 v181, v182
	s_xor_b32 s13, exec_lo, s13
; %bb.4197:                             ;   in Loop: Header=BB4_3936 Depth=4
	s_delay_alu instid0(VALU_DEP_2) | instskip(SKIP_2) | instid1(VALU_DEP_2)
	v_cmp_lt_u32_e32 vcc_lo, 0xffffff, v180
	v_sub_nc_u32_e32 v161, v181, v182
	v_cndmask_b32_e64 v181, 0, 1, vcc_lo
	v_add_co_ci_u32_e32 v161, vcc_lo, 0, v161, vcc_lo
	s_delay_alu instid0(VALU_DEP_2)
	v_lshrrev_b32_e32 v180, v181, v180
; %bb.4198:                             ;   in Loop: Header=BB4_3936 Depth=4
	s_and_not1_saveexec_b32 s13, s13
; %bb.4199:                             ;   in Loop: Header=BB4_3936 Depth=4
	s_delay_alu instid0(VALU_DEP_1)
	v_bfe_u32 v161, v180, 23, 1
; %bb.4200:                             ;   in Loop: Header=BB4_3936 Depth=4
	s_or_b32 exec_lo, exec_lo, s13
	v_lshrrev_b32_e32 v180, 21, v180
	s_delay_alu instid0(VALU_DEP_2) | instskip(SKIP_2) | instid1(VALU_DEP_2)
	v_cmp_gt_i32_e32 vcc_lo, 32, v161
	v_lshrrev_b32_e32 v179, 24, v179
	v_min_i32_e32 v181, 31, v161
	v_dual_cndmask_b32 v180, 3, v180 :: v_dual_and_b32 v179, 0x80, v179
	s_delay_alu instid0(VALU_DEP_2) | instskip(NEXT) | instid1(VALU_DEP_2)
	v_lshlrev_b32_e32 v181, 2, v181
	v_or_b32_e32 v161, v161, v180
	s_delay_alu instid0(VALU_DEP_1) | instskip(SKIP_1) | instid1(VALU_DEP_1)
	v_cmp_ne_u32_e32 vcc_lo, 0, v161
	v_and_b32_e32 v182, 3, v180
	v_or3_b32 v179, v181, v179, v182
	s_delay_alu instid0(VALU_DEP_1)
	v_cndmask_b32_e32 v161, 0, v179, vcc_lo
.LBB4_4201:                             ;   in Loop: Header=BB4_3936 Depth=4
	s_or_b32 exec_lo, exec_lo, s35
.LBB4_4202:                             ;   in Loop: Header=BB4_3936 Depth=4
	s_delay_alu instid0(SALU_CYCLE_1) | instskip(SKIP_3) | instid1(VALU_DEP_1)
	s_or_b32 exec_lo, exec_lo, s34
	v_and_b32_e32 v180, 0xff, v162
	s_mov_b32 s13, 0
	s_mov_b32 s35, exec_lo
                                        ; implicit-def: $sgpr34
	v_cmpx_lt_i16_e64 0x7f, v180
	s_xor_b32 s35, exec_lo, s35
	s_cbranch_execnz .LBB4_4491
; %bb.4203:                             ;   in Loop: Header=BB4_3936 Depth=4
	s_or_saveexec_b32 s35, s35
	v_mov_b32_e32 v179, s34
	s_xor_b32 exec_lo, exec_lo, s35
	s_cbranch_execnz .LBB4_4494
.LBB4_4204:                             ;   in Loop: Header=BB4_3936 Depth=4
	s_or_b32 exec_lo, exec_lo, s35
	s_and_saveexec_b32 s34, s13
	s_cbranch_execz .LBB4_4206
.LBB4_4205:                             ;   in Loop: Header=BB4_3936 Depth=4
	v_lshrrev_b16 v182, 2, v162
	s_delay_alu instid0(VALU_DEP_1) | instskip(NEXT) | instid1(VALU_DEP_1)
	v_and_b32_e32 v182, 31, v182
	v_cmp_eq_u32_e32 vcc_lo, 0, v182
	v_and_b32_e32 v179, 3, v162
	s_delay_alu instid0(VALU_DEP_1) | instskip(NEXT) | instid1(VALU_DEP_1)
	v_clz_i32_u32_e32 v180, v179
	v_min_u32_e32 v180, 32, v180
	s_delay_alu instid0(VALU_DEP_1) | instskip(SKIP_1) | instid1(VALU_DEP_1)
	v_subrev_nc_u32_e32 v181, 29, v180
	v_sub_nc_u32_e32 v180, 30, v180
	v_dual_cndmask_b32 v180, v182, v180 :: v_dual_lshlrev_b32 v181, v181, v162
	v_lshlrev_b32_e32 v162, 24, v162
	s_delay_alu instid0(VALU_DEP_2) | instskip(NEXT) | instid1(VALU_DEP_3)
	v_and_b32_e32 v181, 3, v181
	v_lshl_add_u32 v180, v180, 23, 0x37800000
	s_delay_alu instid0(VALU_DEP_2) | instskip(NEXT) | instid1(VALU_DEP_1)
	v_dual_cndmask_b32 v179, v179, v181 :: v_dual_and_b32 v162, 0x80000000, v162
	v_lshlrev_b32_e32 v179, 21, v179
	s_delay_alu instid0(VALU_DEP_1)
	v_or3_b32 v179, v162, v180, v179
.LBB4_4206:                             ;   in Loop: Header=BB4_3936 Depth=4
	s_or_b32 exec_lo, exec_lo, s34
	s_waitcnt vmcnt(11) lgkmcnt(11)
	v_and_b32_e32 v180, 0xff, v178
	s_mov_b32 s13, 0
	s_mov_b32 s35, exec_lo
                                        ; implicit-def: $sgpr34
	s_delay_alu instid0(VALU_DEP_1)
	v_cmpx_lt_i16_e64 0x7f, v180
	s_xor_b32 s35, exec_lo, s35
	s_cbranch_execnz .LBB4_4495
; %bb.4207:                             ;   in Loop: Header=BB4_3936 Depth=4
	s_or_saveexec_b32 s35, s35
	v_mov_b32_e32 v162, s34
	s_xor_b32 exec_lo, exec_lo, s35
	s_cbranch_execnz .LBB4_4498
.LBB4_4208:                             ;   in Loop: Header=BB4_3936 Depth=4
	s_or_b32 exec_lo, exec_lo, s35
	s_and_saveexec_b32 s34, s13
	s_cbranch_execz .LBB4_4210
.LBB4_4209:                             ;   in Loop: Header=BB4_3936 Depth=4
	v_and_b32_e32 v162, 3, v178
	v_lshrrev_b16 v182, 2, v178
	s_delay_alu instid0(VALU_DEP_2) | instskip(NEXT) | instid1(VALU_DEP_2)
	v_clz_i32_u32_e32 v180, v162
	v_and_b32_e32 v182, 31, v182
	s_delay_alu instid0(VALU_DEP_2) | instskip(NEXT) | instid1(VALU_DEP_2)
	v_min_u32_e32 v180, 32, v180
	v_cmp_eq_u32_e32 vcc_lo, 0, v182
	s_delay_alu instid0(VALU_DEP_2) | instskip(SKIP_1) | instid1(VALU_DEP_1)
	v_subrev_nc_u32_e32 v181, 29, v180
	v_sub_nc_u32_e32 v180, 30, v180
	v_dual_cndmask_b32 v180, v182, v180 :: v_dual_lshlrev_b32 v181, v181, v178
	v_lshlrev_b32_e32 v178, 24, v178
	s_delay_alu instid0(VALU_DEP_2) | instskip(NEXT) | instid1(VALU_DEP_3)
	v_and_b32_e32 v181, 3, v181
	v_lshl_add_u32 v180, v180, 23, 0x37800000
	s_delay_alu instid0(VALU_DEP_3) | instskip(NEXT) | instid1(VALU_DEP_3)
	v_and_b32_e32 v178, 0x80000000, v178
	v_cndmask_b32_e32 v162, v162, v181, vcc_lo
	s_delay_alu instid0(VALU_DEP_1) | instskip(NEXT) | instid1(VALU_DEP_1)
	v_lshlrev_b32_e32 v162, 21, v162
	v_or3_b32 v162, v178, v180, v162
.LBB4_4210:                             ;   in Loop: Header=BB4_3936 Depth=4
	s_or_b32 exec_lo, exec_lo, s34
	s_delay_alu instid0(VALU_DEP_1) | instskip(NEXT) | instid1(VALU_DEP_1)
	v_add_f32_e32 v178, v179, v162
	v_and_b32_e32 v162, 0x7f800000, v178
	s_delay_alu instid0(VALU_DEP_1)
	v_cmp_ne_u32_e32 vcc_lo, 0x7f800000, v162
	v_mov_b32_e32 v162, 0x80
	s_and_saveexec_b32 s34, vcc_lo
	s_cbranch_execz .LBB4_4218
; %bb.4211:                             ;   in Loop: Header=BB4_3936 Depth=4
	v_mov_b32_e32 v162, 0
	s_mov_b32 s35, exec_lo
	v_cmpx_ne_u32_e32 0, v178
	s_cbranch_execz .LBB4_4217
; %bb.4212:                             ;   in Loop: Header=BB4_3936 Depth=4
	v_bfe_u32 v162, v178, 23, 8
	s_delay_alu instid0(VALU_DEP_1) | instskip(SKIP_1) | instid1(VALU_DEP_2)
	v_sub_nc_u32_e32 v180, 0x70, v162
	v_cmp_gt_u32_e32 vcc_lo, 0x71, v162
	v_dual_cndmask_b32 v180, 0, v180 :: v_dual_and_b32 v179, 0x7fffff, v178
	s_delay_alu instid0(VALU_DEP_1) | instskip(SKIP_2) | instid1(VALU_DEP_4)
	v_or_b32_e32 v181, 0x800000, v179
	v_cmp_eq_u32_e32 vcc_lo, 0, v162
	v_add_nc_u32_e32 v162, 0xffffff91, v162
	v_cndmask_b32_e64 v180, v180, 0x6f, vcc_lo
	s_delay_alu instid0(VALU_DEP_4) | instskip(NEXT) | instid1(VALU_DEP_3)
	v_cndmask_b32_e32 v179, v181, v179, vcc_lo
	v_cndmask_b32_e64 v162, v162, 0xffffff92, vcc_lo
	s_delay_alu instid0(VALU_DEP_3) | instskip(NEXT) | instid1(VALU_DEP_3)
	v_lshl_add_u32 v181, 0x200000, v180, -1
	v_lshrrev_b32_e32 v182, v180, v179
	v_lshlrev_b32_e64 v40, v180, 0x100000
	s_delay_alu instid0(VALU_DEP_4) | instskip(NEXT) | instid1(VALU_DEP_4)
	v_add_nc_u32_e32 v180, v180, v162
	v_and_b32_e32 v179, v181, v179
	s_delay_alu instid0(VALU_DEP_4) | instskip(NEXT) | instid1(VALU_DEP_2)
	v_bfe_u32 v183, v182, 21, 1
	v_cmp_eq_u32_e64 s13, v179, v40
	s_delay_alu instid0(VALU_DEP_2) | instskip(NEXT) | instid1(VALU_DEP_1)
	v_add_nc_u32_e32 v181, -1, v183
	v_cndmask_b32_e64 v179, 0, v181, s13
	v_lshrrev_b32_e32 v181, 23, v182
	s_mov_b32 s13, exec_lo
	s_delay_alu instid0(VALU_DEP_2) | instskip(NEXT) | instid1(VALU_DEP_2)
	v_add_nc_u32_e32 v179, v179, v182
	v_xor_b32_e32 v181, 1, v181
	s_delay_alu instid0(VALU_DEP_2) | instskip(NEXT) | instid1(VALU_DEP_1)
	v_and_b32_e32 v162, 0x1fffff, v179
	v_add_nc_u32_e32 v179, v162, v182
                                        ; implicit-def: $vgpr162
	s_delay_alu instid0(VALU_DEP_3)
	v_cmpx_ne_u32_e64 v180, v181
	s_xor_b32 s13, exec_lo, s13
; %bb.4213:                             ;   in Loop: Header=BB4_3936 Depth=4
	s_delay_alu instid0(VALU_DEP_2) | instskip(SKIP_2) | instid1(VALU_DEP_2)
	v_cmp_lt_u32_e32 vcc_lo, 0xffffff, v179
	v_sub_nc_u32_e32 v162, v180, v181
	v_cndmask_b32_e64 v180, 0, 1, vcc_lo
	v_add_co_ci_u32_e32 v162, vcc_lo, 0, v162, vcc_lo
	s_delay_alu instid0(VALU_DEP_2)
	v_lshrrev_b32_e32 v179, v180, v179
; %bb.4214:                             ;   in Loop: Header=BB4_3936 Depth=4
	s_and_not1_saveexec_b32 s13, s13
; %bb.4215:                             ;   in Loop: Header=BB4_3936 Depth=4
	s_delay_alu instid0(VALU_DEP_1)
	v_bfe_u32 v162, v179, 23, 1
; %bb.4216:                             ;   in Loop: Header=BB4_3936 Depth=4
	s_or_b32 exec_lo, exec_lo, s13
	v_lshrrev_b32_e32 v179, 21, v179
	s_delay_alu instid0(VALU_DEP_2) | instskip(SKIP_2) | instid1(VALU_DEP_2)
	v_cmp_gt_i32_e32 vcc_lo, 32, v162
	v_lshrrev_b32_e32 v178, 24, v178
	v_min_i32_e32 v180, 31, v162
	v_dual_cndmask_b32 v179, 3, v179 :: v_dual_and_b32 v178, 0x80, v178
	s_delay_alu instid0(VALU_DEP_2) | instskip(NEXT) | instid1(VALU_DEP_2)
	v_lshlrev_b32_e32 v180, 2, v180
	v_or_b32_e32 v162, v162, v179
	s_delay_alu instid0(VALU_DEP_1) | instskip(SKIP_1) | instid1(VALU_DEP_1)
	v_cmp_ne_u32_e32 vcc_lo, 0, v162
	v_and_b32_e32 v181, 3, v179
	v_or3_b32 v178, v180, v178, v181
	s_delay_alu instid0(VALU_DEP_1)
	v_cndmask_b32_e32 v162, 0, v178, vcc_lo
.LBB4_4217:                             ;   in Loop: Header=BB4_3936 Depth=4
	s_or_b32 exec_lo, exec_lo, s35
.LBB4_4218:                             ;   in Loop: Header=BB4_3936 Depth=4
	s_delay_alu instid0(SALU_CYCLE_1) | instskip(SKIP_3) | instid1(VALU_DEP_1)
	s_or_b32 exec_lo, exec_lo, s34
	v_and_b32_e32 v179, 0xff, v160
	s_mov_b32 s13, 0
	s_mov_b32 s35, exec_lo
                                        ; implicit-def: $sgpr34
	v_cmpx_lt_i16_e64 0x7f, v179
	s_xor_b32 s35, exec_lo, s35
	s_cbranch_execnz .LBB4_4499
; %bb.4219:                             ;   in Loop: Header=BB4_3936 Depth=4
	s_or_saveexec_b32 s35, s35
	v_mov_b32_e32 v178, s34
	s_xor_b32 exec_lo, exec_lo, s35
	s_cbranch_execnz .LBB4_4502
.LBB4_4220:                             ;   in Loop: Header=BB4_3936 Depth=4
	s_or_b32 exec_lo, exec_lo, s35
	s_and_saveexec_b32 s34, s13
	s_cbranch_execz .LBB4_4222
.LBB4_4221:                             ;   in Loop: Header=BB4_3936 Depth=4
	v_lshrrev_b16 v181, 2, v160
	s_delay_alu instid0(VALU_DEP_1) | instskip(NEXT) | instid1(VALU_DEP_1)
	v_and_b32_e32 v181, 31, v181
	v_cmp_eq_u32_e32 vcc_lo, 0, v181
	v_and_b32_e32 v178, 3, v160
	s_delay_alu instid0(VALU_DEP_1) | instskip(NEXT) | instid1(VALU_DEP_1)
	v_clz_i32_u32_e32 v179, v178
	v_min_u32_e32 v179, 32, v179
	s_delay_alu instid0(VALU_DEP_1) | instskip(SKIP_1) | instid1(VALU_DEP_1)
	v_subrev_nc_u32_e32 v180, 29, v179
	v_sub_nc_u32_e32 v179, 30, v179
	v_dual_cndmask_b32 v179, v181, v179 :: v_dual_lshlrev_b32 v180, v180, v160
	v_lshlrev_b32_e32 v160, 24, v160
	s_delay_alu instid0(VALU_DEP_2) | instskip(NEXT) | instid1(VALU_DEP_3)
	v_and_b32_e32 v180, 3, v180
	v_lshl_add_u32 v179, v179, 23, 0x37800000
	s_delay_alu instid0(VALU_DEP_3) | instskip(NEXT) | instid1(VALU_DEP_3)
	v_and_b32_e32 v160, 0x80000000, v160
	v_cndmask_b32_e32 v178, v178, v180, vcc_lo
	s_delay_alu instid0(VALU_DEP_1) | instskip(NEXT) | instid1(VALU_DEP_1)
	v_lshlrev_b32_e32 v178, 21, v178
	v_or3_b32 v178, v160, v179, v178
.LBB4_4222:                             ;   in Loop: Header=BB4_3936 Depth=4
	s_or_b32 exec_lo, exec_lo, s34
	s_waitcnt vmcnt(10) lgkmcnt(10)
	v_and_b32_e32 v179, 0xff, v177
	s_mov_b32 s13, 0
	s_mov_b32 s35, exec_lo
                                        ; implicit-def: $sgpr34
	s_delay_alu instid0(VALU_DEP_1)
	v_cmpx_lt_i16_e64 0x7f, v179
	s_xor_b32 s35, exec_lo, s35
	s_cbranch_execnz .LBB4_4503
; %bb.4223:                             ;   in Loop: Header=BB4_3936 Depth=4
	s_or_saveexec_b32 s35, s35
	v_mov_b32_e32 v160, s34
	s_xor_b32 exec_lo, exec_lo, s35
	s_cbranch_execnz .LBB4_4506
.LBB4_4224:                             ;   in Loop: Header=BB4_3936 Depth=4
	s_or_b32 exec_lo, exec_lo, s35
	s_and_saveexec_b32 s34, s13
	s_cbranch_execz .LBB4_4226
.LBB4_4225:                             ;   in Loop: Header=BB4_3936 Depth=4
	v_lshrrev_b16 v181, 2, v177
	s_delay_alu instid0(VALU_DEP_1) | instskip(NEXT) | instid1(VALU_DEP_1)
	v_and_b32_e32 v181, 31, v181
	v_cmp_eq_u32_e32 vcc_lo, 0, v181
	v_and_b32_e32 v160, 3, v177
	s_delay_alu instid0(VALU_DEP_1) | instskip(NEXT) | instid1(VALU_DEP_1)
	v_clz_i32_u32_e32 v179, v160
	v_min_u32_e32 v179, 32, v179
	s_delay_alu instid0(VALU_DEP_1) | instskip(SKIP_1) | instid1(VALU_DEP_1)
	v_subrev_nc_u32_e32 v180, 29, v179
	v_sub_nc_u32_e32 v179, 30, v179
	v_dual_cndmask_b32 v179, v181, v179 :: v_dual_lshlrev_b32 v180, v180, v177
	v_lshlrev_b32_e32 v177, 24, v177
	s_delay_alu instid0(VALU_DEP_2) | instskip(NEXT) | instid1(VALU_DEP_3)
	v_and_b32_e32 v180, 3, v180
	v_lshl_add_u32 v179, v179, 23, 0x37800000
	s_delay_alu instid0(VALU_DEP_2) | instskip(NEXT) | instid1(VALU_DEP_1)
	v_dual_cndmask_b32 v160, v160, v180 :: v_dual_and_b32 v177, 0x80000000, v177
	v_lshlrev_b32_e32 v160, 21, v160
	s_delay_alu instid0(VALU_DEP_1)
	v_or3_b32 v160, v177, v179, v160
.LBB4_4226:                             ;   in Loop: Header=BB4_3936 Depth=4
	s_or_b32 exec_lo, exec_lo, s34
	s_delay_alu instid0(VALU_DEP_1) | instskip(NEXT) | instid1(VALU_DEP_1)
	v_add_f32_e32 v177, v178, v160
	v_and_b32_e32 v160, 0x7f800000, v177
	s_delay_alu instid0(VALU_DEP_1)
	v_cmp_ne_u32_e32 vcc_lo, 0x7f800000, v160
	v_mov_b32_e32 v160, 0x80
	s_and_saveexec_b32 s34, vcc_lo
	s_cbranch_execz .LBB4_4234
; %bb.4227:                             ;   in Loop: Header=BB4_3936 Depth=4
	v_mov_b32_e32 v160, 0
	s_mov_b32 s35, exec_lo
	v_cmpx_ne_u32_e32 0, v177
	s_cbranch_execz .LBB4_4233
; %bb.4228:                             ;   in Loop: Header=BB4_3936 Depth=4
	v_bfe_u32 v160, v177, 23, 8
	s_delay_alu instid0(VALU_DEP_1) | instskip(SKIP_1) | instid1(VALU_DEP_2)
	v_sub_nc_u32_e32 v179, 0x70, v160
	v_cmp_gt_u32_e32 vcc_lo, 0x71, v160
	v_dual_cndmask_b32 v179, 0, v179 :: v_dual_and_b32 v178, 0x7fffff, v177
	s_delay_alu instid0(VALU_DEP_1) | instskip(SKIP_2) | instid1(VALU_DEP_4)
	v_or_b32_e32 v180, 0x800000, v178
	v_cmp_eq_u32_e32 vcc_lo, 0, v160
	v_add_nc_u32_e32 v160, 0xffffff91, v160
	v_cndmask_b32_e64 v179, v179, 0x6f, vcc_lo
	s_delay_alu instid0(VALU_DEP_2) | instskip(SKIP_1) | instid1(VALU_DEP_3)
	v_cndmask_b32_e64 v160, v160, 0xffffff92, vcc_lo
	v_cndmask_b32_e32 v178, v180, v178, vcc_lo
	v_lshl_add_u32 v180, 0x200000, v179, -1
	v_lshlrev_b32_e64 v183, v179, 0x100000
	s_delay_alu instid0(VALU_DEP_3) | instskip(SKIP_1) | instid1(VALU_DEP_4)
	v_lshrrev_b32_e32 v181, v179, v178
	v_add_nc_u32_e32 v179, v179, v160
	v_and_b32_e32 v178, v180, v178
	s_delay_alu instid0(VALU_DEP_3) | instskip(NEXT) | instid1(VALU_DEP_2)
	v_bfe_u32 v182, v181, 21, 1
	v_cmp_eq_u32_e64 s13, v178, v183
	s_delay_alu instid0(VALU_DEP_2) | instskip(NEXT) | instid1(VALU_DEP_1)
	v_add_nc_u32_e32 v180, -1, v182
	v_cndmask_b32_e64 v178, 0, v180, s13
	v_lshrrev_b32_e32 v180, 23, v181
	s_mov_b32 s13, exec_lo
	s_delay_alu instid0(VALU_DEP_2) | instskip(NEXT) | instid1(VALU_DEP_2)
	v_add_nc_u32_e32 v178, v178, v181
	v_xor_b32_e32 v180, 1, v180
	s_delay_alu instid0(VALU_DEP_2) | instskip(NEXT) | instid1(VALU_DEP_1)
	v_and_b32_e32 v160, 0x1fffff, v178
	v_add_nc_u32_e32 v178, v160, v181
                                        ; implicit-def: $vgpr160
	s_delay_alu instid0(VALU_DEP_3)
	v_cmpx_ne_u32_e64 v179, v180
	s_xor_b32 s13, exec_lo, s13
; %bb.4229:                             ;   in Loop: Header=BB4_3936 Depth=4
	s_delay_alu instid0(VALU_DEP_2) | instskip(SKIP_2) | instid1(VALU_DEP_2)
	v_cmp_lt_u32_e32 vcc_lo, 0xffffff, v178
	v_sub_nc_u32_e32 v160, v179, v180
	v_cndmask_b32_e64 v179, 0, 1, vcc_lo
	v_add_co_ci_u32_e32 v160, vcc_lo, 0, v160, vcc_lo
	s_delay_alu instid0(VALU_DEP_2)
	v_lshrrev_b32_e32 v178, v179, v178
; %bb.4230:                             ;   in Loop: Header=BB4_3936 Depth=4
	s_and_not1_saveexec_b32 s13, s13
; %bb.4231:                             ;   in Loop: Header=BB4_3936 Depth=4
	s_delay_alu instid0(VALU_DEP_1)
	v_bfe_u32 v160, v178, 23, 1
; %bb.4232:                             ;   in Loop: Header=BB4_3936 Depth=4
	s_or_b32 exec_lo, exec_lo, s13
	v_lshrrev_b32_e32 v178, 21, v178
	s_delay_alu instid0(VALU_DEP_2) | instskip(SKIP_2) | instid1(VALU_DEP_2)
	v_cmp_gt_i32_e32 vcc_lo, 32, v160
	v_lshrrev_b32_e32 v177, 24, v177
	v_min_i32_e32 v179, 31, v160
	v_dual_cndmask_b32 v178, 3, v178 :: v_dual_and_b32 v177, 0x80, v177
	s_delay_alu instid0(VALU_DEP_1) | instskip(SKIP_1) | instid1(VALU_DEP_2)
	v_or_b32_e32 v160, v160, v178
	v_and_b32_e32 v180, 3, v178
	v_cmp_ne_u32_e32 vcc_lo, 0, v160
	v_lshlrev_b32_e32 v179, 2, v179
	s_delay_alu instid0(VALU_DEP_1) | instskip(NEXT) | instid1(VALU_DEP_1)
	v_or3_b32 v177, v179, v177, v180
	v_cndmask_b32_e32 v160, 0, v177, vcc_lo
.LBB4_4233:                             ;   in Loop: Header=BB4_3936 Depth=4
	s_or_b32 exec_lo, exec_lo, s35
.LBB4_4234:                             ;   in Loop: Header=BB4_3936 Depth=4
	s_delay_alu instid0(SALU_CYCLE_1) | instskip(SKIP_3) | instid1(VALU_DEP_1)
	s_or_b32 exec_lo, exec_lo, s34
	v_and_b32_e32 v178, 0xff, v151
	s_mov_b32 s13, 0
	s_mov_b32 s35, exec_lo
                                        ; implicit-def: $sgpr34
	v_cmpx_lt_i16_e64 0x7f, v178
	s_xor_b32 s35, exec_lo, s35
	s_cbranch_execnz .LBB4_4507
; %bb.4235:                             ;   in Loop: Header=BB4_3936 Depth=4
	s_or_saveexec_b32 s35, s35
	v_mov_b32_e32 v177, s34
	s_xor_b32 exec_lo, exec_lo, s35
	s_cbranch_execnz .LBB4_4510
.LBB4_4236:                             ;   in Loop: Header=BB4_3936 Depth=4
	s_or_b32 exec_lo, exec_lo, s35
	s_and_saveexec_b32 s34, s13
	s_cbranch_execz .LBB4_4238
.LBB4_4237:                             ;   in Loop: Header=BB4_3936 Depth=4
	v_lshrrev_b16 v180, 2, v151
	s_delay_alu instid0(VALU_DEP_1) | instskip(NEXT) | instid1(VALU_DEP_1)
	v_and_b32_e32 v180, 31, v180
	v_cmp_eq_u32_e32 vcc_lo, 0, v180
	v_and_b32_e32 v177, 3, v151
	s_delay_alu instid0(VALU_DEP_1) | instskip(NEXT) | instid1(VALU_DEP_1)
	v_clz_i32_u32_e32 v178, v177
	v_min_u32_e32 v178, 32, v178
	s_delay_alu instid0(VALU_DEP_1) | instskip(SKIP_1) | instid1(VALU_DEP_1)
	v_subrev_nc_u32_e32 v179, 29, v178
	v_sub_nc_u32_e32 v178, 30, v178
	v_dual_cndmask_b32 v178, v180, v178 :: v_dual_lshlrev_b32 v179, v179, v151
	v_lshlrev_b32_e32 v151, 24, v151
	s_delay_alu instid0(VALU_DEP_2) | instskip(NEXT) | instid1(VALU_DEP_3)
	v_and_b32_e32 v179, 3, v179
	v_lshl_add_u32 v178, v178, 23, 0x37800000
	s_delay_alu instid0(VALU_DEP_3) | instskip(NEXT) | instid1(VALU_DEP_3)
	v_and_b32_e32 v151, 0x80000000, v151
	v_cndmask_b32_e32 v177, v177, v179, vcc_lo
	s_delay_alu instid0(VALU_DEP_1) | instskip(NEXT) | instid1(VALU_DEP_1)
	v_lshlrev_b32_e32 v177, 21, v177
	v_or3_b32 v177, v151, v178, v177
.LBB4_4238:                             ;   in Loop: Header=BB4_3936 Depth=4
	s_or_b32 exec_lo, exec_lo, s34
	s_waitcnt vmcnt(9) lgkmcnt(9)
	v_and_b32_e32 v178, 0xff, v176
	s_mov_b32 s13, 0
	s_mov_b32 s35, exec_lo
                                        ; implicit-def: $sgpr34
	s_delay_alu instid0(VALU_DEP_1)
	v_cmpx_lt_i16_e64 0x7f, v178
	s_xor_b32 s35, exec_lo, s35
	s_cbranch_execnz .LBB4_4511
; %bb.4239:                             ;   in Loop: Header=BB4_3936 Depth=4
	s_or_saveexec_b32 s35, s35
	v_mov_b32_e32 v151, s34
	s_xor_b32 exec_lo, exec_lo, s35
	s_cbranch_execnz .LBB4_4514
.LBB4_4240:                             ;   in Loop: Header=BB4_3936 Depth=4
	s_or_b32 exec_lo, exec_lo, s35
	s_and_saveexec_b32 s34, s13
	s_cbranch_execz .LBB4_4242
.LBB4_4241:                             ;   in Loop: Header=BB4_3936 Depth=4
	v_lshrrev_b16 v180, 2, v176
	s_delay_alu instid0(VALU_DEP_1) | instskip(NEXT) | instid1(VALU_DEP_1)
	v_and_b32_e32 v180, 31, v180
	v_cmp_eq_u32_e32 vcc_lo, 0, v180
	v_and_b32_e32 v151, 3, v176
	s_delay_alu instid0(VALU_DEP_1) | instskip(NEXT) | instid1(VALU_DEP_1)
	v_clz_i32_u32_e32 v178, v151
	v_min_u32_e32 v178, 32, v178
	s_delay_alu instid0(VALU_DEP_1) | instskip(SKIP_1) | instid1(VALU_DEP_1)
	v_subrev_nc_u32_e32 v179, 29, v178
	v_sub_nc_u32_e32 v178, 30, v178
	v_dual_cndmask_b32 v178, v180, v178 :: v_dual_lshlrev_b32 v179, v179, v176
	v_lshlrev_b32_e32 v176, 24, v176
	s_delay_alu instid0(VALU_DEP_2) | instskip(NEXT) | instid1(VALU_DEP_3)
	v_and_b32_e32 v179, 3, v179
	v_lshl_add_u32 v178, v178, 23, 0x37800000
	s_delay_alu instid0(VALU_DEP_2) | instskip(NEXT) | instid1(VALU_DEP_1)
	v_dual_cndmask_b32 v151, v151, v179 :: v_dual_and_b32 v176, 0x80000000, v176
	v_lshlrev_b32_e32 v151, 21, v151
	s_delay_alu instid0(VALU_DEP_1)
	v_or3_b32 v151, v176, v178, v151
.LBB4_4242:                             ;   in Loop: Header=BB4_3936 Depth=4
	s_or_b32 exec_lo, exec_lo, s34
	s_delay_alu instid0(VALU_DEP_1) | instskip(NEXT) | instid1(VALU_DEP_1)
	v_add_f32_e32 v176, v177, v151
	v_and_b32_e32 v151, 0x7f800000, v176
	s_delay_alu instid0(VALU_DEP_1)
	v_cmp_ne_u32_e32 vcc_lo, 0x7f800000, v151
	v_mov_b32_e32 v151, 0x80
	s_and_saveexec_b32 s34, vcc_lo
	s_cbranch_execz .LBB4_4250
; %bb.4243:                             ;   in Loop: Header=BB4_3936 Depth=4
	v_mov_b32_e32 v151, 0
	s_mov_b32 s35, exec_lo
	v_cmpx_ne_u32_e32 0, v176
	s_cbranch_execz .LBB4_4249
; %bb.4244:                             ;   in Loop: Header=BB4_3936 Depth=4
	v_bfe_u32 v151, v176, 23, 8
	s_delay_alu instid0(VALU_DEP_1) | instskip(SKIP_1) | instid1(VALU_DEP_2)
	v_sub_nc_u32_e32 v178, 0x70, v151
	v_cmp_gt_u32_e32 vcc_lo, 0x71, v151
	v_dual_cndmask_b32 v178, 0, v178 :: v_dual_and_b32 v177, 0x7fffff, v176
	s_delay_alu instid0(VALU_DEP_1) | instskip(SKIP_2) | instid1(VALU_DEP_4)
	v_or_b32_e32 v179, 0x800000, v177
	v_cmp_eq_u32_e32 vcc_lo, 0, v151
	v_add_nc_u32_e32 v151, 0xffffff91, v151
	v_cndmask_b32_e64 v178, v178, 0x6f, vcc_lo
	s_delay_alu instid0(VALU_DEP_2) | instskip(SKIP_1) | instid1(VALU_DEP_3)
	v_cndmask_b32_e64 v151, v151, 0xffffff92, vcc_lo
	v_cndmask_b32_e32 v177, v179, v177, vcc_lo
	v_lshl_add_u32 v179, 0x200000, v178, -1
	v_lshlrev_b32_e64 v182, v178, 0x100000
	s_delay_alu instid0(VALU_DEP_3) | instskip(SKIP_1) | instid1(VALU_DEP_4)
	v_lshrrev_b32_e32 v180, v178, v177
	v_add_nc_u32_e32 v178, v178, v151
	v_and_b32_e32 v177, v179, v177
	s_delay_alu instid0(VALU_DEP_3) | instskip(NEXT) | instid1(VALU_DEP_2)
	v_bfe_u32 v181, v180, 21, 1
	v_cmp_eq_u32_e64 s13, v177, v182
	s_delay_alu instid0(VALU_DEP_2) | instskip(NEXT) | instid1(VALU_DEP_1)
	v_add_nc_u32_e32 v179, -1, v181
	v_cndmask_b32_e64 v177, 0, v179, s13
	v_lshrrev_b32_e32 v179, 23, v180
	s_mov_b32 s13, exec_lo
	s_delay_alu instid0(VALU_DEP_2) | instskip(NEXT) | instid1(VALU_DEP_2)
	v_add_nc_u32_e32 v177, v177, v180
	v_xor_b32_e32 v179, 1, v179
	s_delay_alu instid0(VALU_DEP_2) | instskip(NEXT) | instid1(VALU_DEP_1)
	v_and_b32_e32 v151, 0x1fffff, v177
	v_add_nc_u32_e32 v177, v151, v180
                                        ; implicit-def: $vgpr151
	s_delay_alu instid0(VALU_DEP_3)
	v_cmpx_ne_u32_e64 v178, v179
	s_xor_b32 s13, exec_lo, s13
; %bb.4245:                             ;   in Loop: Header=BB4_3936 Depth=4
	s_delay_alu instid0(VALU_DEP_2) | instskip(SKIP_2) | instid1(VALU_DEP_2)
	v_cmp_lt_u32_e32 vcc_lo, 0xffffff, v177
	v_sub_nc_u32_e32 v151, v178, v179
	v_cndmask_b32_e64 v178, 0, 1, vcc_lo
	v_add_co_ci_u32_e32 v151, vcc_lo, 0, v151, vcc_lo
	s_delay_alu instid0(VALU_DEP_2)
	v_lshrrev_b32_e32 v177, v178, v177
; %bb.4246:                             ;   in Loop: Header=BB4_3936 Depth=4
	s_and_not1_saveexec_b32 s13, s13
; %bb.4247:                             ;   in Loop: Header=BB4_3936 Depth=4
	s_delay_alu instid0(VALU_DEP_1)
	v_bfe_u32 v151, v177, 23, 1
; %bb.4248:                             ;   in Loop: Header=BB4_3936 Depth=4
	s_or_b32 exec_lo, exec_lo, s13
	v_lshrrev_b32_e32 v177, 21, v177
	s_delay_alu instid0(VALU_DEP_2) | instskip(SKIP_2) | instid1(VALU_DEP_2)
	v_cmp_gt_i32_e32 vcc_lo, 32, v151
	v_lshrrev_b32_e32 v176, 24, v176
	v_min_i32_e32 v178, 31, v151
	v_dual_cndmask_b32 v177, 3, v177 :: v_dual_and_b32 v176, 0x80, v176
	s_delay_alu instid0(VALU_DEP_1) | instskip(SKIP_1) | instid1(VALU_DEP_2)
	v_or_b32_e32 v151, v151, v177
	v_and_b32_e32 v179, 3, v177
	v_cmp_ne_u32_e32 vcc_lo, 0, v151
	v_lshlrev_b32_e32 v178, 2, v178
	s_delay_alu instid0(VALU_DEP_1) | instskip(NEXT) | instid1(VALU_DEP_1)
	v_or3_b32 v176, v178, v176, v179
	v_cndmask_b32_e32 v151, 0, v176, vcc_lo
.LBB4_4249:                             ;   in Loop: Header=BB4_3936 Depth=4
	s_or_b32 exec_lo, exec_lo, s35
.LBB4_4250:                             ;   in Loop: Header=BB4_3936 Depth=4
	s_delay_alu instid0(SALU_CYCLE_1) | instskip(SKIP_3) | instid1(VALU_DEP_1)
	s_or_b32 exec_lo, exec_lo, s34
	v_and_b32_e32 v177, 0xff, v149
	s_mov_b32 s13, 0
	s_mov_b32 s35, exec_lo
                                        ; implicit-def: $sgpr34
	v_cmpx_lt_i16_e64 0x7f, v177
	s_xor_b32 s35, exec_lo, s35
	s_cbranch_execnz .LBB4_4515
; %bb.4251:                             ;   in Loop: Header=BB4_3936 Depth=4
	s_or_saveexec_b32 s35, s35
	v_mov_b32_e32 v176, s34
	s_xor_b32 exec_lo, exec_lo, s35
	s_cbranch_execnz .LBB4_4518
.LBB4_4252:                             ;   in Loop: Header=BB4_3936 Depth=4
	s_or_b32 exec_lo, exec_lo, s35
	s_and_saveexec_b32 s34, s13
	s_cbranch_execz .LBB4_4254
.LBB4_4253:                             ;   in Loop: Header=BB4_3936 Depth=4
	v_and_b32_e32 v176, 3, v149
	v_lshrrev_b16 v179, 2, v149
	s_delay_alu instid0(VALU_DEP_2) | instskip(NEXT) | instid1(VALU_DEP_1)
	v_clz_i32_u32_e32 v177, v176
	v_min_u32_e32 v177, 32, v177
	s_delay_alu instid0(VALU_DEP_1) | instskip(SKIP_1) | instid1(VALU_DEP_2)
	v_subrev_nc_u32_e32 v178, 29, v177
	v_sub_nc_u32_e32 v177, 30, v177
	v_lshlrev_b32_e32 v178, v178, v149
	v_lshlrev_b32_e32 v149, 24, v149
	s_delay_alu instid0(VALU_DEP_2) | instskip(SKIP_1) | instid1(VALU_DEP_3)
	v_and_b32_e32 v178, 3, v178
	v_and_b32_e32 v179, 31, v179
	;; [unrolled: 1-line block ×3, first 2 shown]
	s_delay_alu instid0(VALU_DEP_2) | instskip(NEXT) | instid1(VALU_DEP_4)
	v_cmp_eq_u32_e32 vcc_lo, 0, v179
	v_dual_cndmask_b32 v176, v176, v178 :: v_dual_cndmask_b32 v177, v179, v177
	s_delay_alu instid0(VALU_DEP_1) | instskip(NEXT) | instid1(VALU_DEP_2)
	v_lshlrev_b32_e32 v176, 21, v176
	v_lshl_add_u32 v177, v177, 23, 0x37800000
	s_delay_alu instid0(VALU_DEP_1)
	v_or3_b32 v176, v149, v177, v176
.LBB4_4254:                             ;   in Loop: Header=BB4_3936 Depth=4
	s_or_b32 exec_lo, exec_lo, s34
	s_waitcnt vmcnt(8) lgkmcnt(8)
	v_and_b32_e32 v177, 0xff, v167
	s_mov_b32 s13, 0
	s_mov_b32 s35, exec_lo
                                        ; implicit-def: $sgpr34
	s_delay_alu instid0(VALU_DEP_1)
	v_cmpx_lt_i16_e64 0x7f, v177
	s_xor_b32 s35, exec_lo, s35
	s_cbranch_execnz .LBB4_4519
; %bb.4255:                             ;   in Loop: Header=BB4_3936 Depth=4
	s_or_saveexec_b32 s35, s35
	v_mov_b32_e32 v149, s34
	s_xor_b32 exec_lo, exec_lo, s35
	s_cbranch_execnz .LBB4_4522
.LBB4_4256:                             ;   in Loop: Header=BB4_3936 Depth=4
	s_or_b32 exec_lo, exec_lo, s35
	s_and_saveexec_b32 s34, s13
	s_cbranch_execz .LBB4_4258
.LBB4_4257:                             ;   in Loop: Header=BB4_3936 Depth=4
	v_and_b32_e32 v149, 3, v167
	v_lshrrev_b16 v179, 2, v167
	s_delay_alu instid0(VALU_DEP_2) | instskip(NEXT) | instid1(VALU_DEP_2)
	v_clz_i32_u32_e32 v177, v149
	v_and_b32_e32 v179, 31, v179
	s_delay_alu instid0(VALU_DEP_2) | instskip(NEXT) | instid1(VALU_DEP_2)
	v_min_u32_e32 v177, 32, v177
	v_cmp_eq_u32_e32 vcc_lo, 0, v179
	s_delay_alu instid0(VALU_DEP_2) | instskip(SKIP_1) | instid1(VALU_DEP_1)
	v_subrev_nc_u32_e32 v178, 29, v177
	v_sub_nc_u32_e32 v177, 30, v177
	v_dual_cndmask_b32 v177, v179, v177 :: v_dual_lshlrev_b32 v178, v178, v167
	v_lshlrev_b32_e32 v167, 24, v167
	s_delay_alu instid0(VALU_DEP_2) | instskip(NEXT) | instid1(VALU_DEP_3)
	v_and_b32_e32 v178, 3, v178
	v_lshl_add_u32 v177, v177, 23, 0x37800000
	s_delay_alu instid0(VALU_DEP_3) | instskip(NEXT) | instid1(VALU_DEP_3)
	v_and_b32_e32 v167, 0x80000000, v167
	v_cndmask_b32_e32 v149, v149, v178, vcc_lo
	s_delay_alu instid0(VALU_DEP_1) | instskip(NEXT) | instid1(VALU_DEP_1)
	v_lshlrev_b32_e32 v149, 21, v149
	v_or3_b32 v149, v167, v177, v149
.LBB4_4258:                             ;   in Loop: Header=BB4_3936 Depth=4
	s_or_b32 exec_lo, exec_lo, s34
	s_delay_alu instid0(VALU_DEP_1) | instskip(NEXT) | instid1(VALU_DEP_1)
	v_add_f32_e32 v167, v176, v149
	v_and_b32_e32 v149, 0x7f800000, v167
	s_delay_alu instid0(VALU_DEP_1)
	v_cmp_ne_u32_e32 vcc_lo, 0x7f800000, v149
	v_mov_b32_e32 v149, 0x80
	s_and_saveexec_b32 s34, vcc_lo
	s_cbranch_execz .LBB4_4266
; %bb.4259:                             ;   in Loop: Header=BB4_3936 Depth=4
	v_mov_b32_e32 v149, 0
	s_mov_b32 s35, exec_lo
	v_cmpx_ne_u32_e32 0, v167
	s_cbranch_execz .LBB4_4265
; %bb.4260:                             ;   in Loop: Header=BB4_3936 Depth=4
	v_bfe_u32 v149, v167, 23, 8
	s_delay_alu instid0(VALU_DEP_1) | instskip(SKIP_1) | instid1(VALU_DEP_2)
	v_sub_nc_u32_e32 v177, 0x70, v149
	v_cmp_gt_u32_e32 vcc_lo, 0x71, v149
	v_dual_cndmask_b32 v177, 0, v177 :: v_dual_and_b32 v176, 0x7fffff, v167
	s_delay_alu instid0(VALU_DEP_1) | instskip(SKIP_2) | instid1(VALU_DEP_4)
	v_or_b32_e32 v178, 0x800000, v176
	v_cmp_eq_u32_e32 vcc_lo, 0, v149
	v_add_nc_u32_e32 v149, 0xffffff91, v149
	v_cndmask_b32_e64 v177, v177, 0x6f, vcc_lo
	s_delay_alu instid0(VALU_DEP_4) | instskip(NEXT) | instid1(VALU_DEP_3)
	v_cndmask_b32_e32 v176, v178, v176, vcc_lo
	v_cndmask_b32_e64 v149, v149, 0xffffff92, vcc_lo
	s_delay_alu instid0(VALU_DEP_3) | instskip(NEXT) | instid1(VALU_DEP_3)
	v_lshl_add_u32 v178, 0x200000, v177, -1
	v_lshrrev_b32_e32 v179, v177, v176
	v_lshlrev_b32_e64 v181, v177, 0x100000
	s_delay_alu instid0(VALU_DEP_4) | instskip(NEXT) | instid1(VALU_DEP_4)
	v_add_nc_u32_e32 v177, v177, v149
	v_and_b32_e32 v176, v178, v176
	s_delay_alu instid0(VALU_DEP_4) | instskip(NEXT) | instid1(VALU_DEP_2)
	v_bfe_u32 v180, v179, 21, 1
	v_cmp_eq_u32_e64 s13, v176, v181
	s_delay_alu instid0(VALU_DEP_2) | instskip(NEXT) | instid1(VALU_DEP_1)
	v_add_nc_u32_e32 v178, -1, v180
	v_cndmask_b32_e64 v176, 0, v178, s13
	v_lshrrev_b32_e32 v178, 23, v179
	s_mov_b32 s13, exec_lo
	s_delay_alu instid0(VALU_DEP_2) | instskip(NEXT) | instid1(VALU_DEP_2)
	v_add_nc_u32_e32 v176, v176, v179
	v_xor_b32_e32 v178, 1, v178
	s_delay_alu instid0(VALU_DEP_2) | instskip(NEXT) | instid1(VALU_DEP_1)
	v_and_b32_e32 v149, 0x1fffff, v176
	v_add_nc_u32_e32 v176, v149, v179
                                        ; implicit-def: $vgpr149
	s_delay_alu instid0(VALU_DEP_3)
	v_cmpx_ne_u32_e64 v177, v178
	s_xor_b32 s13, exec_lo, s13
; %bb.4261:                             ;   in Loop: Header=BB4_3936 Depth=4
	s_delay_alu instid0(VALU_DEP_2) | instskip(SKIP_2) | instid1(VALU_DEP_2)
	v_cmp_lt_u32_e32 vcc_lo, 0xffffff, v176
	v_sub_nc_u32_e32 v149, v177, v178
	v_cndmask_b32_e64 v177, 0, 1, vcc_lo
	v_add_co_ci_u32_e32 v149, vcc_lo, 0, v149, vcc_lo
	s_delay_alu instid0(VALU_DEP_2)
	v_lshrrev_b32_e32 v176, v177, v176
; %bb.4262:                             ;   in Loop: Header=BB4_3936 Depth=4
	s_and_not1_saveexec_b32 s13, s13
; %bb.4263:                             ;   in Loop: Header=BB4_3936 Depth=4
	s_delay_alu instid0(VALU_DEP_1)
	v_bfe_u32 v149, v176, 23, 1
; %bb.4264:                             ;   in Loop: Header=BB4_3936 Depth=4
	s_or_b32 exec_lo, exec_lo, s13
	v_lshrrev_b32_e32 v176, 21, v176
	s_delay_alu instid0(VALU_DEP_2) | instskip(SKIP_2) | instid1(VALU_DEP_2)
	v_cmp_gt_i32_e32 vcc_lo, 32, v149
	v_lshrrev_b32_e32 v167, 24, v167
	v_min_i32_e32 v177, 31, v149
	v_dual_cndmask_b32 v176, 3, v176 :: v_dual_and_b32 v167, 0x80, v167
	s_delay_alu instid0(VALU_DEP_2) | instskip(NEXT) | instid1(VALU_DEP_2)
	v_lshlrev_b32_e32 v177, 2, v177
	v_or_b32_e32 v149, v149, v176
	s_delay_alu instid0(VALU_DEP_1) | instskip(SKIP_1) | instid1(VALU_DEP_1)
	v_cmp_ne_u32_e32 vcc_lo, 0, v149
	v_and_b32_e32 v178, 3, v176
	v_or3_b32 v167, v177, v167, v178
	s_delay_alu instid0(VALU_DEP_1)
	v_cndmask_b32_e32 v149, 0, v167, vcc_lo
.LBB4_4265:                             ;   in Loop: Header=BB4_3936 Depth=4
	s_or_b32 exec_lo, exec_lo, s35
.LBB4_4266:                             ;   in Loop: Header=BB4_3936 Depth=4
	s_delay_alu instid0(SALU_CYCLE_1) | instskip(SKIP_3) | instid1(VALU_DEP_1)
	s_or_b32 exec_lo, exec_lo, s34
	v_and_b32_e32 v176, 0xff, v147
	s_mov_b32 s13, 0
	s_mov_b32 s35, exec_lo
                                        ; implicit-def: $sgpr34
	v_cmpx_lt_i16_e64 0x7f, v176
	s_xor_b32 s35, exec_lo, s35
	s_cbranch_execnz .LBB4_4523
; %bb.4267:                             ;   in Loop: Header=BB4_3936 Depth=4
	s_or_saveexec_b32 s35, s35
	v_mov_b32_e32 v167, s34
	s_xor_b32 exec_lo, exec_lo, s35
	s_cbranch_execnz .LBB4_4526
.LBB4_4268:                             ;   in Loop: Header=BB4_3936 Depth=4
	s_or_b32 exec_lo, exec_lo, s35
	s_and_saveexec_b32 s34, s13
	s_cbranch_execz .LBB4_4270
.LBB4_4269:                             ;   in Loop: Header=BB4_3936 Depth=4
	v_lshrrev_b16 v178, 2, v147
	s_delay_alu instid0(VALU_DEP_1) | instskip(NEXT) | instid1(VALU_DEP_1)
	v_and_b32_e32 v178, 31, v178
	v_cmp_eq_u32_e32 vcc_lo, 0, v178
	v_and_b32_e32 v167, 3, v147
	s_delay_alu instid0(VALU_DEP_1) | instskip(NEXT) | instid1(VALU_DEP_1)
	v_clz_i32_u32_e32 v176, v167
	v_min_u32_e32 v176, 32, v176
	s_delay_alu instid0(VALU_DEP_1) | instskip(SKIP_1) | instid1(VALU_DEP_1)
	v_subrev_nc_u32_e32 v177, 29, v176
	v_sub_nc_u32_e32 v176, 30, v176
	v_dual_cndmask_b32 v176, v178, v176 :: v_dual_lshlrev_b32 v177, v177, v147
	v_lshlrev_b32_e32 v147, 24, v147
	s_delay_alu instid0(VALU_DEP_2) | instskip(NEXT) | instid1(VALU_DEP_3)
	v_and_b32_e32 v177, 3, v177
	v_lshl_add_u32 v176, v176, 23, 0x37800000
	s_delay_alu instid0(VALU_DEP_3) | instskip(NEXT) | instid1(VALU_DEP_3)
	v_and_b32_e32 v147, 0x80000000, v147
	v_cndmask_b32_e32 v167, v167, v177, vcc_lo
	s_delay_alu instid0(VALU_DEP_1) | instskip(NEXT) | instid1(VALU_DEP_1)
	v_lshlrev_b32_e32 v167, 21, v167
	v_or3_b32 v167, v147, v176, v167
.LBB4_4270:                             ;   in Loop: Header=BB4_3936 Depth=4
	s_or_b32 exec_lo, exec_lo, s34
	s_waitcnt vmcnt(7) lgkmcnt(7)
	v_and_b32_e32 v176, 0xff, v166
	s_mov_b32 s13, 0
	s_mov_b32 s35, exec_lo
                                        ; implicit-def: $sgpr34
	s_delay_alu instid0(VALU_DEP_1)
	v_cmpx_lt_i16_e64 0x7f, v176
	s_xor_b32 s35, exec_lo, s35
	s_cbranch_execnz .LBB4_4527
; %bb.4271:                             ;   in Loop: Header=BB4_3936 Depth=4
	s_or_saveexec_b32 s35, s35
	v_mov_b32_e32 v147, s34
	s_xor_b32 exec_lo, exec_lo, s35
	s_cbranch_execnz .LBB4_4530
.LBB4_4272:                             ;   in Loop: Header=BB4_3936 Depth=4
	s_or_b32 exec_lo, exec_lo, s35
	s_and_saveexec_b32 s34, s13
	s_cbranch_execz .LBB4_4274
.LBB4_4273:                             ;   in Loop: Header=BB4_3936 Depth=4
	v_lshrrev_b16 v178, 2, v166
	s_delay_alu instid0(VALU_DEP_1) | instskip(NEXT) | instid1(VALU_DEP_1)
	v_and_b32_e32 v178, 31, v178
	v_cmp_eq_u32_e32 vcc_lo, 0, v178
	v_and_b32_e32 v147, 3, v166
	s_delay_alu instid0(VALU_DEP_1) | instskip(NEXT) | instid1(VALU_DEP_1)
	v_clz_i32_u32_e32 v176, v147
	v_min_u32_e32 v176, 32, v176
	s_delay_alu instid0(VALU_DEP_1) | instskip(SKIP_1) | instid1(VALU_DEP_1)
	v_subrev_nc_u32_e32 v177, 29, v176
	v_sub_nc_u32_e32 v176, 30, v176
	v_dual_cndmask_b32 v176, v178, v176 :: v_dual_lshlrev_b32 v177, v177, v166
	v_lshlrev_b32_e32 v166, 24, v166
	s_delay_alu instid0(VALU_DEP_2) | instskip(NEXT) | instid1(VALU_DEP_3)
	v_and_b32_e32 v177, 3, v177
	v_lshl_add_u32 v176, v176, 23, 0x37800000
	s_delay_alu instid0(VALU_DEP_2) | instskip(NEXT) | instid1(VALU_DEP_1)
	v_dual_cndmask_b32 v147, v147, v177 :: v_dual_and_b32 v166, 0x80000000, v166
	v_lshlrev_b32_e32 v147, 21, v147
	s_delay_alu instid0(VALU_DEP_1)
	v_or3_b32 v147, v166, v176, v147
.LBB4_4274:                             ;   in Loop: Header=BB4_3936 Depth=4
	s_or_b32 exec_lo, exec_lo, s34
	s_delay_alu instid0(VALU_DEP_1) | instskip(NEXT) | instid1(VALU_DEP_1)
	v_add_f32_e32 v166, v167, v147
	v_and_b32_e32 v147, 0x7f800000, v166
	s_delay_alu instid0(VALU_DEP_1)
	v_cmp_ne_u32_e32 vcc_lo, 0x7f800000, v147
	v_mov_b32_e32 v147, 0x80
	s_and_saveexec_b32 s34, vcc_lo
	s_cbranch_execz .LBB4_4282
; %bb.4275:                             ;   in Loop: Header=BB4_3936 Depth=4
	v_mov_b32_e32 v147, 0
	s_mov_b32 s35, exec_lo
	v_cmpx_ne_u32_e32 0, v166
	s_cbranch_execz .LBB4_4281
; %bb.4276:                             ;   in Loop: Header=BB4_3936 Depth=4
	v_bfe_u32 v147, v166, 23, 8
	s_delay_alu instid0(VALU_DEP_1) | instskip(SKIP_1) | instid1(VALU_DEP_2)
	v_sub_nc_u32_e32 v176, 0x70, v147
	v_cmp_gt_u32_e32 vcc_lo, 0x71, v147
	v_dual_cndmask_b32 v176, 0, v176 :: v_dual_and_b32 v167, 0x7fffff, v166
	s_delay_alu instid0(VALU_DEP_1) | instskip(SKIP_2) | instid1(VALU_DEP_4)
	v_or_b32_e32 v177, 0x800000, v167
	v_cmp_eq_u32_e32 vcc_lo, 0, v147
	v_add_nc_u32_e32 v147, 0xffffff91, v147
	v_cndmask_b32_e64 v176, v176, 0x6f, vcc_lo
	s_delay_alu instid0(VALU_DEP_4) | instskip(NEXT) | instid1(VALU_DEP_3)
	v_cndmask_b32_e32 v167, v177, v167, vcc_lo
	v_cndmask_b32_e64 v147, v147, 0xffffff92, vcc_lo
	s_delay_alu instid0(VALU_DEP_3) | instskip(NEXT) | instid1(VALU_DEP_3)
	v_lshl_add_u32 v177, 0x200000, v176, -1
	v_lshrrev_b32_e32 v178, v176, v167
	v_lshlrev_b32_e64 v180, v176, 0x100000
	s_delay_alu instid0(VALU_DEP_4) | instskip(NEXT) | instid1(VALU_DEP_4)
	v_add_nc_u32_e32 v176, v176, v147
	v_and_b32_e32 v167, v177, v167
	s_delay_alu instid0(VALU_DEP_4) | instskip(NEXT) | instid1(VALU_DEP_2)
	v_bfe_u32 v179, v178, 21, 1
	v_cmp_eq_u32_e64 s13, v167, v180
	s_delay_alu instid0(VALU_DEP_2) | instskip(NEXT) | instid1(VALU_DEP_1)
	v_add_nc_u32_e32 v177, -1, v179
	v_cndmask_b32_e64 v167, 0, v177, s13
	v_lshrrev_b32_e32 v177, 23, v178
	s_mov_b32 s13, exec_lo
	s_delay_alu instid0(VALU_DEP_2) | instskip(NEXT) | instid1(VALU_DEP_2)
	v_add_nc_u32_e32 v167, v167, v178
	v_xor_b32_e32 v177, 1, v177
	s_delay_alu instid0(VALU_DEP_2) | instskip(NEXT) | instid1(VALU_DEP_1)
	v_and_b32_e32 v147, 0x1fffff, v167
	v_add_nc_u32_e32 v167, v147, v178
                                        ; implicit-def: $vgpr147
	s_delay_alu instid0(VALU_DEP_3)
	v_cmpx_ne_u32_e64 v176, v177
	s_xor_b32 s13, exec_lo, s13
; %bb.4277:                             ;   in Loop: Header=BB4_3936 Depth=4
	s_delay_alu instid0(VALU_DEP_2) | instskip(SKIP_2) | instid1(VALU_DEP_2)
	v_cmp_lt_u32_e32 vcc_lo, 0xffffff, v167
	v_sub_nc_u32_e32 v147, v176, v177
	v_cndmask_b32_e64 v176, 0, 1, vcc_lo
	v_add_co_ci_u32_e32 v147, vcc_lo, 0, v147, vcc_lo
	s_delay_alu instid0(VALU_DEP_2)
	v_lshrrev_b32_e32 v167, v176, v167
; %bb.4278:                             ;   in Loop: Header=BB4_3936 Depth=4
	s_and_not1_saveexec_b32 s13, s13
; %bb.4279:                             ;   in Loop: Header=BB4_3936 Depth=4
	s_delay_alu instid0(VALU_DEP_1)
	v_bfe_u32 v147, v167, 23, 1
; %bb.4280:                             ;   in Loop: Header=BB4_3936 Depth=4
	s_or_b32 exec_lo, exec_lo, s13
	v_lshrrev_b32_e32 v167, 21, v167
	s_delay_alu instid0(VALU_DEP_2) | instskip(SKIP_2) | instid1(VALU_DEP_2)
	v_cmp_gt_i32_e32 vcc_lo, 32, v147
	v_lshrrev_b32_e32 v166, 24, v166
	v_min_i32_e32 v176, 31, v147
	v_dual_cndmask_b32 v167, 3, v167 :: v_dual_and_b32 v166, 0x80, v166
	s_delay_alu instid0(VALU_DEP_1) | instskip(SKIP_1) | instid1(VALU_DEP_2)
	v_or_b32_e32 v147, v147, v167
	v_and_b32_e32 v177, 3, v167
	v_cmp_ne_u32_e32 vcc_lo, 0, v147
	v_lshlrev_b32_e32 v176, 2, v176
	s_delay_alu instid0(VALU_DEP_1) | instskip(NEXT) | instid1(VALU_DEP_1)
	v_or3_b32 v166, v176, v166, v177
	v_cndmask_b32_e32 v147, 0, v166, vcc_lo
.LBB4_4281:                             ;   in Loop: Header=BB4_3936 Depth=4
	s_or_b32 exec_lo, exec_lo, s35
.LBB4_4282:                             ;   in Loop: Header=BB4_3936 Depth=4
	s_delay_alu instid0(SALU_CYCLE_1) | instskip(SKIP_3) | instid1(VALU_DEP_1)
	s_or_b32 exec_lo, exec_lo, s34
	v_and_b32_e32 v167, 0xff, v146
	s_mov_b32 s13, 0
	s_mov_b32 s35, exec_lo
                                        ; implicit-def: $sgpr34
	v_cmpx_lt_i16_e64 0x7f, v167
	s_xor_b32 s35, exec_lo, s35
	s_cbranch_execnz .LBB4_4531
; %bb.4283:                             ;   in Loop: Header=BB4_3936 Depth=4
	s_or_saveexec_b32 s35, s35
	v_mov_b32_e32 v166, s34
	s_xor_b32 exec_lo, exec_lo, s35
	s_cbranch_execnz .LBB4_4534
.LBB4_4284:                             ;   in Loop: Header=BB4_3936 Depth=4
	s_or_b32 exec_lo, exec_lo, s35
	s_and_saveexec_b32 s34, s13
	s_cbranch_execz .LBB4_4286
.LBB4_4285:                             ;   in Loop: Header=BB4_3936 Depth=4
	v_lshrrev_b16 v177, 2, v146
	s_delay_alu instid0(VALU_DEP_1) | instskip(NEXT) | instid1(VALU_DEP_1)
	v_and_b32_e32 v177, 31, v177
	v_cmp_eq_u32_e32 vcc_lo, 0, v177
	v_and_b32_e32 v166, 3, v146
	s_delay_alu instid0(VALU_DEP_1) | instskip(NEXT) | instid1(VALU_DEP_1)
	v_clz_i32_u32_e32 v167, v166
	v_min_u32_e32 v167, 32, v167
	s_delay_alu instid0(VALU_DEP_1) | instskip(SKIP_1) | instid1(VALU_DEP_1)
	v_subrev_nc_u32_e32 v176, 29, v167
	v_sub_nc_u32_e32 v167, 30, v167
	v_dual_cndmask_b32 v167, v177, v167 :: v_dual_lshlrev_b32 v176, v176, v146
	v_lshlrev_b32_e32 v146, 24, v146
	s_delay_alu instid0(VALU_DEP_2) | instskip(NEXT) | instid1(VALU_DEP_3)
	v_and_b32_e32 v176, 3, v176
	v_lshl_add_u32 v167, v167, 23, 0x37800000
	s_delay_alu instid0(VALU_DEP_3) | instskip(NEXT) | instid1(VALU_DEP_3)
	v_and_b32_e32 v146, 0x80000000, v146
	v_cndmask_b32_e32 v166, v166, v176, vcc_lo
	s_delay_alu instid0(VALU_DEP_1) | instskip(NEXT) | instid1(VALU_DEP_1)
	v_lshlrev_b32_e32 v166, 21, v166
	v_or3_b32 v166, v146, v167, v166
.LBB4_4286:                             ;   in Loop: Header=BB4_3936 Depth=4
	s_or_b32 exec_lo, exec_lo, s34
	s_waitcnt vmcnt(6) lgkmcnt(6)
	v_and_b32_e32 v167, 0xff, v165
	s_mov_b32 s13, 0
	s_mov_b32 s35, exec_lo
                                        ; implicit-def: $sgpr34
	s_delay_alu instid0(VALU_DEP_1)
	v_cmpx_lt_i16_e64 0x7f, v167
	s_xor_b32 s35, exec_lo, s35
	s_cbranch_execnz .LBB4_4535
; %bb.4287:                             ;   in Loop: Header=BB4_3936 Depth=4
	s_or_saveexec_b32 s35, s35
	v_mov_b32_e32 v146, s34
	s_xor_b32 exec_lo, exec_lo, s35
	s_cbranch_execnz .LBB4_4538
.LBB4_4288:                             ;   in Loop: Header=BB4_3936 Depth=4
	s_or_b32 exec_lo, exec_lo, s35
	s_and_saveexec_b32 s34, s13
	s_cbranch_execz .LBB4_4290
.LBB4_4289:                             ;   in Loop: Header=BB4_3936 Depth=4
	v_lshrrev_b16 v177, 2, v165
	s_delay_alu instid0(VALU_DEP_1) | instskip(NEXT) | instid1(VALU_DEP_1)
	v_and_b32_e32 v177, 31, v177
	v_cmp_eq_u32_e32 vcc_lo, 0, v177
	v_and_b32_e32 v146, 3, v165
	s_delay_alu instid0(VALU_DEP_1) | instskip(NEXT) | instid1(VALU_DEP_1)
	v_clz_i32_u32_e32 v167, v146
	v_min_u32_e32 v167, 32, v167
	s_delay_alu instid0(VALU_DEP_1) | instskip(SKIP_1) | instid1(VALU_DEP_1)
	v_subrev_nc_u32_e32 v176, 29, v167
	v_sub_nc_u32_e32 v167, 30, v167
	v_dual_cndmask_b32 v167, v177, v167 :: v_dual_lshlrev_b32 v176, v176, v165
	v_lshlrev_b32_e32 v165, 24, v165
	s_delay_alu instid0(VALU_DEP_2) | instskip(NEXT) | instid1(VALU_DEP_3)
	v_and_b32_e32 v176, 3, v176
	v_lshl_add_u32 v167, v167, 23, 0x37800000
	s_delay_alu instid0(VALU_DEP_2) | instskip(NEXT) | instid1(VALU_DEP_1)
	v_dual_cndmask_b32 v146, v146, v176 :: v_dual_and_b32 v165, 0x80000000, v165
	v_lshlrev_b32_e32 v146, 21, v146
	s_delay_alu instid0(VALU_DEP_1)
	v_or3_b32 v146, v165, v167, v146
.LBB4_4290:                             ;   in Loop: Header=BB4_3936 Depth=4
	s_or_b32 exec_lo, exec_lo, s34
	s_delay_alu instid0(VALU_DEP_1) | instskip(NEXT) | instid1(VALU_DEP_1)
	v_add_f32_e32 v165, v166, v146
	v_and_b32_e32 v146, 0x7f800000, v165
	s_delay_alu instid0(VALU_DEP_1)
	v_cmp_ne_u32_e32 vcc_lo, 0x7f800000, v146
	v_mov_b32_e32 v146, 0x80
	s_and_saveexec_b32 s34, vcc_lo
	s_cbranch_execz .LBB4_4298
; %bb.4291:                             ;   in Loop: Header=BB4_3936 Depth=4
	v_mov_b32_e32 v146, 0
	s_mov_b32 s35, exec_lo
	v_cmpx_ne_u32_e32 0, v165
	s_cbranch_execz .LBB4_4297
; %bb.4292:                             ;   in Loop: Header=BB4_3936 Depth=4
	v_bfe_u32 v146, v165, 23, 8
	s_delay_alu instid0(VALU_DEP_1) | instskip(SKIP_1) | instid1(VALU_DEP_2)
	v_sub_nc_u32_e32 v167, 0x70, v146
	v_cmp_gt_u32_e32 vcc_lo, 0x71, v146
	v_dual_cndmask_b32 v167, 0, v167 :: v_dual_and_b32 v166, 0x7fffff, v165
	s_delay_alu instid0(VALU_DEP_1) | instskip(SKIP_2) | instid1(VALU_DEP_4)
	v_or_b32_e32 v176, 0x800000, v166
	v_cmp_eq_u32_e32 vcc_lo, 0, v146
	v_add_nc_u32_e32 v146, 0xffffff91, v146
	v_cndmask_b32_e64 v167, v167, 0x6f, vcc_lo
	s_delay_alu instid0(VALU_DEP_4) | instskip(NEXT) | instid1(VALU_DEP_3)
	v_cndmask_b32_e32 v166, v176, v166, vcc_lo
	v_cndmask_b32_e64 v146, v146, 0xffffff92, vcc_lo
	s_delay_alu instid0(VALU_DEP_3) | instskip(NEXT) | instid1(VALU_DEP_3)
	v_lshl_add_u32 v176, 0x200000, v167, -1
	v_lshrrev_b32_e32 v177, v167, v166
	v_lshlrev_b32_e64 v179, v167, 0x100000
	s_delay_alu instid0(VALU_DEP_4) | instskip(NEXT) | instid1(VALU_DEP_4)
	v_add_nc_u32_e32 v167, v167, v146
	v_and_b32_e32 v166, v176, v166
	s_delay_alu instid0(VALU_DEP_4) | instskip(NEXT) | instid1(VALU_DEP_2)
	v_bfe_u32 v178, v177, 21, 1
	v_cmp_eq_u32_e64 s13, v166, v179
	s_delay_alu instid0(VALU_DEP_2) | instskip(NEXT) | instid1(VALU_DEP_1)
	v_add_nc_u32_e32 v176, -1, v178
	v_cndmask_b32_e64 v166, 0, v176, s13
	v_lshrrev_b32_e32 v176, 23, v177
	s_mov_b32 s13, exec_lo
	s_delay_alu instid0(VALU_DEP_2) | instskip(NEXT) | instid1(VALU_DEP_2)
	v_add_nc_u32_e32 v166, v166, v177
	v_xor_b32_e32 v176, 1, v176
	s_delay_alu instid0(VALU_DEP_2) | instskip(NEXT) | instid1(VALU_DEP_1)
	v_and_b32_e32 v146, 0x1fffff, v166
	v_add_nc_u32_e32 v166, v146, v177
                                        ; implicit-def: $vgpr146
	s_delay_alu instid0(VALU_DEP_3)
	v_cmpx_ne_u32_e64 v167, v176
	s_xor_b32 s13, exec_lo, s13
; %bb.4293:                             ;   in Loop: Header=BB4_3936 Depth=4
	s_delay_alu instid0(VALU_DEP_2) | instskip(SKIP_2) | instid1(VALU_DEP_2)
	v_cmp_lt_u32_e32 vcc_lo, 0xffffff, v166
	v_sub_nc_u32_e32 v146, v167, v176
	v_cndmask_b32_e64 v167, 0, 1, vcc_lo
	v_add_co_ci_u32_e32 v146, vcc_lo, 0, v146, vcc_lo
	s_delay_alu instid0(VALU_DEP_2)
	v_lshrrev_b32_e32 v166, v167, v166
; %bb.4294:                             ;   in Loop: Header=BB4_3936 Depth=4
	s_and_not1_saveexec_b32 s13, s13
; %bb.4295:                             ;   in Loop: Header=BB4_3936 Depth=4
	s_delay_alu instid0(VALU_DEP_1)
	v_bfe_u32 v146, v166, 23, 1
; %bb.4296:                             ;   in Loop: Header=BB4_3936 Depth=4
	s_or_b32 exec_lo, exec_lo, s13
	v_lshrrev_b32_e32 v166, 21, v166
	s_delay_alu instid0(VALU_DEP_2) | instskip(SKIP_2) | instid1(VALU_DEP_2)
	v_cmp_gt_i32_e32 vcc_lo, 32, v146
	v_lshrrev_b32_e32 v165, 24, v165
	v_min_i32_e32 v167, 31, v146
	v_dual_cndmask_b32 v166, 3, v166 :: v_dual_and_b32 v165, 0x80, v165
	s_delay_alu instid0(VALU_DEP_1) | instskip(SKIP_1) | instid1(VALU_DEP_2)
	v_or_b32_e32 v146, v146, v166
	v_and_b32_e32 v176, 3, v166
	v_cmp_ne_u32_e32 vcc_lo, 0, v146
	v_lshlrev_b32_e32 v167, 2, v167
	s_delay_alu instid0(VALU_DEP_1) | instskip(NEXT) | instid1(VALU_DEP_1)
	v_or3_b32 v165, v167, v165, v176
	v_cndmask_b32_e32 v146, 0, v165, vcc_lo
.LBB4_4297:                             ;   in Loop: Header=BB4_3936 Depth=4
	s_or_b32 exec_lo, exec_lo, s35
.LBB4_4298:                             ;   in Loop: Header=BB4_3936 Depth=4
	s_delay_alu instid0(SALU_CYCLE_1) | instskip(SKIP_3) | instid1(VALU_DEP_1)
	s_or_b32 exec_lo, exec_lo, s34
	v_and_b32_e32 v166, 0xff, v144
	s_mov_b32 s13, 0
	s_mov_b32 s35, exec_lo
                                        ; implicit-def: $sgpr34
	v_cmpx_lt_i16_e64 0x7f, v166
	s_xor_b32 s35, exec_lo, s35
	s_cbranch_execnz .LBB4_4539
; %bb.4299:                             ;   in Loop: Header=BB4_3936 Depth=4
	s_or_saveexec_b32 s35, s35
	v_mov_b32_e32 v165, s34
	s_xor_b32 exec_lo, exec_lo, s35
	s_cbranch_execnz .LBB4_4542
.LBB4_4300:                             ;   in Loop: Header=BB4_3936 Depth=4
	s_or_b32 exec_lo, exec_lo, s35
	s_and_saveexec_b32 s34, s13
	s_cbranch_execz .LBB4_4302
.LBB4_4301:                             ;   in Loop: Header=BB4_3936 Depth=4
	v_lshrrev_b16 v176, 2, v144
	s_delay_alu instid0(VALU_DEP_1) | instskip(NEXT) | instid1(VALU_DEP_1)
	v_and_b32_e32 v176, 31, v176
	v_cmp_eq_u32_e32 vcc_lo, 0, v176
	v_and_b32_e32 v165, 3, v144
	s_delay_alu instid0(VALU_DEP_1) | instskip(NEXT) | instid1(VALU_DEP_1)
	v_clz_i32_u32_e32 v166, v165
	v_min_u32_e32 v166, 32, v166
	s_delay_alu instid0(VALU_DEP_1) | instskip(SKIP_1) | instid1(VALU_DEP_1)
	v_subrev_nc_u32_e32 v167, 29, v166
	v_sub_nc_u32_e32 v166, 30, v166
	v_dual_cndmask_b32 v166, v176, v166 :: v_dual_lshlrev_b32 v167, v167, v144
	v_lshlrev_b32_e32 v144, 24, v144
	s_delay_alu instid0(VALU_DEP_2) | instskip(NEXT) | instid1(VALU_DEP_3)
	v_and_b32_e32 v167, 3, v167
	v_lshl_add_u32 v166, v166, 23, 0x37800000
	s_delay_alu instid0(VALU_DEP_2) | instskip(NEXT) | instid1(VALU_DEP_1)
	v_dual_cndmask_b32 v165, v165, v167 :: v_dual_and_b32 v144, 0x80000000, v144
	v_lshlrev_b32_e32 v165, 21, v165
	s_delay_alu instid0(VALU_DEP_1)
	v_or3_b32 v165, v144, v166, v165
.LBB4_4302:                             ;   in Loop: Header=BB4_3936 Depth=4
	s_or_b32 exec_lo, exec_lo, s34
	s_waitcnt vmcnt(5) lgkmcnt(5)
	v_and_b32_e32 v166, 0xff, v164
	s_mov_b32 s13, 0
	s_mov_b32 s35, exec_lo
                                        ; implicit-def: $sgpr34
	s_delay_alu instid0(VALU_DEP_1)
	v_cmpx_lt_i16_e64 0x7f, v166
	s_xor_b32 s35, exec_lo, s35
	s_cbranch_execnz .LBB4_4543
; %bb.4303:                             ;   in Loop: Header=BB4_3936 Depth=4
	s_or_saveexec_b32 s35, s35
	v_mov_b32_e32 v144, s34
	s_xor_b32 exec_lo, exec_lo, s35
	s_cbranch_execnz .LBB4_4546
.LBB4_4304:                             ;   in Loop: Header=BB4_3936 Depth=4
	s_or_b32 exec_lo, exec_lo, s35
	s_and_saveexec_b32 s34, s13
	s_cbranch_execz .LBB4_4306
.LBB4_4305:                             ;   in Loop: Header=BB4_3936 Depth=4
	v_and_b32_e32 v144, 3, v164
	v_lshrrev_b16 v176, 2, v164
	s_delay_alu instid0(VALU_DEP_2) | instskip(NEXT) | instid1(VALU_DEP_2)
	v_clz_i32_u32_e32 v166, v144
	v_and_b32_e32 v176, 31, v176
	s_delay_alu instid0(VALU_DEP_2) | instskip(NEXT) | instid1(VALU_DEP_2)
	v_min_u32_e32 v166, 32, v166
	v_cmp_eq_u32_e32 vcc_lo, 0, v176
	s_delay_alu instid0(VALU_DEP_2) | instskip(SKIP_1) | instid1(VALU_DEP_1)
	v_subrev_nc_u32_e32 v167, 29, v166
	v_sub_nc_u32_e32 v166, 30, v166
	v_dual_cndmask_b32 v166, v176, v166 :: v_dual_lshlrev_b32 v167, v167, v164
	v_lshlrev_b32_e32 v164, 24, v164
	s_delay_alu instid0(VALU_DEP_2) | instskip(NEXT) | instid1(VALU_DEP_3)
	v_and_b32_e32 v167, 3, v167
	v_lshl_add_u32 v166, v166, 23, 0x37800000
	s_delay_alu instid0(VALU_DEP_3) | instskip(NEXT) | instid1(VALU_DEP_3)
	v_and_b32_e32 v164, 0x80000000, v164
	v_cndmask_b32_e32 v144, v144, v167, vcc_lo
	s_delay_alu instid0(VALU_DEP_1) | instskip(NEXT) | instid1(VALU_DEP_1)
	v_lshlrev_b32_e32 v144, 21, v144
	v_or3_b32 v144, v164, v166, v144
.LBB4_4306:                             ;   in Loop: Header=BB4_3936 Depth=4
	s_or_b32 exec_lo, exec_lo, s34
	s_delay_alu instid0(VALU_DEP_1) | instskip(NEXT) | instid1(VALU_DEP_1)
	v_add_f32_e32 v164, v165, v144
	v_and_b32_e32 v144, 0x7f800000, v164
	s_delay_alu instid0(VALU_DEP_1)
	v_cmp_ne_u32_e32 vcc_lo, 0x7f800000, v144
	v_mov_b32_e32 v144, 0x80
	s_and_saveexec_b32 s34, vcc_lo
	s_cbranch_execz .LBB4_4314
; %bb.4307:                             ;   in Loop: Header=BB4_3936 Depth=4
	v_mov_b32_e32 v144, 0
	s_mov_b32 s35, exec_lo
	v_cmpx_ne_u32_e32 0, v164
	s_cbranch_execz .LBB4_4313
; %bb.4308:                             ;   in Loop: Header=BB4_3936 Depth=4
	v_bfe_u32 v144, v164, 23, 8
	s_delay_alu instid0(VALU_DEP_1) | instskip(SKIP_1) | instid1(VALU_DEP_2)
	v_sub_nc_u32_e32 v166, 0x70, v144
	v_cmp_gt_u32_e32 vcc_lo, 0x71, v144
	v_dual_cndmask_b32 v166, 0, v166 :: v_dual_and_b32 v165, 0x7fffff, v164
	s_delay_alu instid0(VALU_DEP_1) | instskip(SKIP_2) | instid1(VALU_DEP_4)
	v_or_b32_e32 v167, 0x800000, v165
	v_cmp_eq_u32_e32 vcc_lo, 0, v144
	v_add_nc_u32_e32 v144, 0xffffff91, v144
	v_cndmask_b32_e64 v166, v166, 0x6f, vcc_lo
	s_delay_alu instid0(VALU_DEP_4) | instskip(NEXT) | instid1(VALU_DEP_3)
	v_cndmask_b32_e32 v165, v167, v165, vcc_lo
	v_cndmask_b32_e64 v144, v144, 0xffffff92, vcc_lo
	s_delay_alu instid0(VALU_DEP_3) | instskip(NEXT) | instid1(VALU_DEP_3)
	v_lshl_add_u32 v167, 0x200000, v166, -1
	v_lshrrev_b32_e32 v176, v166, v165
	v_lshlrev_b32_e64 v178, v166, 0x100000
	s_delay_alu instid0(VALU_DEP_4) | instskip(NEXT) | instid1(VALU_DEP_4)
	v_add_nc_u32_e32 v166, v166, v144
	v_and_b32_e32 v165, v167, v165
	s_delay_alu instid0(VALU_DEP_4) | instskip(NEXT) | instid1(VALU_DEP_2)
	v_bfe_u32 v177, v176, 21, 1
	v_cmp_eq_u32_e64 s13, v165, v178
	s_delay_alu instid0(VALU_DEP_2) | instskip(NEXT) | instid1(VALU_DEP_1)
	v_add_nc_u32_e32 v167, -1, v177
	v_cndmask_b32_e64 v165, 0, v167, s13
	v_lshrrev_b32_e32 v167, 23, v176
	s_mov_b32 s13, exec_lo
	s_delay_alu instid0(VALU_DEP_2) | instskip(NEXT) | instid1(VALU_DEP_2)
	v_add_nc_u32_e32 v165, v165, v176
	v_xor_b32_e32 v167, 1, v167
	s_delay_alu instid0(VALU_DEP_2) | instskip(NEXT) | instid1(VALU_DEP_1)
	v_and_b32_e32 v144, 0x1fffff, v165
	v_add_nc_u32_e32 v165, v144, v176
                                        ; implicit-def: $vgpr144
	s_delay_alu instid0(VALU_DEP_3)
	v_cmpx_ne_u32_e64 v166, v167
	s_xor_b32 s13, exec_lo, s13
; %bb.4309:                             ;   in Loop: Header=BB4_3936 Depth=4
	s_delay_alu instid0(VALU_DEP_2) | instskip(SKIP_2) | instid1(VALU_DEP_2)
	v_cmp_lt_u32_e32 vcc_lo, 0xffffff, v165
	v_sub_nc_u32_e32 v144, v166, v167
	v_cndmask_b32_e64 v166, 0, 1, vcc_lo
	v_add_co_ci_u32_e32 v144, vcc_lo, 0, v144, vcc_lo
	s_delay_alu instid0(VALU_DEP_2)
	v_lshrrev_b32_e32 v165, v166, v165
; %bb.4310:                             ;   in Loop: Header=BB4_3936 Depth=4
	s_and_not1_saveexec_b32 s13, s13
; %bb.4311:                             ;   in Loop: Header=BB4_3936 Depth=4
	s_delay_alu instid0(VALU_DEP_1)
	v_bfe_u32 v144, v165, 23, 1
; %bb.4312:                             ;   in Loop: Header=BB4_3936 Depth=4
	s_or_b32 exec_lo, exec_lo, s13
	v_lshrrev_b32_e32 v165, 21, v165
	s_delay_alu instid0(VALU_DEP_2) | instskip(SKIP_2) | instid1(VALU_DEP_2)
	v_cmp_gt_i32_e32 vcc_lo, 32, v144
	v_lshrrev_b32_e32 v164, 24, v164
	v_min_i32_e32 v166, 31, v144
	v_dual_cndmask_b32 v165, 3, v165 :: v_dual_and_b32 v164, 0x80, v164
	s_delay_alu instid0(VALU_DEP_2) | instskip(NEXT) | instid1(VALU_DEP_2)
	v_lshlrev_b32_e32 v166, 2, v166
	v_or_b32_e32 v144, v144, v165
	s_delay_alu instid0(VALU_DEP_1) | instskip(SKIP_1) | instid1(VALU_DEP_1)
	v_cmp_ne_u32_e32 vcc_lo, 0, v144
	v_and_b32_e32 v167, 3, v165
	v_or3_b32 v164, v166, v164, v167
	s_delay_alu instid0(VALU_DEP_1)
	v_cndmask_b32_e32 v144, 0, v164, vcc_lo
.LBB4_4313:                             ;   in Loop: Header=BB4_3936 Depth=4
	s_or_b32 exec_lo, exec_lo, s35
.LBB4_4314:                             ;   in Loop: Header=BB4_3936 Depth=4
	s_delay_alu instid0(SALU_CYCLE_1) | instskip(SKIP_3) | instid1(VALU_DEP_1)
	s_or_b32 exec_lo, exec_lo, s34
	v_and_b32_e32 v165, 0xff, v135
	s_mov_b32 s13, 0
	s_mov_b32 s35, exec_lo
                                        ; implicit-def: $sgpr34
	v_cmpx_lt_i16_e64 0x7f, v165
	s_xor_b32 s35, exec_lo, s35
	s_cbranch_execnz .LBB4_4547
; %bb.4315:                             ;   in Loop: Header=BB4_3936 Depth=4
	s_or_saveexec_b32 s35, s35
	v_mov_b32_e32 v164, s34
	s_xor_b32 exec_lo, exec_lo, s35
	s_cbranch_execnz .LBB4_4550
.LBB4_4316:                             ;   in Loop: Header=BB4_3936 Depth=4
	s_or_b32 exec_lo, exec_lo, s35
	s_and_saveexec_b32 s34, s13
	s_cbranch_execz .LBB4_4318
.LBB4_4317:                             ;   in Loop: Header=BB4_3936 Depth=4
	v_lshrrev_b16 v167, 2, v135
	s_delay_alu instid0(VALU_DEP_1) | instskip(NEXT) | instid1(VALU_DEP_1)
	v_and_b32_e32 v167, 31, v167
	v_cmp_eq_u32_e32 vcc_lo, 0, v167
	v_and_b32_e32 v164, 3, v135
	s_delay_alu instid0(VALU_DEP_1) | instskip(NEXT) | instid1(VALU_DEP_1)
	v_clz_i32_u32_e32 v165, v164
	v_min_u32_e32 v165, 32, v165
	s_delay_alu instid0(VALU_DEP_1) | instskip(SKIP_1) | instid1(VALU_DEP_1)
	v_subrev_nc_u32_e32 v166, 29, v165
	v_sub_nc_u32_e32 v165, 30, v165
	v_dual_cndmask_b32 v165, v167, v165 :: v_dual_lshlrev_b32 v166, v166, v135
	v_lshlrev_b32_e32 v135, 24, v135
	s_delay_alu instid0(VALU_DEP_2) | instskip(NEXT) | instid1(VALU_DEP_3)
	v_and_b32_e32 v166, 3, v166
	v_lshl_add_u32 v165, v165, 23, 0x37800000
	s_delay_alu instid0(VALU_DEP_2) | instskip(NEXT) | instid1(VALU_DEP_1)
	v_dual_cndmask_b32 v164, v164, v166 :: v_dual_and_b32 v135, 0x80000000, v135
	v_lshlrev_b32_e32 v164, 21, v164
	s_delay_alu instid0(VALU_DEP_1)
	v_or3_b32 v164, v135, v165, v164
.LBB4_4318:                             ;   in Loop: Header=BB4_3936 Depth=4
	s_or_b32 exec_lo, exec_lo, s34
	s_waitcnt vmcnt(4) lgkmcnt(4)
	v_and_b32_e32 v165, 0xff, v163
	s_mov_b32 s13, 0
	s_mov_b32 s35, exec_lo
                                        ; implicit-def: $sgpr34
	s_delay_alu instid0(VALU_DEP_1)
	v_cmpx_lt_i16_e64 0x7f, v165
	s_xor_b32 s35, exec_lo, s35
	s_cbranch_execnz .LBB4_4551
; %bb.4319:                             ;   in Loop: Header=BB4_3936 Depth=4
	s_or_saveexec_b32 s35, s35
	v_mov_b32_e32 v135, s34
	s_xor_b32 exec_lo, exec_lo, s35
	s_cbranch_execnz .LBB4_4554
.LBB4_4320:                             ;   in Loop: Header=BB4_3936 Depth=4
	s_or_b32 exec_lo, exec_lo, s35
	s_and_saveexec_b32 s34, s13
	s_cbranch_execz .LBB4_4322
.LBB4_4321:                             ;   in Loop: Header=BB4_3936 Depth=4
	v_and_b32_e32 v135, 3, v163
	v_lshrrev_b16 v167, 2, v163
	s_delay_alu instid0(VALU_DEP_2) | instskip(NEXT) | instid1(VALU_DEP_2)
	v_clz_i32_u32_e32 v165, v135
	v_and_b32_e32 v167, 31, v167
	s_delay_alu instid0(VALU_DEP_2) | instskip(NEXT) | instid1(VALU_DEP_2)
	v_min_u32_e32 v165, 32, v165
	v_cmp_eq_u32_e32 vcc_lo, 0, v167
	s_delay_alu instid0(VALU_DEP_2) | instskip(SKIP_1) | instid1(VALU_DEP_1)
	v_subrev_nc_u32_e32 v166, 29, v165
	v_sub_nc_u32_e32 v165, 30, v165
	v_dual_cndmask_b32 v165, v167, v165 :: v_dual_lshlrev_b32 v166, v166, v163
	v_lshlrev_b32_e32 v163, 24, v163
	s_delay_alu instid0(VALU_DEP_2) | instskip(NEXT) | instid1(VALU_DEP_3)
	v_and_b32_e32 v166, 3, v166
	v_lshl_add_u32 v165, v165, 23, 0x37800000
	s_delay_alu instid0(VALU_DEP_3) | instskip(NEXT) | instid1(VALU_DEP_3)
	v_and_b32_e32 v163, 0x80000000, v163
	v_cndmask_b32_e32 v135, v135, v166, vcc_lo
	s_delay_alu instid0(VALU_DEP_1) | instskip(NEXT) | instid1(VALU_DEP_1)
	v_lshlrev_b32_e32 v135, 21, v135
	v_or3_b32 v135, v163, v165, v135
.LBB4_4322:                             ;   in Loop: Header=BB4_3936 Depth=4
	s_or_b32 exec_lo, exec_lo, s34
	s_delay_alu instid0(VALU_DEP_1) | instskip(NEXT) | instid1(VALU_DEP_1)
	v_add_f32_e32 v163, v164, v135
	v_and_b32_e32 v135, 0x7f800000, v163
	s_delay_alu instid0(VALU_DEP_1)
	v_cmp_ne_u32_e32 vcc_lo, 0x7f800000, v135
	v_mov_b32_e32 v135, 0x80
	s_and_saveexec_b32 s34, vcc_lo
	s_cbranch_execz .LBB4_4330
; %bb.4323:                             ;   in Loop: Header=BB4_3936 Depth=4
	v_mov_b32_e32 v135, 0
	s_mov_b32 s35, exec_lo
	v_cmpx_ne_u32_e32 0, v163
	s_cbranch_execz .LBB4_4329
; %bb.4324:                             ;   in Loop: Header=BB4_3936 Depth=4
	v_bfe_u32 v135, v163, 23, 8
	s_delay_alu instid0(VALU_DEP_1) | instskip(SKIP_1) | instid1(VALU_DEP_2)
	v_sub_nc_u32_e32 v165, 0x70, v135
	v_cmp_gt_u32_e32 vcc_lo, 0x71, v135
	v_dual_cndmask_b32 v165, 0, v165 :: v_dual_and_b32 v164, 0x7fffff, v163
	s_delay_alu instid0(VALU_DEP_1) | instskip(SKIP_2) | instid1(VALU_DEP_4)
	v_or_b32_e32 v166, 0x800000, v164
	v_cmp_eq_u32_e32 vcc_lo, 0, v135
	v_add_nc_u32_e32 v135, 0xffffff91, v135
	v_cndmask_b32_e64 v165, v165, 0x6f, vcc_lo
	s_delay_alu instid0(VALU_DEP_4) | instskip(NEXT) | instid1(VALU_DEP_3)
	v_cndmask_b32_e32 v164, v166, v164, vcc_lo
	v_cndmask_b32_e64 v135, v135, 0xffffff92, vcc_lo
	s_delay_alu instid0(VALU_DEP_3) | instskip(NEXT) | instid1(VALU_DEP_3)
	v_lshl_add_u32 v166, 0x200000, v165, -1
	v_lshrrev_b32_e32 v167, v165, v164
	v_lshlrev_b32_e64 v177, v165, 0x100000
	s_delay_alu instid0(VALU_DEP_4) | instskip(NEXT) | instid1(VALU_DEP_4)
	v_add_nc_u32_e32 v165, v165, v135
	v_and_b32_e32 v164, v166, v164
	s_delay_alu instid0(VALU_DEP_4) | instskip(NEXT) | instid1(VALU_DEP_2)
	v_bfe_u32 v176, v167, 21, 1
	v_cmp_eq_u32_e64 s13, v164, v177
	s_delay_alu instid0(VALU_DEP_2) | instskip(NEXT) | instid1(VALU_DEP_1)
	v_add_nc_u32_e32 v166, -1, v176
	v_cndmask_b32_e64 v164, 0, v166, s13
	v_lshrrev_b32_e32 v166, 23, v167
	s_mov_b32 s13, exec_lo
	s_delay_alu instid0(VALU_DEP_2) | instskip(NEXT) | instid1(VALU_DEP_2)
	v_add_nc_u32_e32 v164, v164, v167
	v_xor_b32_e32 v166, 1, v166
	s_delay_alu instid0(VALU_DEP_2) | instskip(NEXT) | instid1(VALU_DEP_1)
	v_and_b32_e32 v135, 0x1fffff, v164
	v_add_nc_u32_e32 v164, v135, v167
                                        ; implicit-def: $vgpr135
	s_delay_alu instid0(VALU_DEP_3)
	v_cmpx_ne_u32_e64 v165, v166
	s_xor_b32 s13, exec_lo, s13
; %bb.4325:                             ;   in Loop: Header=BB4_3936 Depth=4
	s_delay_alu instid0(VALU_DEP_2) | instskip(SKIP_2) | instid1(VALU_DEP_2)
	v_cmp_lt_u32_e32 vcc_lo, 0xffffff, v164
	v_sub_nc_u32_e32 v135, v165, v166
	v_cndmask_b32_e64 v165, 0, 1, vcc_lo
	v_add_co_ci_u32_e32 v135, vcc_lo, 0, v135, vcc_lo
	s_delay_alu instid0(VALU_DEP_2)
	v_lshrrev_b32_e32 v164, v165, v164
; %bb.4326:                             ;   in Loop: Header=BB4_3936 Depth=4
	s_and_not1_saveexec_b32 s13, s13
; %bb.4327:                             ;   in Loop: Header=BB4_3936 Depth=4
	s_delay_alu instid0(VALU_DEP_1)
	v_bfe_u32 v135, v164, 23, 1
; %bb.4328:                             ;   in Loop: Header=BB4_3936 Depth=4
	s_or_b32 exec_lo, exec_lo, s13
	v_lshrrev_b32_e32 v164, 21, v164
	s_delay_alu instid0(VALU_DEP_2) | instskip(SKIP_2) | instid1(VALU_DEP_2)
	v_cmp_gt_i32_e32 vcc_lo, 32, v135
	v_lshrrev_b32_e32 v163, 24, v163
	v_min_i32_e32 v165, 31, v135
	v_dual_cndmask_b32 v164, 3, v164 :: v_dual_and_b32 v163, 0x80, v163
	s_delay_alu instid0(VALU_DEP_2) | instskip(NEXT) | instid1(VALU_DEP_2)
	v_lshlrev_b32_e32 v165, 2, v165
	v_or_b32_e32 v135, v135, v164
	s_delay_alu instid0(VALU_DEP_1) | instskip(SKIP_1) | instid1(VALU_DEP_1)
	v_cmp_ne_u32_e32 vcc_lo, 0, v135
	v_and_b32_e32 v166, 3, v164
	v_or3_b32 v163, v165, v163, v166
	s_delay_alu instid0(VALU_DEP_1)
	v_cndmask_b32_e32 v135, 0, v163, vcc_lo
.LBB4_4329:                             ;   in Loop: Header=BB4_3936 Depth=4
	s_or_b32 exec_lo, exec_lo, s35
.LBB4_4330:                             ;   in Loop: Header=BB4_3936 Depth=4
	s_delay_alu instid0(SALU_CYCLE_1) | instskip(SKIP_3) | instid1(VALU_DEP_1)
	s_or_b32 exec_lo, exec_lo, s34
	v_and_b32_e32 v164, 0xff, v133
	s_mov_b32 s13, 0
	s_mov_b32 s35, exec_lo
                                        ; implicit-def: $sgpr34
	v_cmpx_lt_i16_e64 0x7f, v164
	s_xor_b32 s35, exec_lo, s35
	s_cbranch_execnz .LBB4_4555
; %bb.4331:                             ;   in Loop: Header=BB4_3936 Depth=4
	s_or_saveexec_b32 s35, s35
	v_mov_b32_e32 v163, s34
	s_xor_b32 exec_lo, exec_lo, s35
	s_cbranch_execnz .LBB4_4558
.LBB4_4332:                             ;   in Loop: Header=BB4_3936 Depth=4
	s_or_b32 exec_lo, exec_lo, s35
	s_and_saveexec_b32 s34, s13
	s_cbranch_execz .LBB4_4334
.LBB4_4333:                             ;   in Loop: Header=BB4_3936 Depth=4
	v_lshrrev_b16 v166, 2, v133
	s_delay_alu instid0(VALU_DEP_1) | instskip(NEXT) | instid1(VALU_DEP_1)
	v_and_b32_e32 v166, 31, v166
	v_cmp_eq_u32_e32 vcc_lo, 0, v166
	v_and_b32_e32 v163, 3, v133
	s_delay_alu instid0(VALU_DEP_1) | instskip(NEXT) | instid1(VALU_DEP_1)
	v_clz_i32_u32_e32 v164, v163
	v_min_u32_e32 v164, 32, v164
	s_delay_alu instid0(VALU_DEP_1) | instskip(SKIP_1) | instid1(VALU_DEP_1)
	v_subrev_nc_u32_e32 v165, 29, v164
	v_sub_nc_u32_e32 v164, 30, v164
	v_dual_cndmask_b32 v164, v166, v164 :: v_dual_lshlrev_b32 v165, v165, v133
	v_lshlrev_b32_e32 v133, 24, v133
	s_delay_alu instid0(VALU_DEP_2) | instskip(NEXT) | instid1(VALU_DEP_3)
	v_and_b32_e32 v165, 3, v165
	v_lshl_add_u32 v164, v164, 23, 0x37800000
	s_delay_alu instid0(VALU_DEP_3) | instskip(NEXT) | instid1(VALU_DEP_3)
	v_and_b32_e32 v133, 0x80000000, v133
	v_cndmask_b32_e32 v163, v163, v165, vcc_lo
	s_delay_alu instid0(VALU_DEP_1) | instskip(NEXT) | instid1(VALU_DEP_1)
	v_lshlrev_b32_e32 v163, 21, v163
	v_or3_b32 v163, v133, v164, v163
.LBB4_4334:                             ;   in Loop: Header=BB4_3936 Depth=4
	s_or_b32 exec_lo, exec_lo, s34
	s_waitcnt vmcnt(3) lgkmcnt(3)
	v_and_b32_e32 v164, 0xff, v150
	s_mov_b32 s13, 0
	s_mov_b32 s35, exec_lo
                                        ; implicit-def: $sgpr34
	s_delay_alu instid0(VALU_DEP_1)
	v_cmpx_lt_i16_e64 0x7f, v164
	s_xor_b32 s35, exec_lo, s35
	s_cbranch_execnz .LBB4_4559
; %bb.4335:                             ;   in Loop: Header=BB4_3936 Depth=4
	s_or_saveexec_b32 s35, s35
	v_mov_b32_e32 v133, s34
	s_xor_b32 exec_lo, exec_lo, s35
	s_cbranch_execnz .LBB4_4562
.LBB4_4336:                             ;   in Loop: Header=BB4_3936 Depth=4
	s_or_b32 exec_lo, exec_lo, s35
	s_and_saveexec_b32 s34, s13
	s_cbranch_execz .LBB4_4338
.LBB4_4337:                             ;   in Loop: Header=BB4_3936 Depth=4
	v_lshrrev_b16 v166, 2, v150
	s_delay_alu instid0(VALU_DEP_1) | instskip(NEXT) | instid1(VALU_DEP_1)
	v_and_b32_e32 v166, 31, v166
	v_cmp_eq_u32_e32 vcc_lo, 0, v166
	v_and_b32_e32 v133, 3, v150
	s_delay_alu instid0(VALU_DEP_1) | instskip(NEXT) | instid1(VALU_DEP_1)
	v_clz_i32_u32_e32 v164, v133
	v_min_u32_e32 v164, 32, v164
	s_delay_alu instid0(VALU_DEP_1) | instskip(SKIP_1) | instid1(VALU_DEP_1)
	v_subrev_nc_u32_e32 v165, 29, v164
	v_sub_nc_u32_e32 v164, 30, v164
	v_dual_cndmask_b32 v164, v166, v164 :: v_dual_lshlrev_b32 v165, v165, v150
	v_lshlrev_b32_e32 v150, 24, v150
	s_delay_alu instid0(VALU_DEP_2) | instskip(NEXT) | instid1(VALU_DEP_3)
	v_and_b32_e32 v165, 3, v165
	v_lshl_add_u32 v164, v164, 23, 0x37800000
	s_delay_alu instid0(VALU_DEP_2) | instskip(NEXT) | instid1(VALU_DEP_1)
	v_dual_cndmask_b32 v133, v133, v165 :: v_dual_and_b32 v150, 0x80000000, v150
	v_lshlrev_b32_e32 v133, 21, v133
	s_delay_alu instid0(VALU_DEP_1)
	v_or3_b32 v133, v150, v164, v133
.LBB4_4338:                             ;   in Loop: Header=BB4_3936 Depth=4
	s_or_b32 exec_lo, exec_lo, s34
	s_delay_alu instid0(VALU_DEP_1) | instskip(NEXT) | instid1(VALU_DEP_1)
	v_add_f32_e32 v150, v163, v133
	v_and_b32_e32 v133, 0x7f800000, v150
	s_delay_alu instid0(VALU_DEP_1)
	v_cmp_ne_u32_e32 vcc_lo, 0x7f800000, v133
	v_mov_b32_e32 v133, 0x80
	s_and_saveexec_b32 s34, vcc_lo
	s_cbranch_execz .LBB4_4346
; %bb.4339:                             ;   in Loop: Header=BB4_3936 Depth=4
	v_mov_b32_e32 v133, 0
	s_mov_b32 s35, exec_lo
	v_cmpx_ne_u32_e32 0, v150
	s_cbranch_execz .LBB4_4345
; %bb.4340:                             ;   in Loop: Header=BB4_3936 Depth=4
	v_bfe_u32 v133, v150, 23, 8
	s_delay_alu instid0(VALU_DEP_1) | instskip(SKIP_1) | instid1(VALU_DEP_2)
	v_sub_nc_u32_e32 v164, 0x70, v133
	v_cmp_gt_u32_e32 vcc_lo, 0x71, v133
	v_dual_cndmask_b32 v164, 0, v164 :: v_dual_and_b32 v163, 0x7fffff, v150
	s_delay_alu instid0(VALU_DEP_1) | instskip(SKIP_2) | instid1(VALU_DEP_4)
	v_or_b32_e32 v165, 0x800000, v163
	v_cmp_eq_u32_e32 vcc_lo, 0, v133
	v_add_nc_u32_e32 v133, 0xffffff91, v133
	v_cndmask_b32_e64 v164, v164, 0x6f, vcc_lo
	s_delay_alu instid0(VALU_DEP_2) | instskip(SKIP_1) | instid1(VALU_DEP_3)
	v_cndmask_b32_e64 v133, v133, 0xffffff92, vcc_lo
	v_cndmask_b32_e32 v163, v165, v163, vcc_lo
	v_lshl_add_u32 v165, 0x200000, v164, -1
	v_lshlrev_b32_e64 v176, v164, 0x100000
	s_delay_alu instid0(VALU_DEP_3) | instskip(SKIP_1) | instid1(VALU_DEP_4)
	v_lshrrev_b32_e32 v166, v164, v163
	v_add_nc_u32_e32 v164, v164, v133
	v_and_b32_e32 v163, v165, v163
	s_delay_alu instid0(VALU_DEP_3) | instskip(NEXT) | instid1(VALU_DEP_2)
	v_bfe_u32 v167, v166, 21, 1
	v_cmp_eq_u32_e64 s13, v163, v176
	s_delay_alu instid0(VALU_DEP_2) | instskip(NEXT) | instid1(VALU_DEP_1)
	v_add_nc_u32_e32 v165, -1, v167
	v_cndmask_b32_e64 v163, 0, v165, s13
	v_lshrrev_b32_e32 v165, 23, v166
	s_mov_b32 s13, exec_lo
	s_delay_alu instid0(VALU_DEP_2) | instskip(NEXT) | instid1(VALU_DEP_2)
	v_add_nc_u32_e32 v163, v163, v166
	v_xor_b32_e32 v165, 1, v165
	s_delay_alu instid0(VALU_DEP_2) | instskip(NEXT) | instid1(VALU_DEP_1)
	v_and_b32_e32 v133, 0x1fffff, v163
	v_add_nc_u32_e32 v163, v133, v166
                                        ; implicit-def: $vgpr133
	s_delay_alu instid0(VALU_DEP_3)
	v_cmpx_ne_u32_e64 v164, v165
	s_xor_b32 s13, exec_lo, s13
; %bb.4341:                             ;   in Loop: Header=BB4_3936 Depth=4
	s_delay_alu instid0(VALU_DEP_2) | instskip(SKIP_2) | instid1(VALU_DEP_2)
	v_cmp_lt_u32_e32 vcc_lo, 0xffffff, v163
	v_sub_nc_u32_e32 v133, v164, v165
	v_cndmask_b32_e64 v164, 0, 1, vcc_lo
	v_add_co_ci_u32_e32 v133, vcc_lo, 0, v133, vcc_lo
	s_delay_alu instid0(VALU_DEP_2)
	v_lshrrev_b32_e32 v163, v164, v163
; %bb.4342:                             ;   in Loop: Header=BB4_3936 Depth=4
	s_and_not1_saveexec_b32 s13, s13
; %bb.4343:                             ;   in Loop: Header=BB4_3936 Depth=4
	s_delay_alu instid0(VALU_DEP_1)
	v_bfe_u32 v133, v163, 23, 1
; %bb.4344:                             ;   in Loop: Header=BB4_3936 Depth=4
	s_or_b32 exec_lo, exec_lo, s13
	v_lshrrev_b32_e32 v163, 21, v163
	s_delay_alu instid0(VALU_DEP_2) | instskip(SKIP_2) | instid1(VALU_DEP_2)
	v_cmp_gt_i32_e32 vcc_lo, 32, v133
	v_lshrrev_b32_e32 v150, 24, v150
	v_min_i32_e32 v164, 31, v133
	v_dual_cndmask_b32 v163, 3, v163 :: v_dual_and_b32 v150, 0x80, v150
	s_delay_alu instid0(VALU_DEP_1) | instskip(SKIP_1) | instid1(VALU_DEP_2)
	v_or_b32_e32 v133, v133, v163
	v_and_b32_e32 v165, 3, v163
	v_cmp_ne_u32_e32 vcc_lo, 0, v133
	v_lshlrev_b32_e32 v164, 2, v164
	s_delay_alu instid0(VALU_DEP_1) | instskip(NEXT) | instid1(VALU_DEP_1)
	v_or3_b32 v150, v164, v150, v165
	v_cndmask_b32_e32 v133, 0, v150, vcc_lo
.LBB4_4345:                             ;   in Loop: Header=BB4_3936 Depth=4
	s_or_b32 exec_lo, exec_lo, s35
.LBB4_4346:                             ;   in Loop: Header=BB4_3936 Depth=4
	s_delay_alu instid0(SALU_CYCLE_1) | instskip(SKIP_3) | instid1(VALU_DEP_1)
	s_or_b32 exec_lo, exec_lo, s34
	v_and_b32_e32 v163, 0xff, v131
	s_mov_b32 s13, 0
	s_mov_b32 s35, exec_lo
                                        ; implicit-def: $sgpr34
	v_cmpx_lt_i16_e64 0x7f, v163
	s_xor_b32 s35, exec_lo, s35
	s_cbranch_execnz .LBB4_4563
; %bb.4347:                             ;   in Loop: Header=BB4_3936 Depth=4
	s_or_saveexec_b32 s35, s35
	v_mov_b32_e32 v150, s34
	s_xor_b32 exec_lo, exec_lo, s35
	s_cbranch_execnz .LBB4_4566
.LBB4_4348:                             ;   in Loop: Header=BB4_3936 Depth=4
	s_or_b32 exec_lo, exec_lo, s35
	s_and_saveexec_b32 s34, s13
	s_cbranch_execz .LBB4_4350
.LBB4_4349:                             ;   in Loop: Header=BB4_3936 Depth=4
	v_and_b32_e32 v150, 3, v131
	v_lshrrev_b16 v165, 2, v131
	s_delay_alu instid0(VALU_DEP_2) | instskip(NEXT) | instid1(VALU_DEP_1)
	v_clz_i32_u32_e32 v163, v150
	v_min_u32_e32 v163, 32, v163
	s_delay_alu instid0(VALU_DEP_1) | instskip(SKIP_1) | instid1(VALU_DEP_2)
	v_subrev_nc_u32_e32 v164, 29, v163
	v_sub_nc_u32_e32 v163, 30, v163
	v_lshlrev_b32_e32 v164, v164, v131
	v_lshlrev_b32_e32 v131, 24, v131
	s_delay_alu instid0(VALU_DEP_2) | instskip(SKIP_1) | instid1(VALU_DEP_3)
	v_and_b32_e32 v164, 3, v164
	v_and_b32_e32 v165, 31, v165
	;; [unrolled: 1-line block ×3, first 2 shown]
	s_delay_alu instid0(VALU_DEP_2) | instskip(NEXT) | instid1(VALU_DEP_4)
	v_cmp_eq_u32_e32 vcc_lo, 0, v165
	v_dual_cndmask_b32 v150, v150, v164 :: v_dual_cndmask_b32 v163, v165, v163
	s_delay_alu instid0(VALU_DEP_1) | instskip(NEXT) | instid1(VALU_DEP_2)
	v_lshlrev_b32_e32 v150, 21, v150
	v_lshl_add_u32 v163, v163, 23, 0x37800000
	s_delay_alu instid0(VALU_DEP_1)
	v_or3_b32 v150, v131, v163, v150
.LBB4_4350:                             ;   in Loop: Header=BB4_3936 Depth=4
	s_or_b32 exec_lo, exec_lo, s34
	s_waitcnt vmcnt(2) lgkmcnt(2)
	v_and_b32_e32 v163, 0xff, v145
	s_mov_b32 s13, 0
	s_mov_b32 s35, exec_lo
                                        ; implicit-def: $sgpr34
	s_delay_alu instid0(VALU_DEP_1)
	v_cmpx_lt_i16_e64 0x7f, v163
	s_xor_b32 s35, exec_lo, s35
	s_cbranch_execnz .LBB4_4567
; %bb.4351:                             ;   in Loop: Header=BB4_3936 Depth=4
	s_or_saveexec_b32 s35, s35
	v_mov_b32_e32 v131, s34
	s_xor_b32 exec_lo, exec_lo, s35
	s_cbranch_execnz .LBB4_4570
.LBB4_4352:                             ;   in Loop: Header=BB4_3936 Depth=4
	s_or_b32 exec_lo, exec_lo, s35
	s_and_saveexec_b32 s34, s13
	s_cbranch_execz .LBB4_4354
.LBB4_4353:                             ;   in Loop: Header=BB4_3936 Depth=4
	v_and_b32_e32 v131, 3, v145
	v_lshrrev_b16 v165, 2, v145
	s_delay_alu instid0(VALU_DEP_2) | instskip(NEXT) | instid1(VALU_DEP_2)
	v_clz_i32_u32_e32 v163, v131
	v_and_b32_e32 v165, 31, v165
	s_delay_alu instid0(VALU_DEP_2) | instskip(NEXT) | instid1(VALU_DEP_2)
	v_min_u32_e32 v163, 32, v163
	v_cmp_eq_u32_e32 vcc_lo, 0, v165
	s_delay_alu instid0(VALU_DEP_2) | instskip(SKIP_1) | instid1(VALU_DEP_1)
	v_subrev_nc_u32_e32 v164, 29, v163
	v_sub_nc_u32_e32 v163, 30, v163
	v_dual_cndmask_b32 v163, v165, v163 :: v_dual_lshlrev_b32 v164, v164, v145
	v_lshlrev_b32_e32 v145, 24, v145
	s_delay_alu instid0(VALU_DEP_2) | instskip(NEXT) | instid1(VALU_DEP_3)
	v_and_b32_e32 v164, 3, v164
	v_lshl_add_u32 v163, v163, 23, 0x37800000
	s_delay_alu instid0(VALU_DEP_3) | instskip(NEXT) | instid1(VALU_DEP_3)
	v_and_b32_e32 v145, 0x80000000, v145
	v_cndmask_b32_e32 v131, v131, v164, vcc_lo
	s_delay_alu instid0(VALU_DEP_1) | instskip(NEXT) | instid1(VALU_DEP_1)
	v_lshlrev_b32_e32 v131, 21, v131
	v_or3_b32 v131, v145, v163, v131
.LBB4_4354:                             ;   in Loop: Header=BB4_3936 Depth=4
	s_or_b32 exec_lo, exec_lo, s34
	s_delay_alu instid0(VALU_DEP_1) | instskip(NEXT) | instid1(VALU_DEP_1)
	v_add_f32_e32 v145, v150, v131
	v_and_b32_e32 v131, 0x7f800000, v145
	s_delay_alu instid0(VALU_DEP_1)
	v_cmp_ne_u32_e32 vcc_lo, 0x7f800000, v131
	v_mov_b32_e32 v131, 0x80
	s_and_saveexec_b32 s34, vcc_lo
	s_cbranch_execz .LBB4_4362
; %bb.4355:                             ;   in Loop: Header=BB4_3936 Depth=4
	v_mov_b32_e32 v131, 0
	s_mov_b32 s35, exec_lo
	v_cmpx_ne_u32_e32 0, v145
	s_cbranch_execz .LBB4_4361
; %bb.4356:                             ;   in Loop: Header=BB4_3936 Depth=4
	v_bfe_u32 v131, v145, 23, 8
	s_delay_alu instid0(VALU_DEP_1) | instskip(SKIP_1) | instid1(VALU_DEP_2)
	v_sub_nc_u32_e32 v163, 0x70, v131
	v_cmp_gt_u32_e32 vcc_lo, 0x71, v131
	v_dual_cndmask_b32 v163, 0, v163 :: v_dual_and_b32 v150, 0x7fffff, v145
	s_delay_alu instid0(VALU_DEP_1) | instskip(SKIP_2) | instid1(VALU_DEP_4)
	v_or_b32_e32 v164, 0x800000, v150
	v_cmp_eq_u32_e32 vcc_lo, 0, v131
	v_add_nc_u32_e32 v131, 0xffffff91, v131
	v_cndmask_b32_e64 v163, v163, 0x6f, vcc_lo
	s_delay_alu instid0(VALU_DEP_4) | instskip(NEXT) | instid1(VALU_DEP_3)
	v_cndmask_b32_e32 v150, v164, v150, vcc_lo
	v_cndmask_b32_e64 v131, v131, 0xffffff92, vcc_lo
	s_delay_alu instid0(VALU_DEP_3) | instskip(NEXT) | instid1(VALU_DEP_3)
	v_lshl_add_u32 v164, 0x200000, v163, -1
	v_lshrrev_b32_e32 v165, v163, v150
	v_lshlrev_b32_e64 v167, v163, 0x100000
	s_delay_alu instid0(VALU_DEP_4) | instskip(NEXT) | instid1(VALU_DEP_4)
	v_add_nc_u32_e32 v163, v163, v131
	v_and_b32_e32 v150, v164, v150
	s_delay_alu instid0(VALU_DEP_4) | instskip(NEXT) | instid1(VALU_DEP_2)
	v_bfe_u32 v166, v165, 21, 1
	v_cmp_eq_u32_e64 s13, v150, v167
	s_delay_alu instid0(VALU_DEP_2) | instskip(NEXT) | instid1(VALU_DEP_1)
	v_add_nc_u32_e32 v164, -1, v166
	v_cndmask_b32_e64 v150, 0, v164, s13
	v_lshrrev_b32_e32 v164, 23, v165
	s_mov_b32 s13, exec_lo
	s_delay_alu instid0(VALU_DEP_2) | instskip(NEXT) | instid1(VALU_DEP_2)
	v_add_nc_u32_e32 v150, v150, v165
	v_xor_b32_e32 v164, 1, v164
	s_delay_alu instid0(VALU_DEP_2) | instskip(NEXT) | instid1(VALU_DEP_1)
	v_and_b32_e32 v131, 0x1fffff, v150
	v_add_nc_u32_e32 v150, v131, v165
                                        ; implicit-def: $vgpr131
	s_delay_alu instid0(VALU_DEP_3)
	v_cmpx_ne_u32_e64 v163, v164
	s_xor_b32 s13, exec_lo, s13
; %bb.4357:                             ;   in Loop: Header=BB4_3936 Depth=4
	s_delay_alu instid0(VALU_DEP_2) | instskip(SKIP_2) | instid1(VALU_DEP_2)
	v_cmp_lt_u32_e32 vcc_lo, 0xffffff, v150
	v_sub_nc_u32_e32 v131, v163, v164
	v_cndmask_b32_e64 v163, 0, 1, vcc_lo
	v_add_co_ci_u32_e32 v131, vcc_lo, 0, v131, vcc_lo
	s_delay_alu instid0(VALU_DEP_2)
	v_lshrrev_b32_e32 v150, v163, v150
; %bb.4358:                             ;   in Loop: Header=BB4_3936 Depth=4
	s_and_not1_saveexec_b32 s13, s13
; %bb.4359:                             ;   in Loop: Header=BB4_3936 Depth=4
	s_delay_alu instid0(VALU_DEP_1)
	v_bfe_u32 v131, v150, 23, 1
; %bb.4360:                             ;   in Loop: Header=BB4_3936 Depth=4
	s_or_b32 exec_lo, exec_lo, s13
	v_lshrrev_b32_e32 v150, 21, v150
	s_delay_alu instid0(VALU_DEP_2) | instskip(SKIP_2) | instid1(VALU_DEP_2)
	v_cmp_gt_i32_e32 vcc_lo, 32, v131
	v_lshrrev_b32_e32 v145, 24, v145
	v_min_i32_e32 v163, 31, v131
	v_dual_cndmask_b32 v150, 3, v150 :: v_dual_and_b32 v145, 0x80, v145
	s_delay_alu instid0(VALU_DEP_2) | instskip(NEXT) | instid1(VALU_DEP_2)
	v_lshlrev_b32_e32 v163, 2, v163
	v_or_b32_e32 v131, v131, v150
	s_delay_alu instid0(VALU_DEP_1) | instskip(SKIP_1) | instid1(VALU_DEP_1)
	v_cmp_ne_u32_e32 vcc_lo, 0, v131
	v_and_b32_e32 v164, 3, v150
	v_or3_b32 v145, v163, v145, v164
	s_delay_alu instid0(VALU_DEP_1)
	v_cndmask_b32_e32 v131, 0, v145, vcc_lo
.LBB4_4361:                             ;   in Loop: Header=BB4_3936 Depth=4
	s_or_b32 exec_lo, exec_lo, s35
.LBB4_4362:                             ;   in Loop: Header=BB4_3936 Depth=4
	s_delay_alu instid0(SALU_CYCLE_1) | instskip(SKIP_3) | instid1(VALU_DEP_1)
	s_or_b32 exec_lo, exec_lo, s34
	v_and_b32_e32 v150, 0xff, v69
	s_mov_b32 s13, 0
	s_mov_b32 s35, exec_lo
                                        ; implicit-def: $sgpr34
	v_cmpx_lt_i16_e64 0x7f, v150
	s_xor_b32 s35, exec_lo, s35
	s_cbranch_execnz .LBB4_4571
; %bb.4363:                             ;   in Loop: Header=BB4_3936 Depth=4
	s_or_saveexec_b32 s35, s35
	v_mov_b32_e32 v145, s34
	s_xor_b32 exec_lo, exec_lo, s35
	s_cbranch_execnz .LBB4_4574
.LBB4_4364:                             ;   in Loop: Header=BB4_3936 Depth=4
	s_or_b32 exec_lo, exec_lo, s35
	s_and_saveexec_b32 s34, s13
	s_cbranch_execz .LBB4_4366
.LBB4_4365:                             ;   in Loop: Header=BB4_3936 Depth=4
	v_lshrrev_b16 v164, 2, v69
	s_delay_alu instid0(VALU_DEP_1) | instskip(NEXT) | instid1(VALU_DEP_1)
	v_and_b32_e32 v164, 31, v164
	v_cmp_eq_u32_e32 vcc_lo, 0, v164
	v_and_b32_e32 v145, 3, v69
	s_delay_alu instid0(VALU_DEP_1) | instskip(NEXT) | instid1(VALU_DEP_1)
	v_clz_i32_u32_e32 v150, v145
	v_min_u32_e32 v150, 32, v150
	s_delay_alu instid0(VALU_DEP_1) | instskip(SKIP_1) | instid1(VALU_DEP_1)
	v_subrev_nc_u32_e32 v163, 29, v150
	v_sub_nc_u32_e32 v150, 30, v150
	v_dual_cndmask_b32 v150, v164, v150 :: v_dual_lshlrev_b32 v163, v163, v69
	v_lshlrev_b32_e32 v69, 24, v69
	s_delay_alu instid0(VALU_DEP_2) | instskip(NEXT) | instid1(VALU_DEP_3)
	v_and_b32_e32 v163, 3, v163
	v_lshl_add_u32 v150, v150, 23, 0x37800000
	s_delay_alu instid0(VALU_DEP_3) | instskip(NEXT) | instid1(VALU_DEP_3)
	v_and_b32_e32 v69, 0x80000000, v69
	v_cndmask_b32_e32 v145, v145, v163, vcc_lo
	s_delay_alu instid0(VALU_DEP_1) | instskip(NEXT) | instid1(VALU_DEP_1)
	v_lshlrev_b32_e32 v145, 21, v145
	v_or3_b32 v145, v69, v150, v145
.LBB4_4366:                             ;   in Loop: Header=BB4_3936 Depth=4
	s_or_b32 exec_lo, exec_lo, s34
	s_waitcnt vmcnt(1) lgkmcnt(1)
	v_and_b32_e32 v150, 0xff, v132
	s_mov_b32 s13, 0
	s_mov_b32 s35, exec_lo
                                        ; implicit-def: $sgpr34
	s_delay_alu instid0(VALU_DEP_1)
	v_cmpx_lt_i16_e64 0x7f, v150
	s_xor_b32 s35, exec_lo, s35
	s_cbranch_execnz .LBB4_4575
; %bb.4367:                             ;   in Loop: Header=BB4_3936 Depth=4
	s_or_saveexec_b32 s35, s35
	v_mov_b32_e32 v69, s34
	s_xor_b32 exec_lo, exec_lo, s35
	s_cbranch_execnz .LBB4_4578
.LBB4_4368:                             ;   in Loop: Header=BB4_3936 Depth=4
	s_or_b32 exec_lo, exec_lo, s35
	s_and_saveexec_b32 s34, s13
	s_cbranch_execz .LBB4_4370
.LBB4_4369:                             ;   in Loop: Header=BB4_3936 Depth=4
	v_lshrrev_b16 v164, 2, v132
	s_delay_alu instid0(VALU_DEP_1) | instskip(NEXT) | instid1(VALU_DEP_1)
	v_and_b32_e32 v164, 31, v164
	v_cmp_eq_u32_e32 vcc_lo, 0, v164
	v_and_b32_e32 v69, 3, v132
	s_delay_alu instid0(VALU_DEP_1) | instskip(NEXT) | instid1(VALU_DEP_1)
	v_clz_i32_u32_e32 v150, v69
	v_min_u32_e32 v150, 32, v150
	s_delay_alu instid0(VALU_DEP_1) | instskip(SKIP_1) | instid1(VALU_DEP_1)
	v_subrev_nc_u32_e32 v163, 29, v150
	v_sub_nc_u32_e32 v150, 30, v150
	v_dual_cndmask_b32 v150, v164, v150 :: v_dual_lshlrev_b32 v163, v163, v132
	v_lshlrev_b32_e32 v132, 24, v132
	s_delay_alu instid0(VALU_DEP_2) | instskip(NEXT) | instid1(VALU_DEP_3)
	v_and_b32_e32 v163, 3, v163
	v_lshl_add_u32 v150, v150, 23, 0x37800000
	s_delay_alu instid0(VALU_DEP_2) | instskip(NEXT) | instid1(VALU_DEP_1)
	v_dual_cndmask_b32 v69, v69, v163 :: v_dual_and_b32 v132, 0x80000000, v132
	v_lshlrev_b32_e32 v69, 21, v69
	s_delay_alu instid0(VALU_DEP_1)
	v_or3_b32 v69, v132, v150, v69
.LBB4_4370:                             ;   in Loop: Header=BB4_3936 Depth=4
	s_or_b32 exec_lo, exec_lo, s34
	s_delay_alu instid0(VALU_DEP_1) | instskip(NEXT) | instid1(VALU_DEP_1)
	v_add_f32_e32 v132, v145, v69
	v_and_b32_e32 v69, 0x7f800000, v132
	s_delay_alu instid0(VALU_DEP_1)
	v_cmp_ne_u32_e32 vcc_lo, 0x7f800000, v69
	v_mov_b32_e32 v69, 0x80
	s_and_saveexec_b32 s34, vcc_lo
	s_cbranch_execz .LBB4_4378
; %bb.4371:                             ;   in Loop: Header=BB4_3936 Depth=4
	v_mov_b32_e32 v69, 0
	s_mov_b32 s35, exec_lo
	v_cmpx_ne_u32_e32 0, v132
	s_cbranch_execz .LBB4_4377
; %bb.4372:                             ;   in Loop: Header=BB4_3936 Depth=4
	v_bfe_u32 v69, v132, 23, 8
	s_delay_alu instid0(VALU_DEP_1) | instskip(SKIP_1) | instid1(VALU_DEP_2)
	v_sub_nc_u32_e32 v150, 0x70, v69
	v_cmp_gt_u32_e32 vcc_lo, 0x71, v69
	v_dual_cndmask_b32 v150, 0, v150 :: v_dual_and_b32 v145, 0x7fffff, v132
	s_delay_alu instid0(VALU_DEP_1) | instskip(SKIP_2) | instid1(VALU_DEP_4)
	v_or_b32_e32 v163, 0x800000, v145
	v_cmp_eq_u32_e32 vcc_lo, 0, v69
	v_add_nc_u32_e32 v69, 0xffffff91, v69
	v_cndmask_b32_e64 v150, v150, 0x6f, vcc_lo
	s_delay_alu instid0(VALU_DEP_4) | instskip(NEXT) | instid1(VALU_DEP_3)
	v_cndmask_b32_e32 v145, v163, v145, vcc_lo
	v_cndmask_b32_e64 v69, v69, 0xffffff92, vcc_lo
	s_delay_alu instid0(VALU_DEP_3) | instskip(NEXT) | instid1(VALU_DEP_3)
	v_lshl_add_u32 v163, 0x200000, v150, -1
	v_lshrrev_b32_e32 v164, v150, v145
	v_lshlrev_b32_e64 v166, v150, 0x100000
	s_delay_alu instid0(VALU_DEP_4) | instskip(NEXT) | instid1(VALU_DEP_4)
	v_add_nc_u32_e32 v150, v150, v69
	v_and_b32_e32 v145, v163, v145
	s_delay_alu instid0(VALU_DEP_4) | instskip(NEXT) | instid1(VALU_DEP_2)
	v_bfe_u32 v165, v164, 21, 1
	v_cmp_eq_u32_e64 s13, v145, v166
	s_delay_alu instid0(VALU_DEP_2) | instskip(NEXT) | instid1(VALU_DEP_1)
	v_add_nc_u32_e32 v163, -1, v165
	v_cndmask_b32_e64 v145, 0, v163, s13
	v_lshrrev_b32_e32 v163, 23, v164
	s_mov_b32 s13, exec_lo
	s_delay_alu instid0(VALU_DEP_2) | instskip(NEXT) | instid1(VALU_DEP_2)
	v_add_nc_u32_e32 v145, v145, v164
	v_xor_b32_e32 v163, 1, v163
	s_delay_alu instid0(VALU_DEP_2) | instskip(NEXT) | instid1(VALU_DEP_1)
	v_and_b32_e32 v69, 0x1fffff, v145
	v_add_nc_u32_e32 v145, v69, v164
                                        ; implicit-def: $vgpr69
	s_delay_alu instid0(VALU_DEP_3)
	v_cmpx_ne_u32_e64 v150, v163
	s_xor_b32 s13, exec_lo, s13
; %bb.4373:                             ;   in Loop: Header=BB4_3936 Depth=4
	s_delay_alu instid0(VALU_DEP_2) | instskip(SKIP_2) | instid1(VALU_DEP_2)
	v_cmp_lt_u32_e32 vcc_lo, 0xffffff, v145
	v_sub_nc_u32_e32 v69, v150, v163
	v_cndmask_b32_e64 v150, 0, 1, vcc_lo
	v_add_co_ci_u32_e32 v69, vcc_lo, 0, v69, vcc_lo
	s_delay_alu instid0(VALU_DEP_2)
	v_lshrrev_b32_e32 v145, v150, v145
; %bb.4374:                             ;   in Loop: Header=BB4_3936 Depth=4
	s_and_not1_saveexec_b32 s13, s13
; %bb.4375:                             ;   in Loop: Header=BB4_3936 Depth=4
	s_delay_alu instid0(VALU_DEP_1)
	v_bfe_u32 v69, v145, 23, 1
; %bb.4376:                             ;   in Loop: Header=BB4_3936 Depth=4
	s_or_b32 exec_lo, exec_lo, s13
	v_lshrrev_b32_e32 v145, 21, v145
	s_delay_alu instid0(VALU_DEP_2) | instskip(SKIP_2) | instid1(VALU_DEP_2)
	v_cmp_gt_i32_e32 vcc_lo, 32, v69
	v_lshrrev_b32_e32 v132, 24, v132
	v_min_i32_e32 v150, 31, v69
	v_dual_cndmask_b32 v145, 3, v145 :: v_dual_and_b32 v132, 0x80, v132
	s_delay_alu instid0(VALU_DEP_1) | instskip(SKIP_1) | instid1(VALU_DEP_2)
	v_or_b32_e32 v69, v69, v145
	v_and_b32_e32 v163, 3, v145
	v_cmp_ne_u32_e32 vcc_lo, 0, v69
	v_lshlrev_b32_e32 v150, 2, v150
	s_delay_alu instid0(VALU_DEP_1) | instskip(NEXT) | instid1(VALU_DEP_1)
	v_or3_b32 v132, v150, v132, v163
	v_cndmask_b32_e32 v69, 0, v132, vcc_lo
.LBB4_4377:                             ;   in Loop: Header=BB4_3936 Depth=4
	s_or_b32 exec_lo, exec_lo, s35
.LBB4_4378:                             ;   in Loop: Header=BB4_3936 Depth=4
	s_delay_alu instid0(SALU_CYCLE_1) | instskip(SKIP_3) | instid1(VALU_DEP_1)
	s_or_b32 exec_lo, exec_lo, s34
	v_and_b32_e32 v145, 0xff, v15
	s_mov_b32 s13, 0
	s_mov_b32 s35, exec_lo
                                        ; implicit-def: $sgpr34
	v_cmpx_lt_i16_e64 0x7f, v145
	s_xor_b32 s35, exec_lo, s35
	s_cbranch_execnz .LBB4_4579
; %bb.4379:                             ;   in Loop: Header=BB4_3936 Depth=4
	s_or_saveexec_b32 s35, s35
	v_mov_b32_e32 v132, s34
	s_xor_b32 exec_lo, exec_lo, s35
	s_cbranch_execnz .LBB4_4582
.LBB4_4380:                             ;   in Loop: Header=BB4_3936 Depth=4
	s_or_b32 exec_lo, exec_lo, s35
	s_and_saveexec_b32 s34, s13
	s_cbranch_execz .LBB4_4382
.LBB4_4381:                             ;   in Loop: Header=BB4_3936 Depth=4
	v_lshrrev_b16 v163, 2, v15
	s_delay_alu instid0(VALU_DEP_1) | instskip(NEXT) | instid1(VALU_DEP_1)
	v_and_b32_e32 v163, 31, v163
	v_cmp_eq_u32_e32 vcc_lo, 0, v163
	v_and_b32_e32 v132, 3, v15
	s_delay_alu instid0(VALU_DEP_1) | instskip(NEXT) | instid1(VALU_DEP_1)
	v_clz_i32_u32_e32 v145, v132
	v_min_u32_e32 v145, 32, v145
	s_delay_alu instid0(VALU_DEP_1) | instskip(SKIP_1) | instid1(VALU_DEP_1)
	v_subrev_nc_u32_e32 v150, 29, v145
	v_sub_nc_u32_e32 v145, 30, v145
	v_dual_cndmask_b32 v145, v163, v145 :: v_dual_lshlrev_b32 v150, v150, v15
	v_lshlrev_b32_e32 v15, 24, v15
	s_delay_alu instid0(VALU_DEP_2) | instskip(NEXT) | instid1(VALU_DEP_3)
	v_and_b32_e32 v150, 3, v150
	v_lshl_add_u32 v145, v145, 23, 0x37800000
	s_delay_alu instid0(VALU_DEP_2) | instskip(NEXT) | instid1(VALU_DEP_1)
	v_dual_cndmask_b32 v132, v132, v150 :: v_dual_and_b32 v15, 0x80000000, v15
	v_lshlrev_b32_e32 v132, 21, v132
	s_delay_alu instid0(VALU_DEP_1)
	v_or3_b32 v132, v15, v145, v132
.LBB4_4382:                             ;   in Loop: Header=BB4_3936 Depth=4
	s_or_b32 exec_lo, exec_lo, s34
	s_waitcnt vmcnt(0) lgkmcnt(0)
	v_and_b32_e32 v145, 0xff, v14
	s_mov_b32 s13, 0
	s_mov_b32 s35, exec_lo
                                        ; implicit-def: $sgpr34
	s_delay_alu instid0(VALU_DEP_1)
	v_cmpx_lt_i16_e64 0x7f, v145
	s_xor_b32 s35, exec_lo, s35
	s_cbranch_execnz .LBB4_4583
; %bb.4383:                             ;   in Loop: Header=BB4_3936 Depth=4
	s_or_saveexec_b32 s35, s35
	v_mov_b32_e32 v15, s34
	s_xor_b32 exec_lo, exec_lo, s35
	s_cbranch_execnz .LBB4_4586
.LBB4_4384:                             ;   in Loop: Header=BB4_3936 Depth=4
	s_or_b32 exec_lo, exec_lo, s35
	s_and_saveexec_b32 s34, s13
	s_cbranch_execz .LBB4_4386
.LBB4_4385:                             ;   in Loop: Header=BB4_3936 Depth=4
	v_and_b32_e32 v15, 3, v14
	v_lshrrev_b16 v163, 2, v14
	s_delay_alu instid0(VALU_DEP_2) | instskip(NEXT) | instid1(VALU_DEP_2)
	v_clz_i32_u32_e32 v145, v15
	v_and_b32_e32 v163, 31, v163
	s_delay_alu instid0(VALU_DEP_2) | instskip(NEXT) | instid1(VALU_DEP_2)
	v_min_u32_e32 v145, 32, v145
	v_cmp_eq_u32_e32 vcc_lo, 0, v163
	s_delay_alu instid0(VALU_DEP_2) | instskip(SKIP_1) | instid1(VALU_DEP_1)
	v_subrev_nc_u32_e32 v150, 29, v145
	v_sub_nc_u32_e32 v145, 30, v145
	v_dual_cndmask_b32 v145, v163, v145 :: v_dual_lshlrev_b32 v150, v150, v14
	v_lshlrev_b32_e32 v14, 24, v14
	s_delay_alu instid0(VALU_DEP_2) | instskip(NEXT) | instid1(VALU_DEP_3)
	v_and_b32_e32 v150, 3, v150
	v_lshl_add_u32 v145, v145, 23, 0x37800000
	s_delay_alu instid0(VALU_DEP_3) | instskip(NEXT) | instid1(VALU_DEP_3)
	v_and_b32_e32 v14, 0x80000000, v14
	v_cndmask_b32_e32 v15, v15, v150, vcc_lo
	s_delay_alu instid0(VALU_DEP_1) | instskip(NEXT) | instid1(VALU_DEP_1)
	v_lshlrev_b32_e32 v15, 21, v15
	v_or3_b32 v15, v14, v145, v15
.LBB4_4386:                             ;   in Loop: Header=BB4_3936 Depth=4
	s_or_b32 exec_lo, exec_lo, s34
	s_delay_alu instid0(VALU_DEP_1) | instskip(NEXT) | instid1(VALU_DEP_1)
	v_add_f32_e32 v15, v132, v15
	v_and_b32_e32 v14, 0x7f800000, v15
	s_delay_alu instid0(VALU_DEP_1)
	v_cmp_ne_u32_e32 vcc_lo, 0x7f800000, v14
	v_mov_b32_e32 v14, 0x80
	s_and_saveexec_b32 s34, vcc_lo
	s_cbranch_execz .LBB4_4394
; %bb.4387:                             ;   in Loop: Header=BB4_3936 Depth=4
	v_mov_b32_e32 v14, 0
	s_mov_b32 s35, exec_lo
	v_cmpx_ne_u32_e32 0, v15
	s_cbranch_execz .LBB4_4393
; %bb.4388:                             ;   in Loop: Header=BB4_3936 Depth=4
	v_bfe_u32 v14, v15, 23, 8
	s_delay_alu instid0(VALU_DEP_1) | instskip(SKIP_1) | instid1(VALU_DEP_2)
	v_sub_nc_u32_e32 v145, 0x70, v14
	v_cmp_gt_u32_e32 vcc_lo, 0x71, v14
	v_dual_cndmask_b32 v145, 0, v145 :: v_dual_and_b32 v132, 0x7fffff, v15
	s_delay_alu instid0(VALU_DEP_1) | instskip(SKIP_2) | instid1(VALU_DEP_4)
	v_or_b32_e32 v150, 0x800000, v132
	v_cmp_eq_u32_e32 vcc_lo, 0, v14
	v_add_nc_u32_e32 v14, 0xffffff91, v14
	v_cndmask_b32_e64 v145, v145, 0x6f, vcc_lo
	s_delay_alu instid0(VALU_DEP_2) | instskip(SKIP_1) | instid1(VALU_DEP_3)
	v_cndmask_b32_e64 v14, v14, 0xffffff92, vcc_lo
	v_cndmask_b32_e32 v132, v150, v132, vcc_lo
	v_lshl_add_u32 v150, 0x200000, v145, -1
	v_lshlrev_b32_e64 v165, v145, 0x100000
	s_delay_alu instid0(VALU_DEP_3) | instskip(SKIP_1) | instid1(VALU_DEP_4)
	v_lshrrev_b32_e32 v163, v145, v132
	v_add_nc_u32_e32 v145, v145, v14
	v_and_b32_e32 v132, v150, v132
	s_delay_alu instid0(VALU_DEP_3) | instskip(NEXT) | instid1(VALU_DEP_2)
	v_bfe_u32 v164, v163, 21, 1
	v_cmp_eq_u32_e64 s13, v132, v165
	s_delay_alu instid0(VALU_DEP_2) | instskip(NEXT) | instid1(VALU_DEP_1)
	v_add_nc_u32_e32 v150, -1, v164
	v_cndmask_b32_e64 v132, 0, v150, s13
	v_lshrrev_b32_e32 v150, 23, v163
	s_mov_b32 s13, exec_lo
	s_delay_alu instid0(VALU_DEP_2) | instskip(NEXT) | instid1(VALU_DEP_2)
	v_add_nc_u32_e32 v132, v132, v163
	v_xor_b32_e32 v150, 1, v150
	s_delay_alu instid0(VALU_DEP_2) | instskip(NEXT) | instid1(VALU_DEP_1)
	v_and_b32_e32 v14, 0x1fffff, v132
	v_add_nc_u32_e32 v132, v14, v163
                                        ; implicit-def: $vgpr14
	s_delay_alu instid0(VALU_DEP_3)
	v_cmpx_ne_u32_e64 v145, v150
	s_xor_b32 s13, exec_lo, s13
; %bb.4389:                             ;   in Loop: Header=BB4_3936 Depth=4
	s_delay_alu instid0(VALU_DEP_2) | instskip(SKIP_2) | instid1(VALU_DEP_2)
	v_cmp_lt_u32_e32 vcc_lo, 0xffffff, v132
	v_sub_nc_u32_e32 v14, v145, v150
	v_cndmask_b32_e64 v145, 0, 1, vcc_lo
	v_add_co_ci_u32_e32 v14, vcc_lo, 0, v14, vcc_lo
	s_delay_alu instid0(VALU_DEP_2)
	v_lshrrev_b32_e32 v132, v145, v132
; %bb.4390:                             ;   in Loop: Header=BB4_3936 Depth=4
	s_and_not1_saveexec_b32 s13, s13
; %bb.4391:                             ;   in Loop: Header=BB4_3936 Depth=4
	s_delay_alu instid0(VALU_DEP_1)
	v_bfe_u32 v14, v132, 23, 1
; %bb.4392:                             ;   in Loop: Header=BB4_3936 Depth=4
	s_or_b32 exec_lo, exec_lo, s13
	v_lshrrev_b32_e32 v132, 21, v132
	s_delay_alu instid0(VALU_DEP_2) | instskip(SKIP_2) | instid1(VALU_DEP_2)
	v_cmp_gt_i32_e32 vcc_lo, 32, v14
	v_lshrrev_b32_e32 v15, 24, v15
	v_min_i32_e32 v145, 31, v14
	v_dual_cndmask_b32 v132, 3, v132 :: v_dual_and_b32 v15, 0x80, v15
	s_delay_alu instid0(VALU_DEP_1) | instskip(SKIP_1) | instid1(VALU_DEP_2)
	v_or_b32_e32 v14, v14, v132
	v_and_b32_e32 v150, 3, v132
	v_cmp_ne_u32_e32 vcc_lo, 0, v14
	v_lshlrev_b32_e32 v145, 2, v145
	s_delay_alu instid0(VALU_DEP_1) | instskip(NEXT) | instid1(VALU_DEP_1)
	v_or3_b32 v15, v145, v15, v150
	v_cndmask_b32_e32 v14, 0, v15, vcc_lo
.LBB4_4393:                             ;   in Loop: Header=BB4_3936 Depth=4
	s_or_b32 exec_lo, exec_lo, s35
.LBB4_4394:                             ;   in Loop: Header=BB4_3936 Depth=4
	s_delay_alu instid0(SALU_CYCLE_1)
	s_or_b32 exec_lo, exec_lo, s34
	v_add_co_u32 v163, vcc_lo, 0xfffffe20, v12
	v_add_co_ci_u32_e32 v164, vcc_lo, -1, v13, vcc_lo
	v_add_co_u32 v165, vcc_lo, 0xfffffe40, v12
	v_add_co_ci_u32_e32 v166, vcc_lo, -1, v13, vcc_lo
	;; [unrolled: 2-line block ×5, first 2 shown]
	flat_store_b8 v[163:164], v68 glc slc dlc
	flat_store_b8 v[165:166], v134 glc slc dlc
	;; [unrolled: 1-line block ×5, first 2 shown]
	v_add_co_u32 v161, vcc_lo, 0xfffffec0, v12
	v_add_co_ci_u32_e32 v162, vcc_lo, -1, v13, vcc_lo
	v_add_co_u32 v163, vcc_lo, 0xfffffee0, v12
	v_add_co_ci_u32_e32 v164, vcc_lo, -1, v13, vcc_lo
	;; [unrolled: 2-line block ×5, first 2 shown]
	v_add_co_u32 v145, vcc_lo, 0xffffff60, v12
	flat_store_b8 v[161:162], v160 glc slc dlc
	flat_store_b8 v[163:164], v151 glc slc dlc
	;; [unrolled: 1-line block ×5, first 2 shown]
	v_add_co_ci_u32_e32 v146, vcc_lo, -1, v13, vcc_lo
	v_add_co_u32 v147, vcc_lo, 0xffffff80, v12
	v_add_co_ci_u32_e32 v148, vcc_lo, -1, v13, vcc_lo
	v_add_co_u32 v149, vcc_lo, 0xffffffa0, v12
	v_add_co_ci_u32_e32 v150, vcc_lo, -1, v13, vcc_lo
	v_add_co_u32 v160, vcc_lo, 0xffffffc0, v12
	v_add_co_ci_u32_e32 v161, vcc_lo, -1, v13, vcc_lo
	v_add_co_u32 v162, vcc_lo, 0xffffffe0, v12
	v_add_co_ci_u32_e32 v163, vcc_lo, -1, v13, vcc_lo
	v_add_co_u32 v8, vcc_lo, v8, v101
	v_sub_nc_u32_e32 v2, v2, v81
	v_add_co_ci_u32_e32 v9, vcc_lo, v9, v102, vcc_lo
	v_add_co_u32 v10, vcc_lo, v10, v101
	v_add_co_ci_u32_e32 v11, vcc_lo, v11, v102, vcc_lo
	flat_store_b8 v[145:146], v144 glc slc dlc
	flat_store_b8 v[147:148], v135 glc slc dlc
	;; [unrolled: 1-line block ×6, first 2 shown]
	v_cmp_gt_i32_e32 vcc_lo, 1, v2
	v_add_co_u32 v12, s13, v12, v101
	s_delay_alu instid0(VALU_DEP_1) | instskip(SKIP_1) | instid1(SALU_CYCLE_1)
	v_add_co_ci_u32_e64 v13, s13, v13, v102, s13
	s_or_b32 s31, vcc_lo, s31
	s_and_not1_b32 exec_lo, exec_lo, s31
	s_cbranch_execnz .LBB4_3936
	s_branch .LBB4_4587
.LBB4_4395:                             ;   in Loop: Header=BB4_3936 Depth=4
	s_mov_b32 s13, -1
	s_mov_b32 s36, exec_lo
                                        ; implicit-def: $sgpr34
	v_cmpx_eq_u16_e32 0x80, v14
; %bb.4396:                             ;   in Loop: Header=BB4_3936 Depth=4
	s_mov_b32 s34, 0x7f800001
	s_xor_b32 s13, exec_lo, -1
; %bb.4397:                             ;   in Loop: Header=BB4_3936 Depth=4
	s_or_b32 exec_lo, exec_lo, s36
	s_delay_alu instid0(SALU_CYCLE_1)
	s_and_b32 s13, s13, exec_lo
	s_or_saveexec_b32 s35, s35
	v_mov_b32_e32 v68, s34
	s_xor_b32 exec_lo, exec_lo, s35
	s_cbranch_execz .LBB4_3948
.LBB4_4398:                             ;   in Loop: Header=BB4_3936 Depth=4
	v_cmp_ne_u16_e32 vcc_lo, 0, v14
	v_mov_b32_e32 v68, 0
	s_and_not1_b32 s13, s13, exec_lo
	s_and_b32 vcc_lo, vcc_lo, exec_lo
	s_delay_alu instid0(SALU_CYCLE_1)
	s_or_b32 s13, s13, vcc_lo
	s_or_b32 exec_lo, exec_lo, s35
	s_and_saveexec_b32 s34, s13
	s_cbranch_execnz .LBB4_3949
	s_branch .LBB4_3950
.LBB4_4399:                             ;   in Loop: Header=BB4_3936 Depth=4
	s_mov_b32 s13, -1
	s_mov_b32 s36, exec_lo
                                        ; implicit-def: $sgpr34
	v_cmpx_eq_u16_e32 0x80, v14
; %bb.4400:                             ;   in Loop: Header=BB4_3936 Depth=4
	s_mov_b32 s34, 0x7f800001
	s_xor_b32 s13, exec_lo, -1
; %bb.4401:                             ;   in Loop: Header=BB4_3936 Depth=4
	s_or_b32 exec_lo, exec_lo, s36
	s_delay_alu instid0(SALU_CYCLE_1)
	s_and_b32 s13, s13, exec_lo
	s_or_saveexec_b32 s35, s35
	v_mov_b32_e32 v69, s34
	s_xor_b32 exec_lo, exec_lo, s35
	s_cbranch_execz .LBB4_3960
.LBB4_4402:                             ;   in Loop: Header=BB4_3936 Depth=4
	v_cmp_ne_u16_e32 vcc_lo, 0, v14
	v_mov_b32_e32 v69, 0
	s_and_not1_b32 s13, s13, exec_lo
	s_and_b32 vcc_lo, vcc_lo, exec_lo
	s_delay_alu instid0(SALU_CYCLE_1)
	s_or_b32 s13, s13, vcc_lo
	s_or_b32 exec_lo, exec_lo, s35
	s_and_saveexec_b32 s34, s13
	s_cbranch_execnz .LBB4_3961
	s_branch .LBB4_3962
.LBB4_4403:                             ;   in Loop: Header=BB4_3936 Depth=4
	s_mov_b32 s13, -1
	s_mov_b32 s36, exec_lo
                                        ; implicit-def: $sgpr34
	v_cmpx_eq_u16_e32 0x80, v14
; %bb.4404:                             ;   in Loop: Header=BB4_3936 Depth=4
	s_mov_b32 s34, 0x7f800001
	s_xor_b32 s13, exec_lo, -1
; %bb.4405:                             ;   in Loop: Header=BB4_3936 Depth=4
	s_or_b32 exec_lo, exec_lo, s36
	s_delay_alu instid0(SALU_CYCLE_1)
	s_and_b32 s13, s13, exec_lo
	s_or_saveexec_b32 s35, s35
	v_mov_b32_e32 v69, s34
	s_xor_b32 exec_lo, exec_lo, s35
	s_cbranch_execz .LBB4_3972
.LBB4_4406:                             ;   in Loop: Header=BB4_3936 Depth=4
	v_cmp_ne_u16_e32 vcc_lo, 0, v14
	v_mov_b32_e32 v69, 0
	s_and_not1_b32 s13, s13, exec_lo
	s_and_b32 vcc_lo, vcc_lo, exec_lo
	s_delay_alu instid0(SALU_CYCLE_1)
	s_or_b32 s13, s13, vcc_lo
	s_or_b32 exec_lo, exec_lo, s35
	s_and_saveexec_b32 s34, s13
	s_cbranch_execnz .LBB4_3973
	s_branch .LBB4_3974
.LBB4_4407:                             ;   in Loop: Header=BB4_3936 Depth=4
	s_mov_b32 s13, -1
	s_mov_b32 s36, exec_lo
                                        ; implicit-def: $sgpr34
	v_cmpx_eq_u16_e32 0x80, v14
; %bb.4408:                             ;   in Loop: Header=BB4_3936 Depth=4
	s_mov_b32 s34, 0x7f800001
	s_xor_b32 s13, exec_lo, -1
; %bb.4409:                             ;   in Loop: Header=BB4_3936 Depth=4
	s_or_b32 exec_lo, exec_lo, s36
	s_delay_alu instid0(SALU_CYCLE_1)
	s_and_b32 s13, s13, exec_lo
	s_or_saveexec_b32 s35, s35
	v_mov_b32_e32 v69, s34
	s_xor_b32 exec_lo, exec_lo, s35
	s_cbranch_execz .LBB4_3984
.LBB4_4410:                             ;   in Loop: Header=BB4_3936 Depth=4
	v_cmp_ne_u16_e32 vcc_lo, 0, v14
	v_mov_b32_e32 v69, 0
	s_and_not1_b32 s13, s13, exec_lo
	s_and_b32 vcc_lo, vcc_lo, exec_lo
	s_delay_alu instid0(SALU_CYCLE_1)
	s_or_b32 s13, s13, vcc_lo
	s_or_b32 exec_lo, exec_lo, s35
	s_and_saveexec_b32 s34, s13
	s_cbranch_execnz .LBB4_3985
	s_branch .LBB4_3986
.LBB4_4411:                             ;   in Loop: Header=BB4_3936 Depth=4
	s_mov_b32 s13, -1
	s_mov_b32 s36, exec_lo
                                        ; implicit-def: $sgpr34
	v_cmpx_eq_u16_e32 0x80, v14
; %bb.4412:                             ;   in Loop: Header=BB4_3936 Depth=4
	s_mov_b32 s34, 0x7f800001
	s_xor_b32 s13, exec_lo, -1
; %bb.4413:                             ;   in Loop: Header=BB4_3936 Depth=4
	s_or_b32 exec_lo, exec_lo, s36
	s_delay_alu instid0(SALU_CYCLE_1)
	s_and_b32 s13, s13, exec_lo
	s_or_saveexec_b32 s35, s35
	v_mov_b32_e32 v69, s34
	s_xor_b32 exec_lo, exec_lo, s35
	s_cbranch_execz .LBB4_3996
.LBB4_4414:                             ;   in Loop: Header=BB4_3936 Depth=4
	v_cmp_ne_u16_e32 vcc_lo, 0, v14
	v_mov_b32_e32 v69, 0
	s_and_not1_b32 s13, s13, exec_lo
	s_and_b32 vcc_lo, vcc_lo, exec_lo
	s_delay_alu instid0(SALU_CYCLE_1)
	s_or_b32 s13, s13, vcc_lo
	s_or_b32 exec_lo, exec_lo, s35
	s_and_saveexec_b32 s34, s13
	s_cbranch_execnz .LBB4_3997
	s_branch .LBB4_3998
.LBB4_4415:                             ;   in Loop: Header=BB4_3936 Depth=4
	s_mov_b32 s13, -1
	s_mov_b32 s36, exec_lo
                                        ; implicit-def: $sgpr34
	v_cmpx_eq_u16_e32 0x80, v14
; %bb.4416:                             ;   in Loop: Header=BB4_3936 Depth=4
	s_mov_b32 s34, 0x7f800001
	s_xor_b32 s13, exec_lo, -1
; %bb.4417:                             ;   in Loop: Header=BB4_3936 Depth=4
	s_or_b32 exec_lo, exec_lo, s36
	s_delay_alu instid0(SALU_CYCLE_1)
	s_and_b32 s13, s13, exec_lo
	s_or_saveexec_b32 s35, s35
	v_mov_b32_e32 v69, s34
	s_xor_b32 exec_lo, exec_lo, s35
	s_cbranch_execz .LBB4_4008
.LBB4_4418:                             ;   in Loop: Header=BB4_3936 Depth=4
	v_cmp_ne_u16_e32 vcc_lo, 0, v14
	v_mov_b32_e32 v69, 0
	s_and_not1_b32 s13, s13, exec_lo
	s_and_b32 vcc_lo, vcc_lo, exec_lo
	s_delay_alu instid0(SALU_CYCLE_1)
	s_or_b32 s13, s13, vcc_lo
	s_or_b32 exec_lo, exec_lo, s35
	s_and_saveexec_b32 s34, s13
	s_cbranch_execnz .LBB4_4009
	s_branch .LBB4_4010
.LBB4_4419:                             ;   in Loop: Header=BB4_3936 Depth=4
	s_mov_b32 s13, -1
	s_mov_b32 s36, exec_lo
                                        ; implicit-def: $sgpr34
	v_cmpx_eq_u16_e32 0x80, v14
; %bb.4420:                             ;   in Loop: Header=BB4_3936 Depth=4
	s_mov_b32 s34, 0x7f800001
	s_xor_b32 s13, exec_lo, -1
; %bb.4421:                             ;   in Loop: Header=BB4_3936 Depth=4
	s_or_b32 exec_lo, exec_lo, s36
	s_delay_alu instid0(SALU_CYCLE_1)
	s_and_b32 s13, s13, exec_lo
	s_or_saveexec_b32 s35, s35
	v_mov_b32_e32 v69, s34
	s_xor_b32 exec_lo, exec_lo, s35
	s_cbranch_execz .LBB4_4020
.LBB4_4422:                             ;   in Loop: Header=BB4_3936 Depth=4
	v_cmp_ne_u16_e32 vcc_lo, 0, v14
	v_mov_b32_e32 v69, 0
	s_and_not1_b32 s13, s13, exec_lo
	s_and_b32 vcc_lo, vcc_lo, exec_lo
	s_delay_alu instid0(SALU_CYCLE_1)
	s_or_b32 s13, s13, vcc_lo
	s_or_b32 exec_lo, exec_lo, s35
	s_and_saveexec_b32 s34, s13
	s_cbranch_execnz .LBB4_4021
	s_branch .LBB4_4022
.LBB4_4423:                             ;   in Loop: Header=BB4_3936 Depth=4
	s_mov_b32 s13, -1
	s_mov_b32 s36, exec_lo
                                        ; implicit-def: $sgpr34
	v_cmpx_eq_u16_e32 0x80, v14
; %bb.4424:                             ;   in Loop: Header=BB4_3936 Depth=4
	s_mov_b32 s34, 0x7f800001
	s_xor_b32 s13, exec_lo, -1
; %bb.4425:                             ;   in Loop: Header=BB4_3936 Depth=4
	s_or_b32 exec_lo, exec_lo, s36
	s_delay_alu instid0(SALU_CYCLE_1)
	s_and_b32 s13, s13, exec_lo
	s_or_saveexec_b32 s35, s35
	v_mov_b32_e32 v69, s34
	s_xor_b32 exec_lo, exec_lo, s35
	s_cbranch_execz .LBB4_4032
.LBB4_4426:                             ;   in Loop: Header=BB4_3936 Depth=4
	v_cmp_ne_u16_e32 vcc_lo, 0, v14
	v_mov_b32_e32 v69, 0
	s_and_not1_b32 s13, s13, exec_lo
	s_and_b32 vcc_lo, vcc_lo, exec_lo
	s_delay_alu instid0(SALU_CYCLE_1)
	s_or_b32 s13, s13, vcc_lo
	s_or_b32 exec_lo, exec_lo, s35
	s_and_saveexec_b32 s34, s13
	s_cbranch_execnz .LBB4_4033
	s_branch .LBB4_4034
.LBB4_4427:                             ;   in Loop: Header=BB4_3936 Depth=4
	s_mov_b32 s13, -1
	s_mov_b32 s36, exec_lo
                                        ; implicit-def: $sgpr34
	v_cmpx_eq_u16_e32 0x80, v14
; %bb.4428:                             ;   in Loop: Header=BB4_3936 Depth=4
	s_mov_b32 s34, 0x7f800001
	s_xor_b32 s13, exec_lo, -1
; %bb.4429:                             ;   in Loop: Header=BB4_3936 Depth=4
	s_or_b32 exec_lo, exec_lo, s36
	s_delay_alu instid0(SALU_CYCLE_1)
	s_and_b32 s13, s13, exec_lo
	s_or_saveexec_b32 s35, s35
	v_mov_b32_e32 v69, s34
	s_xor_b32 exec_lo, exec_lo, s35
	s_cbranch_execz .LBB4_4044
.LBB4_4430:                             ;   in Loop: Header=BB4_3936 Depth=4
	v_cmp_ne_u16_e32 vcc_lo, 0, v14
	v_mov_b32_e32 v69, 0
	s_and_not1_b32 s13, s13, exec_lo
	s_and_b32 vcc_lo, vcc_lo, exec_lo
	s_delay_alu instid0(SALU_CYCLE_1)
	s_or_b32 s13, s13, vcc_lo
	s_or_b32 exec_lo, exec_lo, s35
	s_and_saveexec_b32 s34, s13
	s_cbranch_execnz .LBB4_4045
	s_branch .LBB4_4046
.LBB4_4431:                             ;   in Loop: Header=BB4_3936 Depth=4
	s_mov_b32 s13, -1
	s_mov_b32 s36, exec_lo
                                        ; implicit-def: $sgpr34
	v_cmpx_eq_u16_e32 0x80, v14
; %bb.4432:                             ;   in Loop: Header=BB4_3936 Depth=4
	s_mov_b32 s34, 0x7f800001
	s_xor_b32 s13, exec_lo, -1
; %bb.4433:                             ;   in Loop: Header=BB4_3936 Depth=4
	s_or_b32 exec_lo, exec_lo, s36
	s_delay_alu instid0(SALU_CYCLE_1)
	s_and_b32 s13, s13, exec_lo
	s_or_saveexec_b32 s35, s35
	v_mov_b32_e32 v69, s34
	s_xor_b32 exec_lo, exec_lo, s35
	s_cbranch_execz .LBB4_4056
.LBB4_4434:                             ;   in Loop: Header=BB4_3936 Depth=4
	v_cmp_ne_u16_e32 vcc_lo, 0, v14
	v_mov_b32_e32 v69, 0
	s_and_not1_b32 s13, s13, exec_lo
	s_and_b32 vcc_lo, vcc_lo, exec_lo
	s_delay_alu instid0(SALU_CYCLE_1)
	s_or_b32 s13, s13, vcc_lo
	s_or_b32 exec_lo, exec_lo, s35
	s_and_saveexec_b32 s34, s13
	s_cbranch_execnz .LBB4_4057
	s_branch .LBB4_4058
.LBB4_4435:                             ;   in Loop: Header=BB4_3936 Depth=4
	s_mov_b32 s13, -1
	s_mov_b32 s36, exec_lo
                                        ; implicit-def: $sgpr34
	v_cmpx_eq_u16_e32 0x80, v14
; %bb.4436:                             ;   in Loop: Header=BB4_3936 Depth=4
	s_mov_b32 s34, 0x7f800001
	s_xor_b32 s13, exec_lo, -1
; %bb.4437:                             ;   in Loop: Header=BB4_3936 Depth=4
	s_or_b32 exec_lo, exec_lo, s36
	s_delay_alu instid0(SALU_CYCLE_1)
	s_and_b32 s13, s13, exec_lo
	s_or_saveexec_b32 s35, s35
	v_mov_b32_e32 v69, s34
	s_xor_b32 exec_lo, exec_lo, s35
	s_cbranch_execz .LBB4_4068
.LBB4_4438:                             ;   in Loop: Header=BB4_3936 Depth=4
	v_cmp_ne_u16_e32 vcc_lo, 0, v14
	v_mov_b32_e32 v69, 0
	s_and_not1_b32 s13, s13, exec_lo
	s_and_b32 vcc_lo, vcc_lo, exec_lo
	s_delay_alu instid0(SALU_CYCLE_1)
	s_or_b32 s13, s13, vcc_lo
	s_or_b32 exec_lo, exec_lo, s35
	s_and_saveexec_b32 s34, s13
	s_cbranch_execnz .LBB4_4069
	s_branch .LBB4_4070
.LBB4_4439:                             ;   in Loop: Header=BB4_3936 Depth=4
	s_mov_b32 s13, -1
	s_mov_b32 s36, exec_lo
                                        ; implicit-def: $sgpr34
	v_cmpx_eq_u16_e32 0x80, v14
; %bb.4440:                             ;   in Loop: Header=BB4_3936 Depth=4
	s_mov_b32 s34, 0x7f800001
	s_xor_b32 s13, exec_lo, -1
; %bb.4441:                             ;   in Loop: Header=BB4_3936 Depth=4
	s_or_b32 exec_lo, exec_lo, s36
	s_delay_alu instid0(SALU_CYCLE_1)
	s_and_b32 s13, s13, exec_lo
	s_or_saveexec_b32 s35, s35
	v_mov_b32_e32 v69, s34
	s_xor_b32 exec_lo, exec_lo, s35
	s_cbranch_execz .LBB4_4080
.LBB4_4442:                             ;   in Loop: Header=BB4_3936 Depth=4
	v_cmp_ne_u16_e32 vcc_lo, 0, v14
	v_mov_b32_e32 v69, 0
	s_and_not1_b32 s13, s13, exec_lo
	s_and_b32 vcc_lo, vcc_lo, exec_lo
	s_delay_alu instid0(SALU_CYCLE_1)
	s_or_b32 s13, s13, vcc_lo
	s_or_b32 exec_lo, exec_lo, s35
	s_and_saveexec_b32 s34, s13
	s_cbranch_execnz .LBB4_4081
	s_branch .LBB4_4082
.LBB4_4443:                             ;   in Loop: Header=BB4_3936 Depth=4
	s_mov_b32 s13, -1
	s_mov_b32 s36, exec_lo
                                        ; implicit-def: $sgpr34
	v_cmpx_eq_u16_e32 0x80, v14
; %bb.4444:                             ;   in Loop: Header=BB4_3936 Depth=4
	s_mov_b32 s34, 0x7f800001
	s_xor_b32 s13, exec_lo, -1
; %bb.4445:                             ;   in Loop: Header=BB4_3936 Depth=4
	s_or_b32 exec_lo, exec_lo, s36
	s_delay_alu instid0(SALU_CYCLE_1)
	s_and_b32 s13, s13, exec_lo
	s_or_saveexec_b32 s35, s35
	v_mov_b32_e32 v69, s34
	s_xor_b32 exec_lo, exec_lo, s35
	s_cbranch_execz .LBB4_4092
.LBB4_4446:                             ;   in Loop: Header=BB4_3936 Depth=4
	v_cmp_ne_u16_e32 vcc_lo, 0, v14
	v_mov_b32_e32 v69, 0
	s_and_not1_b32 s13, s13, exec_lo
	s_and_b32 vcc_lo, vcc_lo, exec_lo
	s_delay_alu instid0(SALU_CYCLE_1)
	s_or_b32 s13, s13, vcc_lo
	s_or_b32 exec_lo, exec_lo, s35
	s_and_saveexec_b32 s34, s13
	s_cbranch_execnz .LBB4_4093
	s_branch .LBB4_4094
.LBB4_4447:                             ;   in Loop: Header=BB4_3936 Depth=4
	s_mov_b32 s13, -1
	s_mov_b32 s36, exec_lo
                                        ; implicit-def: $sgpr34
	v_cmpx_eq_u16_e32 0x80, v14
; %bb.4448:                             ;   in Loop: Header=BB4_3936 Depth=4
	s_mov_b32 s34, 0x7f800001
	s_xor_b32 s13, exec_lo, -1
; %bb.4449:                             ;   in Loop: Header=BB4_3936 Depth=4
	s_or_b32 exec_lo, exec_lo, s36
	s_delay_alu instid0(SALU_CYCLE_1)
	s_and_b32 s13, s13, exec_lo
	s_or_saveexec_b32 s35, s35
	v_mov_b32_e32 v69, s34
	s_xor_b32 exec_lo, exec_lo, s35
	s_cbranch_execz .LBB4_4104
.LBB4_4450:                             ;   in Loop: Header=BB4_3936 Depth=4
	v_cmp_ne_u16_e32 vcc_lo, 0, v14
	v_mov_b32_e32 v69, 0
	s_and_not1_b32 s13, s13, exec_lo
	s_and_b32 vcc_lo, vcc_lo, exec_lo
	s_delay_alu instid0(SALU_CYCLE_1)
	s_or_b32 s13, s13, vcc_lo
	s_or_b32 exec_lo, exec_lo, s35
	s_and_saveexec_b32 s34, s13
	s_cbranch_execnz .LBB4_4105
	s_branch .LBB4_4106
.LBB4_4451:                             ;   in Loop: Header=BB4_3936 Depth=4
	s_mov_b32 s13, -1
	s_mov_b32 s36, exec_lo
                                        ; implicit-def: $sgpr34
	v_cmpx_eq_u16_e32 0x80, v14
; %bb.4452:                             ;   in Loop: Header=BB4_3936 Depth=4
	s_mov_b32 s34, 0x7f800001
	s_xor_b32 s13, exec_lo, -1
; %bb.4453:                             ;   in Loop: Header=BB4_3936 Depth=4
	s_or_b32 exec_lo, exec_lo, s36
	s_delay_alu instid0(SALU_CYCLE_1)
	s_and_b32 s13, s13, exec_lo
	s_or_saveexec_b32 s35, s35
	v_mov_b32_e32 v69, s34
	s_xor_b32 exec_lo, exec_lo, s35
	s_cbranch_execz .LBB4_4116
.LBB4_4454:                             ;   in Loop: Header=BB4_3936 Depth=4
	v_cmp_ne_u16_e32 vcc_lo, 0, v14
	v_mov_b32_e32 v69, 0
	s_and_not1_b32 s13, s13, exec_lo
	s_and_b32 vcc_lo, vcc_lo, exec_lo
	s_delay_alu instid0(SALU_CYCLE_1)
	s_or_b32 s13, s13, vcc_lo
	s_or_b32 exec_lo, exec_lo, s35
	s_and_saveexec_b32 s34, s13
	s_cbranch_execnz .LBB4_4117
	s_branch .LBB4_4118
.LBB4_4455:                             ;   in Loop: Header=BB4_3936 Depth=4
	s_mov_b32 s13, -1
	s_mov_b32 s36, exec_lo
                                        ; implicit-def: $sgpr34
	v_cmpx_eq_u16_e32 0x80, v14
; %bb.4456:                             ;   in Loop: Header=BB4_3936 Depth=4
	s_mov_b32 s34, 0x7f800001
	s_xor_b32 s13, exec_lo, -1
; %bb.4457:                             ;   in Loop: Header=BB4_3936 Depth=4
	s_or_b32 exec_lo, exec_lo, s36
	s_delay_alu instid0(SALU_CYCLE_1)
	s_and_b32 s13, s13, exec_lo
	s_or_saveexec_b32 s35, s35
	v_mov_b32_e32 v132, s34
	s_xor_b32 exec_lo, exec_lo, s35
	s_cbranch_execz .LBB4_4128
.LBB4_4458:                             ;   in Loop: Header=BB4_3936 Depth=4
	v_cmp_ne_u16_e32 vcc_lo, 0, v14
	v_mov_b32_e32 v132, 0
	s_and_not1_b32 s13, s13, exec_lo
	s_and_b32 vcc_lo, vcc_lo, exec_lo
	s_delay_alu instid0(SALU_CYCLE_1)
	s_or_b32 s13, s13, vcc_lo
	s_or_b32 exec_lo, exec_lo, s35
	s_and_saveexec_b32 s34, s13
	s_cbranch_execnz .LBB4_4129
	s_branch .LBB4_4130
.LBB4_4459:                             ;   in Loop: Header=BB4_3936 Depth=4
	s_mov_b32 s13, -1
	s_mov_b32 s36, exec_lo
                                        ; implicit-def: $sgpr34
	v_cmpx_eq_u16_e32 0x80, v40
; %bb.4460:                             ;   in Loop: Header=BB4_3936 Depth=4
	s_mov_b32 s34, 0x7f800001
	s_xor_b32 s13, exec_lo, -1
; %bb.4461:                             ;   in Loop: Header=BB4_3936 Depth=4
	s_or_b32 exec_lo, exec_lo, s36
	s_delay_alu instid0(SALU_CYCLE_1)
	s_and_b32 s13, s13, exec_lo
                                        ; implicit-def: $vgpr40
	s_or_saveexec_b32 s35, s35
	v_mov_b32_e32 v183, s34
	s_xor_b32 exec_lo, exec_lo, s35
	s_cbranch_execz .LBB4_4140
.LBB4_4462:                             ;   in Loop: Header=BB4_3936 Depth=4
	v_cmp_ne_u16_e32 vcc_lo, 0, v40
	v_mov_b32_e32 v183, 0
	s_and_not1_b32 s13, s13, exec_lo
	s_and_b32 vcc_lo, vcc_lo, exec_lo
	s_delay_alu instid0(SALU_CYCLE_1)
	s_or_b32 s13, s13, vcc_lo
	s_or_b32 exec_lo, exec_lo, s35
	s_and_saveexec_b32 s34, s13
	s_cbranch_execnz .LBB4_4141
	s_branch .LBB4_4142
.LBB4_4463:                             ;   in Loop: Header=BB4_3936 Depth=4
	s_mov_b32 s13, -1
	s_mov_b32 s36, exec_lo
                                        ; implicit-def: $sgpr34
	v_cmpx_eq_u16_e32 0x80, v40
; %bb.4464:                             ;   in Loop: Header=BB4_3936 Depth=4
	s_mov_b32 s34, 0x7f800001
	s_xor_b32 s13, exec_lo, -1
; %bb.4465:                             ;   in Loop: Header=BB4_3936 Depth=4
	s_or_b32 exec_lo, exec_lo, s36
	s_delay_alu instid0(SALU_CYCLE_1)
	s_and_b32 s13, s13, exec_lo
                                        ; implicit-def: $vgpr40
	s_or_saveexec_b32 s35, s35
	v_mov_b32_e32 v68, s34
	s_xor_b32 exec_lo, exec_lo, s35
	s_cbranch_execz .LBB4_4144
.LBB4_4466:                             ;   in Loop: Header=BB4_3936 Depth=4
	v_cmp_ne_u16_e32 vcc_lo, 0, v40
	v_mov_b32_e32 v68, 0
	s_and_not1_b32 s13, s13, exec_lo
	s_and_b32 vcc_lo, vcc_lo, exec_lo
	s_delay_alu instid0(SALU_CYCLE_1)
	s_or_b32 s13, s13, vcc_lo
	s_or_b32 exec_lo, exec_lo, s35
	s_and_saveexec_b32 s34, s13
	s_cbranch_execnz .LBB4_4145
	s_branch .LBB4_4146
.LBB4_4467:                             ;   in Loop: Header=BB4_3936 Depth=4
	s_mov_b32 s13, -1
	s_mov_b32 s36, exec_lo
                                        ; implicit-def: $sgpr34
	v_cmpx_eq_u16_e64 0x80, v183
; %bb.4468:                             ;   in Loop: Header=BB4_3936 Depth=4
	s_mov_b32 s34, 0x7f800001
	s_xor_b32 s13, exec_lo, -1
; %bb.4469:                             ;   in Loop: Header=BB4_3936 Depth=4
	s_or_b32 exec_lo, exec_lo, s36
	s_delay_alu instid0(SALU_CYCLE_1)
	s_and_b32 s13, s13, exec_lo
                                        ; implicit-def: $vgpr183
	s_or_saveexec_b32 s35, s35
	v_mov_b32_e32 v182, s34
	s_xor_b32 exec_lo, exec_lo, s35
	s_cbranch_execz .LBB4_4156
.LBB4_4470:                             ;   in Loop: Header=BB4_3936 Depth=4
	v_cmp_ne_u16_e64 vcc_lo, 0, v183
	v_mov_b32_e32 v182, 0
	s_and_not1_b32 s13, s13, exec_lo
	s_delay_alu instid0(VALU_DEP_2) | instskip(NEXT) | instid1(SALU_CYCLE_1)
	s_and_b32 vcc_lo, vcc_lo, exec_lo
	s_or_b32 s13, s13, vcc_lo
	s_or_b32 exec_lo, exec_lo, s35
	s_and_saveexec_b32 s34, s13
	s_cbranch_execnz .LBB4_4157
	s_branch .LBB4_4158
.LBB4_4471:                             ;   in Loop: Header=BB4_3936 Depth=4
	s_mov_b32 s13, -1
	s_mov_b32 s36, exec_lo
                                        ; implicit-def: $sgpr34
	v_cmpx_eq_u16_e64 0x80, v183
; %bb.4472:                             ;   in Loop: Header=BB4_3936 Depth=4
	s_mov_b32 s34, 0x7f800001
	s_xor_b32 s13, exec_lo, -1
; %bb.4473:                             ;   in Loop: Header=BB4_3936 Depth=4
	s_or_b32 exec_lo, exec_lo, s36
	s_delay_alu instid0(SALU_CYCLE_1)
	s_and_b32 s13, s13, exec_lo
                                        ; implicit-def: $vgpr183
	s_or_saveexec_b32 s35, s35
	v_mov_b32_e32 v134, s34
	s_xor_b32 exec_lo, exec_lo, s35
	s_cbranch_execz .LBB4_4160
.LBB4_4474:                             ;   in Loop: Header=BB4_3936 Depth=4
	v_cmp_ne_u16_e64 vcc_lo, 0, v183
	v_mov_b32_e32 v134, 0
	s_and_not1_b32 s13, s13, exec_lo
	s_delay_alu instid0(VALU_DEP_2) | instskip(NEXT) | instid1(SALU_CYCLE_1)
	s_and_b32 vcc_lo, vcc_lo, exec_lo
	s_or_b32 s13, s13, vcc_lo
	s_or_b32 exec_lo, exec_lo, s35
	s_and_saveexec_b32 s34, s13
	s_cbranch_execnz .LBB4_4161
	s_branch .LBB4_4162
.LBB4_4475:                             ;   in Loop: Header=BB4_3936 Depth=4
	s_mov_b32 s13, -1
	s_mov_b32 s36, exec_lo
                                        ; implicit-def: $sgpr34
	v_cmpx_eq_u16_e64 0x80, v182
; %bb.4476:                             ;   in Loop: Header=BB4_3936 Depth=4
	s_mov_b32 s34, 0x7f800001
	s_xor_b32 s13, exec_lo, -1
; %bb.4477:                             ;   in Loop: Header=BB4_3936 Depth=4
	s_or_b32 exec_lo, exec_lo, s36
	s_delay_alu instid0(SALU_CYCLE_1)
	s_and_b32 s13, s13, exec_lo
                                        ; implicit-def: $vgpr182
	s_or_saveexec_b32 s35, s35
	v_mov_b32_e32 v181, s34
	s_xor_b32 exec_lo, exec_lo, s35
	s_cbranch_execz .LBB4_4172
.LBB4_4478:                             ;   in Loop: Header=BB4_3936 Depth=4
	v_cmp_ne_u16_e64 vcc_lo, 0, v182
	v_mov_b32_e32 v181, 0
	s_and_not1_b32 s13, s13, exec_lo
	s_delay_alu instid0(VALU_DEP_2) | instskip(NEXT) | instid1(SALU_CYCLE_1)
	s_and_b32 vcc_lo, vcc_lo, exec_lo
	s_or_b32 s13, s13, vcc_lo
	s_or_b32 exec_lo, exec_lo, s35
	s_and_saveexec_b32 s34, s13
	s_cbranch_execnz .LBB4_4173
	s_branch .LBB4_4174
.LBB4_4479:                             ;   in Loop: Header=BB4_3936 Depth=4
	s_mov_b32 s13, -1
	s_mov_b32 s36, exec_lo
                                        ; implicit-def: $sgpr34
	v_cmpx_eq_u16_e64 0x80, v182
; %bb.4480:                             ;   in Loop: Header=BB4_3936 Depth=4
	s_mov_b32 s34, 0x7f800001
	s_xor_b32 s13, exec_lo, -1
; %bb.4481:                             ;   in Loop: Header=BB4_3936 Depth=4
	s_or_b32 exec_lo, exec_lo, s36
	s_delay_alu instid0(SALU_CYCLE_1)
	s_and_b32 s13, s13, exec_lo
                                        ; implicit-def: $vgpr182
	s_or_saveexec_b32 s35, s35
	v_mov_b32_e32 v148, s34
	s_xor_b32 exec_lo, exec_lo, s35
	s_cbranch_execz .LBB4_4176
.LBB4_4482:                             ;   in Loop: Header=BB4_3936 Depth=4
	v_cmp_ne_u16_e64 vcc_lo, 0, v182
	v_mov_b32_e32 v148, 0
	s_and_not1_b32 s13, s13, exec_lo
	s_delay_alu instid0(VALU_DEP_2) | instskip(NEXT) | instid1(SALU_CYCLE_1)
	s_and_b32 vcc_lo, vcc_lo, exec_lo
	s_or_b32 s13, s13, vcc_lo
	s_or_b32 exec_lo, exec_lo, s35
	s_and_saveexec_b32 s34, s13
	s_cbranch_execnz .LBB4_4177
	s_branch .LBB4_4178
.LBB4_4483:                             ;   in Loop: Header=BB4_3936 Depth=4
	s_mov_b32 s13, -1
	s_mov_b32 s36, exec_lo
                                        ; implicit-def: $sgpr34
	v_cmpx_eq_u16_e64 0x80, v181
; %bb.4484:                             ;   in Loop: Header=BB4_3936 Depth=4
	s_mov_b32 s34, 0x7f800001
	s_xor_b32 s13, exec_lo, -1
; %bb.4485:                             ;   in Loop: Header=BB4_3936 Depth=4
	s_or_b32 exec_lo, exec_lo, s36
	s_delay_alu instid0(SALU_CYCLE_1)
	s_and_b32 s13, s13, exec_lo
                                        ; implicit-def: $vgpr181
	s_or_saveexec_b32 s35, s35
	v_mov_b32_e32 v180, s34
	s_xor_b32 exec_lo, exec_lo, s35
	s_cbranch_execz .LBB4_4188
.LBB4_4486:                             ;   in Loop: Header=BB4_3936 Depth=4
	v_cmp_ne_u16_e64 vcc_lo, 0, v181
	v_mov_b32_e32 v180, 0
	s_and_not1_b32 s13, s13, exec_lo
	s_delay_alu instid0(VALU_DEP_2) | instskip(NEXT) | instid1(SALU_CYCLE_1)
	s_and_b32 vcc_lo, vcc_lo, exec_lo
	s_or_b32 s13, s13, vcc_lo
	s_or_b32 exec_lo, exec_lo, s35
	s_and_saveexec_b32 s34, s13
	s_cbranch_execnz .LBB4_4189
	s_branch .LBB4_4190
.LBB4_4487:                             ;   in Loop: Header=BB4_3936 Depth=4
	s_mov_b32 s13, -1
	s_mov_b32 s36, exec_lo
                                        ; implicit-def: $sgpr34
	v_cmpx_eq_u16_e64 0x80, v181
; %bb.4488:                             ;   in Loop: Header=BB4_3936 Depth=4
	s_mov_b32 s34, 0x7f800001
	s_xor_b32 s13, exec_lo, -1
; %bb.4489:                             ;   in Loop: Header=BB4_3936 Depth=4
	s_or_b32 exec_lo, exec_lo, s36
	s_delay_alu instid0(SALU_CYCLE_1)
	s_and_b32 s13, s13, exec_lo
                                        ; implicit-def: $vgpr181
	s_or_saveexec_b32 s35, s35
	v_mov_b32_e32 v161, s34
	s_xor_b32 exec_lo, exec_lo, s35
	s_cbranch_execz .LBB4_4192
.LBB4_4490:                             ;   in Loop: Header=BB4_3936 Depth=4
	v_cmp_ne_u16_e64 vcc_lo, 0, v181
	v_mov_b32_e32 v161, 0
	s_and_not1_b32 s13, s13, exec_lo
	s_delay_alu instid0(VALU_DEP_2) | instskip(NEXT) | instid1(SALU_CYCLE_1)
	s_and_b32 vcc_lo, vcc_lo, exec_lo
	s_or_b32 s13, s13, vcc_lo
	s_or_b32 exec_lo, exec_lo, s35
	s_and_saveexec_b32 s34, s13
	s_cbranch_execnz .LBB4_4193
	s_branch .LBB4_4194
.LBB4_4491:                             ;   in Loop: Header=BB4_3936 Depth=4
	s_mov_b32 s13, -1
	s_mov_b32 s36, exec_lo
                                        ; implicit-def: $sgpr34
	v_cmpx_eq_u16_e64 0x80, v180
; %bb.4492:                             ;   in Loop: Header=BB4_3936 Depth=4
	s_mov_b32 s34, 0x7f800001
	s_xor_b32 s13, exec_lo, -1
; %bb.4493:                             ;   in Loop: Header=BB4_3936 Depth=4
	s_or_b32 exec_lo, exec_lo, s36
	s_delay_alu instid0(SALU_CYCLE_1)
	s_and_b32 s13, s13, exec_lo
                                        ; implicit-def: $vgpr180
	s_or_saveexec_b32 s35, s35
	v_mov_b32_e32 v179, s34
	s_xor_b32 exec_lo, exec_lo, s35
	s_cbranch_execz .LBB4_4204
.LBB4_4494:                             ;   in Loop: Header=BB4_3936 Depth=4
	v_cmp_ne_u16_e64 vcc_lo, 0, v180
	v_mov_b32_e32 v179, 0
	s_and_not1_b32 s13, s13, exec_lo
	s_delay_alu instid0(VALU_DEP_2) | instskip(NEXT) | instid1(SALU_CYCLE_1)
	s_and_b32 vcc_lo, vcc_lo, exec_lo
	s_or_b32 s13, s13, vcc_lo
	s_or_b32 exec_lo, exec_lo, s35
	s_and_saveexec_b32 s34, s13
	s_cbranch_execnz .LBB4_4205
	s_branch .LBB4_4206
.LBB4_4495:                             ;   in Loop: Header=BB4_3936 Depth=4
	s_mov_b32 s13, -1
	s_mov_b32 s36, exec_lo
                                        ; implicit-def: $sgpr34
	v_cmpx_eq_u16_e64 0x80, v180
; %bb.4496:                             ;   in Loop: Header=BB4_3936 Depth=4
	s_mov_b32 s34, 0x7f800001
	s_xor_b32 s13, exec_lo, -1
; %bb.4497:                             ;   in Loop: Header=BB4_3936 Depth=4
	s_or_b32 exec_lo, exec_lo, s36
	s_delay_alu instid0(SALU_CYCLE_1)
	s_and_b32 s13, s13, exec_lo
                                        ; implicit-def: $vgpr180
	s_or_saveexec_b32 s35, s35
	v_mov_b32_e32 v162, s34
	s_xor_b32 exec_lo, exec_lo, s35
	s_cbranch_execz .LBB4_4208
.LBB4_4498:                             ;   in Loop: Header=BB4_3936 Depth=4
	v_cmp_ne_u16_e64 vcc_lo, 0, v180
	v_mov_b32_e32 v162, 0
	s_and_not1_b32 s13, s13, exec_lo
	s_delay_alu instid0(VALU_DEP_2) | instskip(NEXT) | instid1(SALU_CYCLE_1)
	s_and_b32 vcc_lo, vcc_lo, exec_lo
	s_or_b32 s13, s13, vcc_lo
	s_or_b32 exec_lo, exec_lo, s35
	s_and_saveexec_b32 s34, s13
	s_cbranch_execnz .LBB4_4209
	s_branch .LBB4_4210
.LBB4_4499:                             ;   in Loop: Header=BB4_3936 Depth=4
	s_mov_b32 s13, -1
	s_mov_b32 s36, exec_lo
                                        ; implicit-def: $sgpr34
	v_cmpx_eq_u16_e64 0x80, v179
; %bb.4500:                             ;   in Loop: Header=BB4_3936 Depth=4
	s_mov_b32 s34, 0x7f800001
	s_xor_b32 s13, exec_lo, -1
; %bb.4501:                             ;   in Loop: Header=BB4_3936 Depth=4
	s_or_b32 exec_lo, exec_lo, s36
	s_delay_alu instid0(SALU_CYCLE_1)
	s_and_b32 s13, s13, exec_lo
                                        ; implicit-def: $vgpr179
	s_or_saveexec_b32 s35, s35
	v_mov_b32_e32 v178, s34
	s_xor_b32 exec_lo, exec_lo, s35
	s_cbranch_execz .LBB4_4220
.LBB4_4502:                             ;   in Loop: Header=BB4_3936 Depth=4
	v_cmp_ne_u16_e64 vcc_lo, 0, v179
	v_mov_b32_e32 v178, 0
	s_and_not1_b32 s13, s13, exec_lo
	s_delay_alu instid0(VALU_DEP_2) | instskip(NEXT) | instid1(SALU_CYCLE_1)
	s_and_b32 vcc_lo, vcc_lo, exec_lo
	s_or_b32 s13, s13, vcc_lo
	s_or_b32 exec_lo, exec_lo, s35
	s_and_saveexec_b32 s34, s13
	s_cbranch_execnz .LBB4_4221
	s_branch .LBB4_4222
.LBB4_4503:                             ;   in Loop: Header=BB4_3936 Depth=4
	s_mov_b32 s13, -1
	s_mov_b32 s36, exec_lo
                                        ; implicit-def: $sgpr34
	v_cmpx_eq_u16_e64 0x80, v179
; %bb.4504:                             ;   in Loop: Header=BB4_3936 Depth=4
	s_mov_b32 s34, 0x7f800001
	s_xor_b32 s13, exec_lo, -1
; %bb.4505:                             ;   in Loop: Header=BB4_3936 Depth=4
	s_or_b32 exec_lo, exec_lo, s36
	s_delay_alu instid0(SALU_CYCLE_1)
	s_and_b32 s13, s13, exec_lo
                                        ; implicit-def: $vgpr179
	s_or_saveexec_b32 s35, s35
	v_mov_b32_e32 v160, s34
	s_xor_b32 exec_lo, exec_lo, s35
	s_cbranch_execz .LBB4_4224
.LBB4_4506:                             ;   in Loop: Header=BB4_3936 Depth=4
	v_cmp_ne_u16_e64 vcc_lo, 0, v179
	v_mov_b32_e32 v160, 0
	s_and_not1_b32 s13, s13, exec_lo
	s_delay_alu instid0(VALU_DEP_2) | instskip(NEXT) | instid1(SALU_CYCLE_1)
	s_and_b32 vcc_lo, vcc_lo, exec_lo
	s_or_b32 s13, s13, vcc_lo
	s_or_b32 exec_lo, exec_lo, s35
	s_and_saveexec_b32 s34, s13
	s_cbranch_execnz .LBB4_4225
	s_branch .LBB4_4226
.LBB4_4507:                             ;   in Loop: Header=BB4_3936 Depth=4
	s_mov_b32 s13, -1
	s_mov_b32 s36, exec_lo
                                        ; implicit-def: $sgpr34
	v_cmpx_eq_u16_e64 0x80, v178
; %bb.4508:                             ;   in Loop: Header=BB4_3936 Depth=4
	s_mov_b32 s34, 0x7f800001
	s_xor_b32 s13, exec_lo, -1
; %bb.4509:                             ;   in Loop: Header=BB4_3936 Depth=4
	s_or_b32 exec_lo, exec_lo, s36
	s_delay_alu instid0(SALU_CYCLE_1)
	s_and_b32 s13, s13, exec_lo
                                        ; implicit-def: $vgpr178
	s_or_saveexec_b32 s35, s35
	v_mov_b32_e32 v177, s34
	s_xor_b32 exec_lo, exec_lo, s35
	s_cbranch_execz .LBB4_4236
.LBB4_4510:                             ;   in Loop: Header=BB4_3936 Depth=4
	v_cmp_ne_u16_e64 vcc_lo, 0, v178
	v_mov_b32_e32 v177, 0
	s_and_not1_b32 s13, s13, exec_lo
	s_delay_alu instid0(VALU_DEP_2) | instskip(NEXT) | instid1(SALU_CYCLE_1)
	s_and_b32 vcc_lo, vcc_lo, exec_lo
	s_or_b32 s13, s13, vcc_lo
	s_or_b32 exec_lo, exec_lo, s35
	s_and_saveexec_b32 s34, s13
	s_cbranch_execnz .LBB4_4237
	s_branch .LBB4_4238
.LBB4_4511:                             ;   in Loop: Header=BB4_3936 Depth=4
	s_mov_b32 s13, -1
	s_mov_b32 s36, exec_lo
                                        ; implicit-def: $sgpr34
	v_cmpx_eq_u16_e64 0x80, v178
; %bb.4512:                             ;   in Loop: Header=BB4_3936 Depth=4
	s_mov_b32 s34, 0x7f800001
	s_xor_b32 s13, exec_lo, -1
; %bb.4513:                             ;   in Loop: Header=BB4_3936 Depth=4
	s_or_b32 exec_lo, exec_lo, s36
	s_delay_alu instid0(SALU_CYCLE_1)
	s_and_b32 s13, s13, exec_lo
                                        ; implicit-def: $vgpr178
	s_or_saveexec_b32 s35, s35
	v_mov_b32_e32 v151, s34
	s_xor_b32 exec_lo, exec_lo, s35
	s_cbranch_execz .LBB4_4240
.LBB4_4514:                             ;   in Loop: Header=BB4_3936 Depth=4
	v_cmp_ne_u16_e64 vcc_lo, 0, v178
	v_mov_b32_e32 v151, 0
	s_and_not1_b32 s13, s13, exec_lo
	s_delay_alu instid0(VALU_DEP_2) | instskip(NEXT) | instid1(SALU_CYCLE_1)
	s_and_b32 vcc_lo, vcc_lo, exec_lo
	s_or_b32 s13, s13, vcc_lo
	s_or_b32 exec_lo, exec_lo, s35
	s_and_saveexec_b32 s34, s13
	s_cbranch_execnz .LBB4_4241
	s_branch .LBB4_4242
.LBB4_4515:                             ;   in Loop: Header=BB4_3936 Depth=4
	s_mov_b32 s13, -1
	s_mov_b32 s36, exec_lo
                                        ; implicit-def: $sgpr34
	v_cmpx_eq_u16_e64 0x80, v177
; %bb.4516:                             ;   in Loop: Header=BB4_3936 Depth=4
	s_mov_b32 s34, 0x7f800001
	s_xor_b32 s13, exec_lo, -1
; %bb.4517:                             ;   in Loop: Header=BB4_3936 Depth=4
	s_or_b32 exec_lo, exec_lo, s36
	s_delay_alu instid0(SALU_CYCLE_1)
	s_and_b32 s13, s13, exec_lo
                                        ; implicit-def: $vgpr177
	s_or_saveexec_b32 s35, s35
	v_mov_b32_e32 v176, s34
	s_xor_b32 exec_lo, exec_lo, s35
	s_cbranch_execz .LBB4_4252
.LBB4_4518:                             ;   in Loop: Header=BB4_3936 Depth=4
	v_cmp_ne_u16_e64 vcc_lo, 0, v177
	v_mov_b32_e32 v176, 0
	s_and_not1_b32 s13, s13, exec_lo
	s_delay_alu instid0(VALU_DEP_2) | instskip(NEXT) | instid1(SALU_CYCLE_1)
	s_and_b32 vcc_lo, vcc_lo, exec_lo
	s_or_b32 s13, s13, vcc_lo
	s_or_b32 exec_lo, exec_lo, s35
	s_and_saveexec_b32 s34, s13
	s_cbranch_execnz .LBB4_4253
	s_branch .LBB4_4254
.LBB4_4519:                             ;   in Loop: Header=BB4_3936 Depth=4
	s_mov_b32 s13, -1
	s_mov_b32 s36, exec_lo
                                        ; implicit-def: $sgpr34
	v_cmpx_eq_u16_e64 0x80, v177
; %bb.4520:                             ;   in Loop: Header=BB4_3936 Depth=4
	s_mov_b32 s34, 0x7f800001
	s_xor_b32 s13, exec_lo, -1
; %bb.4521:                             ;   in Loop: Header=BB4_3936 Depth=4
	s_or_b32 exec_lo, exec_lo, s36
	s_delay_alu instid0(SALU_CYCLE_1)
	s_and_b32 s13, s13, exec_lo
                                        ; implicit-def: $vgpr177
	s_or_saveexec_b32 s35, s35
	v_mov_b32_e32 v149, s34
	s_xor_b32 exec_lo, exec_lo, s35
	s_cbranch_execz .LBB4_4256
.LBB4_4522:                             ;   in Loop: Header=BB4_3936 Depth=4
	v_cmp_ne_u16_e64 vcc_lo, 0, v177
	v_mov_b32_e32 v149, 0
	s_and_not1_b32 s13, s13, exec_lo
	s_delay_alu instid0(VALU_DEP_2) | instskip(NEXT) | instid1(SALU_CYCLE_1)
	s_and_b32 vcc_lo, vcc_lo, exec_lo
	s_or_b32 s13, s13, vcc_lo
	s_or_b32 exec_lo, exec_lo, s35
	s_and_saveexec_b32 s34, s13
	s_cbranch_execnz .LBB4_4257
	s_branch .LBB4_4258
.LBB4_4523:                             ;   in Loop: Header=BB4_3936 Depth=4
	s_mov_b32 s13, -1
	s_mov_b32 s36, exec_lo
                                        ; implicit-def: $sgpr34
	v_cmpx_eq_u16_e64 0x80, v176
; %bb.4524:                             ;   in Loop: Header=BB4_3936 Depth=4
	s_mov_b32 s34, 0x7f800001
	s_xor_b32 s13, exec_lo, -1
; %bb.4525:                             ;   in Loop: Header=BB4_3936 Depth=4
	s_or_b32 exec_lo, exec_lo, s36
	s_delay_alu instid0(SALU_CYCLE_1)
	s_and_b32 s13, s13, exec_lo
                                        ; implicit-def: $vgpr176
	s_or_saveexec_b32 s35, s35
	v_mov_b32_e32 v167, s34
	s_xor_b32 exec_lo, exec_lo, s35
	s_cbranch_execz .LBB4_4268
.LBB4_4526:                             ;   in Loop: Header=BB4_3936 Depth=4
	v_cmp_ne_u16_e64 vcc_lo, 0, v176
	v_mov_b32_e32 v167, 0
	s_and_not1_b32 s13, s13, exec_lo
	s_delay_alu instid0(VALU_DEP_2) | instskip(NEXT) | instid1(SALU_CYCLE_1)
	s_and_b32 vcc_lo, vcc_lo, exec_lo
	s_or_b32 s13, s13, vcc_lo
	s_or_b32 exec_lo, exec_lo, s35
	s_and_saveexec_b32 s34, s13
	s_cbranch_execnz .LBB4_4269
	s_branch .LBB4_4270
.LBB4_4527:                             ;   in Loop: Header=BB4_3936 Depth=4
	s_mov_b32 s13, -1
	s_mov_b32 s36, exec_lo
                                        ; implicit-def: $sgpr34
	v_cmpx_eq_u16_e64 0x80, v176
; %bb.4528:                             ;   in Loop: Header=BB4_3936 Depth=4
	s_mov_b32 s34, 0x7f800001
	s_xor_b32 s13, exec_lo, -1
; %bb.4529:                             ;   in Loop: Header=BB4_3936 Depth=4
	s_or_b32 exec_lo, exec_lo, s36
	s_delay_alu instid0(SALU_CYCLE_1)
	s_and_b32 s13, s13, exec_lo
                                        ; implicit-def: $vgpr176
	s_or_saveexec_b32 s35, s35
	v_mov_b32_e32 v147, s34
	s_xor_b32 exec_lo, exec_lo, s35
	s_cbranch_execz .LBB4_4272
.LBB4_4530:                             ;   in Loop: Header=BB4_3936 Depth=4
	v_cmp_ne_u16_e64 vcc_lo, 0, v176
	v_mov_b32_e32 v147, 0
	s_and_not1_b32 s13, s13, exec_lo
	s_delay_alu instid0(VALU_DEP_2) | instskip(NEXT) | instid1(SALU_CYCLE_1)
	s_and_b32 vcc_lo, vcc_lo, exec_lo
	s_or_b32 s13, s13, vcc_lo
	s_or_b32 exec_lo, exec_lo, s35
	s_and_saveexec_b32 s34, s13
	s_cbranch_execnz .LBB4_4273
	s_branch .LBB4_4274
.LBB4_4531:                             ;   in Loop: Header=BB4_3936 Depth=4
	s_mov_b32 s13, -1
	s_mov_b32 s36, exec_lo
                                        ; implicit-def: $sgpr34
	v_cmpx_eq_u16_e64 0x80, v167
; %bb.4532:                             ;   in Loop: Header=BB4_3936 Depth=4
	s_mov_b32 s34, 0x7f800001
	s_xor_b32 s13, exec_lo, -1
; %bb.4533:                             ;   in Loop: Header=BB4_3936 Depth=4
	s_or_b32 exec_lo, exec_lo, s36
	s_delay_alu instid0(SALU_CYCLE_1)
	s_and_b32 s13, s13, exec_lo
                                        ; implicit-def: $vgpr167
	s_or_saveexec_b32 s35, s35
	v_mov_b32_e32 v166, s34
	s_xor_b32 exec_lo, exec_lo, s35
	s_cbranch_execz .LBB4_4284
.LBB4_4534:                             ;   in Loop: Header=BB4_3936 Depth=4
	v_cmp_ne_u16_e64 vcc_lo, 0, v167
	v_mov_b32_e32 v166, 0
	s_and_not1_b32 s13, s13, exec_lo
	s_delay_alu instid0(VALU_DEP_2) | instskip(NEXT) | instid1(SALU_CYCLE_1)
	s_and_b32 vcc_lo, vcc_lo, exec_lo
	s_or_b32 s13, s13, vcc_lo
	s_or_b32 exec_lo, exec_lo, s35
	s_and_saveexec_b32 s34, s13
	s_cbranch_execnz .LBB4_4285
	s_branch .LBB4_4286
.LBB4_4535:                             ;   in Loop: Header=BB4_3936 Depth=4
	s_mov_b32 s13, -1
	s_mov_b32 s36, exec_lo
                                        ; implicit-def: $sgpr34
	v_cmpx_eq_u16_e64 0x80, v167
; %bb.4536:                             ;   in Loop: Header=BB4_3936 Depth=4
	s_mov_b32 s34, 0x7f800001
	s_xor_b32 s13, exec_lo, -1
; %bb.4537:                             ;   in Loop: Header=BB4_3936 Depth=4
	s_or_b32 exec_lo, exec_lo, s36
	s_delay_alu instid0(SALU_CYCLE_1)
	s_and_b32 s13, s13, exec_lo
                                        ; implicit-def: $vgpr167
	s_or_saveexec_b32 s35, s35
	v_mov_b32_e32 v146, s34
	s_xor_b32 exec_lo, exec_lo, s35
	s_cbranch_execz .LBB4_4288
.LBB4_4538:                             ;   in Loop: Header=BB4_3936 Depth=4
	v_cmp_ne_u16_e64 vcc_lo, 0, v167
	v_mov_b32_e32 v146, 0
	s_and_not1_b32 s13, s13, exec_lo
	s_delay_alu instid0(VALU_DEP_2) | instskip(NEXT) | instid1(SALU_CYCLE_1)
	s_and_b32 vcc_lo, vcc_lo, exec_lo
	s_or_b32 s13, s13, vcc_lo
	s_or_b32 exec_lo, exec_lo, s35
	s_and_saveexec_b32 s34, s13
	s_cbranch_execnz .LBB4_4289
	s_branch .LBB4_4290
.LBB4_4539:                             ;   in Loop: Header=BB4_3936 Depth=4
	s_mov_b32 s13, -1
	s_mov_b32 s36, exec_lo
                                        ; implicit-def: $sgpr34
	v_cmpx_eq_u16_e64 0x80, v166
; %bb.4540:                             ;   in Loop: Header=BB4_3936 Depth=4
	s_mov_b32 s34, 0x7f800001
	s_xor_b32 s13, exec_lo, -1
; %bb.4541:                             ;   in Loop: Header=BB4_3936 Depth=4
	s_or_b32 exec_lo, exec_lo, s36
	s_delay_alu instid0(SALU_CYCLE_1)
	s_and_b32 s13, s13, exec_lo
                                        ; implicit-def: $vgpr166
	s_or_saveexec_b32 s35, s35
	v_mov_b32_e32 v165, s34
	s_xor_b32 exec_lo, exec_lo, s35
	s_cbranch_execz .LBB4_4300
.LBB4_4542:                             ;   in Loop: Header=BB4_3936 Depth=4
	v_cmp_ne_u16_e64 vcc_lo, 0, v166
	v_mov_b32_e32 v165, 0
	s_and_not1_b32 s13, s13, exec_lo
	s_delay_alu instid0(VALU_DEP_2) | instskip(NEXT) | instid1(SALU_CYCLE_1)
	s_and_b32 vcc_lo, vcc_lo, exec_lo
	s_or_b32 s13, s13, vcc_lo
	s_or_b32 exec_lo, exec_lo, s35
	s_and_saveexec_b32 s34, s13
	s_cbranch_execnz .LBB4_4301
	s_branch .LBB4_4302
.LBB4_4543:                             ;   in Loop: Header=BB4_3936 Depth=4
	s_mov_b32 s13, -1
	s_mov_b32 s36, exec_lo
                                        ; implicit-def: $sgpr34
	v_cmpx_eq_u16_e64 0x80, v166
; %bb.4544:                             ;   in Loop: Header=BB4_3936 Depth=4
	s_mov_b32 s34, 0x7f800001
	s_xor_b32 s13, exec_lo, -1
; %bb.4545:                             ;   in Loop: Header=BB4_3936 Depth=4
	s_or_b32 exec_lo, exec_lo, s36
	s_delay_alu instid0(SALU_CYCLE_1)
	s_and_b32 s13, s13, exec_lo
                                        ; implicit-def: $vgpr166
	s_or_saveexec_b32 s35, s35
	v_mov_b32_e32 v144, s34
	s_xor_b32 exec_lo, exec_lo, s35
	s_cbranch_execz .LBB4_4304
.LBB4_4546:                             ;   in Loop: Header=BB4_3936 Depth=4
	v_cmp_ne_u16_e64 vcc_lo, 0, v166
	v_mov_b32_e32 v144, 0
	s_and_not1_b32 s13, s13, exec_lo
	s_delay_alu instid0(VALU_DEP_2) | instskip(NEXT) | instid1(SALU_CYCLE_1)
	s_and_b32 vcc_lo, vcc_lo, exec_lo
	s_or_b32 s13, s13, vcc_lo
	s_or_b32 exec_lo, exec_lo, s35
	s_and_saveexec_b32 s34, s13
	s_cbranch_execnz .LBB4_4305
	s_branch .LBB4_4306
.LBB4_4547:                             ;   in Loop: Header=BB4_3936 Depth=4
	s_mov_b32 s13, -1
	s_mov_b32 s36, exec_lo
                                        ; implicit-def: $sgpr34
	v_cmpx_eq_u16_e64 0x80, v165
; %bb.4548:                             ;   in Loop: Header=BB4_3936 Depth=4
	s_mov_b32 s34, 0x7f800001
	s_xor_b32 s13, exec_lo, -1
; %bb.4549:                             ;   in Loop: Header=BB4_3936 Depth=4
	s_or_b32 exec_lo, exec_lo, s36
	s_delay_alu instid0(SALU_CYCLE_1)
	s_and_b32 s13, s13, exec_lo
                                        ; implicit-def: $vgpr165
	s_or_saveexec_b32 s35, s35
	v_mov_b32_e32 v164, s34
	s_xor_b32 exec_lo, exec_lo, s35
	s_cbranch_execz .LBB4_4316
.LBB4_4550:                             ;   in Loop: Header=BB4_3936 Depth=4
	v_cmp_ne_u16_e64 vcc_lo, 0, v165
	v_mov_b32_e32 v164, 0
	s_and_not1_b32 s13, s13, exec_lo
	s_delay_alu instid0(VALU_DEP_2) | instskip(NEXT) | instid1(SALU_CYCLE_1)
	s_and_b32 vcc_lo, vcc_lo, exec_lo
	s_or_b32 s13, s13, vcc_lo
	s_or_b32 exec_lo, exec_lo, s35
	s_and_saveexec_b32 s34, s13
	s_cbranch_execnz .LBB4_4317
	s_branch .LBB4_4318
.LBB4_4551:                             ;   in Loop: Header=BB4_3936 Depth=4
	s_mov_b32 s13, -1
	s_mov_b32 s36, exec_lo
                                        ; implicit-def: $sgpr34
	v_cmpx_eq_u16_e64 0x80, v165
; %bb.4552:                             ;   in Loop: Header=BB4_3936 Depth=4
	s_mov_b32 s34, 0x7f800001
	s_xor_b32 s13, exec_lo, -1
; %bb.4553:                             ;   in Loop: Header=BB4_3936 Depth=4
	s_or_b32 exec_lo, exec_lo, s36
	s_delay_alu instid0(SALU_CYCLE_1)
	s_and_b32 s13, s13, exec_lo
                                        ; implicit-def: $vgpr165
	s_or_saveexec_b32 s35, s35
	v_mov_b32_e32 v135, s34
	s_xor_b32 exec_lo, exec_lo, s35
	s_cbranch_execz .LBB4_4320
.LBB4_4554:                             ;   in Loop: Header=BB4_3936 Depth=4
	v_cmp_ne_u16_e64 vcc_lo, 0, v165
	v_mov_b32_e32 v135, 0
	s_and_not1_b32 s13, s13, exec_lo
	s_delay_alu instid0(VALU_DEP_2) | instskip(NEXT) | instid1(SALU_CYCLE_1)
	s_and_b32 vcc_lo, vcc_lo, exec_lo
	s_or_b32 s13, s13, vcc_lo
	s_or_b32 exec_lo, exec_lo, s35
	s_and_saveexec_b32 s34, s13
	s_cbranch_execnz .LBB4_4321
	s_branch .LBB4_4322
.LBB4_4555:                             ;   in Loop: Header=BB4_3936 Depth=4
	s_mov_b32 s13, -1
	s_mov_b32 s36, exec_lo
                                        ; implicit-def: $sgpr34
	v_cmpx_eq_u16_e64 0x80, v164
; %bb.4556:                             ;   in Loop: Header=BB4_3936 Depth=4
	s_mov_b32 s34, 0x7f800001
	s_xor_b32 s13, exec_lo, -1
; %bb.4557:                             ;   in Loop: Header=BB4_3936 Depth=4
	s_or_b32 exec_lo, exec_lo, s36
	s_delay_alu instid0(SALU_CYCLE_1)
	s_and_b32 s13, s13, exec_lo
                                        ; implicit-def: $vgpr164
	s_or_saveexec_b32 s35, s35
	v_mov_b32_e32 v163, s34
	s_xor_b32 exec_lo, exec_lo, s35
	s_cbranch_execz .LBB4_4332
.LBB4_4558:                             ;   in Loop: Header=BB4_3936 Depth=4
	v_cmp_ne_u16_e64 vcc_lo, 0, v164
	v_mov_b32_e32 v163, 0
	s_and_not1_b32 s13, s13, exec_lo
	s_delay_alu instid0(VALU_DEP_2) | instskip(NEXT) | instid1(SALU_CYCLE_1)
	s_and_b32 vcc_lo, vcc_lo, exec_lo
	s_or_b32 s13, s13, vcc_lo
	s_or_b32 exec_lo, exec_lo, s35
	s_and_saveexec_b32 s34, s13
	s_cbranch_execnz .LBB4_4333
	s_branch .LBB4_4334
.LBB4_4559:                             ;   in Loop: Header=BB4_3936 Depth=4
	s_mov_b32 s13, -1
	s_mov_b32 s36, exec_lo
                                        ; implicit-def: $sgpr34
	v_cmpx_eq_u16_e64 0x80, v164
; %bb.4560:                             ;   in Loop: Header=BB4_3936 Depth=4
	s_mov_b32 s34, 0x7f800001
	s_xor_b32 s13, exec_lo, -1
; %bb.4561:                             ;   in Loop: Header=BB4_3936 Depth=4
	s_or_b32 exec_lo, exec_lo, s36
	s_delay_alu instid0(SALU_CYCLE_1)
	s_and_b32 s13, s13, exec_lo
                                        ; implicit-def: $vgpr164
	s_or_saveexec_b32 s35, s35
	v_mov_b32_e32 v133, s34
	s_xor_b32 exec_lo, exec_lo, s35
	s_cbranch_execz .LBB4_4336
.LBB4_4562:                             ;   in Loop: Header=BB4_3936 Depth=4
	v_cmp_ne_u16_e64 vcc_lo, 0, v164
	v_mov_b32_e32 v133, 0
	s_and_not1_b32 s13, s13, exec_lo
	s_delay_alu instid0(VALU_DEP_2) | instskip(NEXT) | instid1(SALU_CYCLE_1)
	s_and_b32 vcc_lo, vcc_lo, exec_lo
	s_or_b32 s13, s13, vcc_lo
	s_or_b32 exec_lo, exec_lo, s35
	s_and_saveexec_b32 s34, s13
	s_cbranch_execnz .LBB4_4337
	s_branch .LBB4_4338
.LBB4_4563:                             ;   in Loop: Header=BB4_3936 Depth=4
	s_mov_b32 s13, -1
	s_mov_b32 s36, exec_lo
                                        ; implicit-def: $sgpr34
	v_cmpx_eq_u16_e64 0x80, v163
; %bb.4564:                             ;   in Loop: Header=BB4_3936 Depth=4
	s_mov_b32 s34, 0x7f800001
	s_xor_b32 s13, exec_lo, -1
; %bb.4565:                             ;   in Loop: Header=BB4_3936 Depth=4
	s_or_b32 exec_lo, exec_lo, s36
	s_delay_alu instid0(SALU_CYCLE_1)
	s_and_b32 s13, s13, exec_lo
                                        ; implicit-def: $vgpr163
	s_or_saveexec_b32 s35, s35
	v_mov_b32_e32 v150, s34
	s_xor_b32 exec_lo, exec_lo, s35
	s_cbranch_execz .LBB4_4348
.LBB4_4566:                             ;   in Loop: Header=BB4_3936 Depth=4
	v_cmp_ne_u16_e64 vcc_lo, 0, v163
	v_mov_b32_e32 v150, 0
	s_and_not1_b32 s13, s13, exec_lo
	s_delay_alu instid0(VALU_DEP_2) | instskip(NEXT) | instid1(SALU_CYCLE_1)
	s_and_b32 vcc_lo, vcc_lo, exec_lo
	s_or_b32 s13, s13, vcc_lo
	s_or_b32 exec_lo, exec_lo, s35
	s_and_saveexec_b32 s34, s13
	s_cbranch_execnz .LBB4_4349
	s_branch .LBB4_4350
.LBB4_4567:                             ;   in Loop: Header=BB4_3936 Depth=4
	s_mov_b32 s13, -1
	s_mov_b32 s36, exec_lo
                                        ; implicit-def: $sgpr34
	v_cmpx_eq_u16_e64 0x80, v163
; %bb.4568:                             ;   in Loop: Header=BB4_3936 Depth=4
	s_mov_b32 s34, 0x7f800001
	s_xor_b32 s13, exec_lo, -1
; %bb.4569:                             ;   in Loop: Header=BB4_3936 Depth=4
	s_or_b32 exec_lo, exec_lo, s36
	s_delay_alu instid0(SALU_CYCLE_1)
	s_and_b32 s13, s13, exec_lo
                                        ; implicit-def: $vgpr163
	s_or_saveexec_b32 s35, s35
	v_mov_b32_e32 v131, s34
	s_xor_b32 exec_lo, exec_lo, s35
	s_cbranch_execz .LBB4_4352
.LBB4_4570:                             ;   in Loop: Header=BB4_3936 Depth=4
	v_cmp_ne_u16_e64 vcc_lo, 0, v163
	v_mov_b32_e32 v131, 0
	s_and_not1_b32 s13, s13, exec_lo
	s_delay_alu instid0(VALU_DEP_2) | instskip(NEXT) | instid1(SALU_CYCLE_1)
	s_and_b32 vcc_lo, vcc_lo, exec_lo
	s_or_b32 s13, s13, vcc_lo
	s_or_b32 exec_lo, exec_lo, s35
	s_and_saveexec_b32 s34, s13
	s_cbranch_execnz .LBB4_4353
	s_branch .LBB4_4354
.LBB4_4571:                             ;   in Loop: Header=BB4_3936 Depth=4
	s_mov_b32 s13, -1
	s_mov_b32 s36, exec_lo
                                        ; implicit-def: $sgpr34
	v_cmpx_eq_u16_e64 0x80, v150
; %bb.4572:                             ;   in Loop: Header=BB4_3936 Depth=4
	s_mov_b32 s34, 0x7f800001
	s_xor_b32 s13, exec_lo, -1
; %bb.4573:                             ;   in Loop: Header=BB4_3936 Depth=4
	s_or_b32 exec_lo, exec_lo, s36
	s_delay_alu instid0(SALU_CYCLE_1)
	s_and_b32 s13, s13, exec_lo
                                        ; implicit-def: $vgpr150
	s_or_saveexec_b32 s35, s35
	v_mov_b32_e32 v145, s34
	s_xor_b32 exec_lo, exec_lo, s35
	s_cbranch_execz .LBB4_4364
.LBB4_4574:                             ;   in Loop: Header=BB4_3936 Depth=4
	v_cmp_ne_u16_e64 vcc_lo, 0, v150
	v_mov_b32_e32 v145, 0
	s_and_not1_b32 s13, s13, exec_lo
	s_delay_alu instid0(VALU_DEP_2) | instskip(NEXT) | instid1(SALU_CYCLE_1)
	s_and_b32 vcc_lo, vcc_lo, exec_lo
	s_or_b32 s13, s13, vcc_lo
	s_or_b32 exec_lo, exec_lo, s35
	s_and_saveexec_b32 s34, s13
	s_cbranch_execnz .LBB4_4365
	s_branch .LBB4_4366
.LBB4_4575:                             ;   in Loop: Header=BB4_3936 Depth=4
	s_mov_b32 s13, -1
	s_mov_b32 s36, exec_lo
                                        ; implicit-def: $sgpr34
	v_cmpx_eq_u16_e64 0x80, v150
; %bb.4576:                             ;   in Loop: Header=BB4_3936 Depth=4
	s_mov_b32 s34, 0x7f800001
	s_xor_b32 s13, exec_lo, -1
; %bb.4577:                             ;   in Loop: Header=BB4_3936 Depth=4
	s_or_b32 exec_lo, exec_lo, s36
	s_delay_alu instid0(SALU_CYCLE_1)
	s_and_b32 s13, s13, exec_lo
                                        ; implicit-def: $vgpr150
	s_or_saveexec_b32 s35, s35
	v_mov_b32_e32 v69, s34
	s_xor_b32 exec_lo, exec_lo, s35
	s_cbranch_execz .LBB4_4368
.LBB4_4578:                             ;   in Loop: Header=BB4_3936 Depth=4
	v_cmp_ne_u16_e64 vcc_lo, 0, v150
	v_mov_b32_e32 v69, 0
	s_and_not1_b32 s13, s13, exec_lo
	s_delay_alu instid0(VALU_DEP_2) | instskip(NEXT) | instid1(SALU_CYCLE_1)
	s_and_b32 vcc_lo, vcc_lo, exec_lo
	s_or_b32 s13, s13, vcc_lo
	s_or_b32 exec_lo, exec_lo, s35
	s_and_saveexec_b32 s34, s13
	s_cbranch_execnz .LBB4_4369
	s_branch .LBB4_4370
.LBB4_4579:                             ;   in Loop: Header=BB4_3936 Depth=4
	s_mov_b32 s13, -1
	s_mov_b32 s36, exec_lo
                                        ; implicit-def: $sgpr34
	v_cmpx_eq_u16_e64 0x80, v145
; %bb.4580:                             ;   in Loop: Header=BB4_3936 Depth=4
	s_mov_b32 s34, 0x7f800001
	s_xor_b32 s13, exec_lo, -1
; %bb.4581:                             ;   in Loop: Header=BB4_3936 Depth=4
	s_or_b32 exec_lo, exec_lo, s36
	s_delay_alu instid0(SALU_CYCLE_1)
	s_and_b32 s13, s13, exec_lo
                                        ; implicit-def: $vgpr145
	s_or_saveexec_b32 s35, s35
	v_mov_b32_e32 v132, s34
	s_xor_b32 exec_lo, exec_lo, s35
	s_cbranch_execz .LBB4_4380
.LBB4_4582:                             ;   in Loop: Header=BB4_3936 Depth=4
	v_cmp_ne_u16_e64 vcc_lo, 0, v145
	v_mov_b32_e32 v132, 0
	s_and_not1_b32 s13, s13, exec_lo
	s_delay_alu instid0(VALU_DEP_2) | instskip(NEXT) | instid1(SALU_CYCLE_1)
	s_and_b32 vcc_lo, vcc_lo, exec_lo
	s_or_b32 s13, s13, vcc_lo
	s_or_b32 exec_lo, exec_lo, s35
	s_and_saveexec_b32 s34, s13
	s_cbranch_execnz .LBB4_4381
	s_branch .LBB4_4382
.LBB4_4583:                             ;   in Loop: Header=BB4_3936 Depth=4
	s_mov_b32 s13, -1
	s_mov_b32 s36, exec_lo
                                        ; implicit-def: $sgpr34
	v_cmpx_eq_u16_e64 0x80, v145
; %bb.4584:                             ;   in Loop: Header=BB4_3936 Depth=4
	s_mov_b32 s34, 0x7f800001
	s_xor_b32 s13, exec_lo, -1
; %bb.4585:                             ;   in Loop: Header=BB4_3936 Depth=4
	s_or_b32 exec_lo, exec_lo, s36
	s_delay_alu instid0(SALU_CYCLE_1)
	s_and_b32 s13, s13, exec_lo
                                        ; implicit-def: $vgpr145
	s_or_saveexec_b32 s35, s35
	v_mov_b32_e32 v15, s34
	s_xor_b32 exec_lo, exec_lo, s35
	s_cbranch_execz .LBB4_4384
.LBB4_4586:                             ;   in Loop: Header=BB4_3936 Depth=4
	v_cmp_ne_u16_e64 vcc_lo, 0, v145
	v_mov_b32_e32 v15, 0
	s_and_not1_b32 s13, s13, exec_lo
	s_delay_alu instid0(VALU_DEP_2) | instskip(NEXT) | instid1(SALU_CYCLE_1)
	s_and_b32 vcc_lo, vcc_lo, exec_lo
	s_or_b32 s13, s13, vcc_lo
	s_or_b32 exec_lo, exec_lo, s35
	s_and_saveexec_b32 s34, s13
	s_cbranch_execnz .LBB4_4385
	s_branch .LBB4_4386
.LBB4_4587:                             ;   in Loop: Header=BB4_1895 Depth=3
	s_or_b32 exec_lo, exec_lo, s31
.LBB4_4588:                             ;   in Loop: Header=BB4_1895 Depth=3
	s_delay_alu instid0(SALU_CYCLE_1) | instskip(SKIP_2) | instid1(VALU_DEP_1)
	s_or_b32 exec_lo, exec_lo, s30
	v_lshlrev_b32_e32 v8, 9, v67
	s_mov_b32 s30, exec_lo
	v_cmpx_ne_u32_e64 v65, v8
	s_cbranch_execz .LBB4_4643
; %bb.4589:                             ;   in Loop: Header=BB4_1895 Depth=3
	v_ashrrev_i32_e32 v9, 31, v66
	v_lshlrev_b32_e32 v2, 5, v2
	s_delay_alu instid0(VALU_DEP_2) | instskip(NEXT) | instid1(VALU_DEP_1)
	v_lshrrev_b32_e32 v9, 27, v9
	v_add_nc_u32_e32 v9, v66, v9
	s_delay_alu instid0(VALU_DEP_1) | instskip(NEXT) | instid1(VALU_DEP_1)
	v_and_b32_e32 v9, 0xffffffe0, v9
	v_sub_nc_u32_e32 v9, v66, v9
	s_delay_alu instid0(VALU_DEP_1) | instskip(NEXT) | instid1(VALU_DEP_1)
	v_sub_nc_u32_e32 v2, v9, v2
	v_add_nc_u32_e32 v8, v8, v2
	s_delay_alu instid0(VALU_DEP_1) | instskip(NEXT) | instid1(VALU_DEP_1)
	v_sub_nc_u32_e32 v2, v65, v8
	v_cmp_lt_i32_e32 vcc_lo, 0, v2
	s_and_b32 exec_lo, exec_lo, vcc_lo
	s_cbranch_execz .LBB4_4643
; %bb.4590:                             ;   in Loop: Header=BB4_1895 Depth=3
	s_cbranch_execz .LBB4_4591
; %bb.11613:
	s_getpc_b64 s[48:49]
.Lpost_getpc215:
	s_add_u32 s48, s48, (.LBB4_11249-.Lpost_getpc215)&4294967295
	s_addc_u32 s49, s49, (.LBB4_11249-.Lpost_getpc215)>>32
	s_setpc_b64 s[48:49]
.LBB4_4591:                             ;   in Loop: Header=BB4_1895 Depth=3
	ds_load_b128 v[9:12], v0
	ds_load_b64 v[13:14], v0
	v_add_nc_u32_e32 v15, v8, v64
	s_mov_b32 s31, 0
	s_delay_alu instid0(VALU_DEP_1) | instskip(SKIP_2) | instid1(VALU_DEP_2)
	v_ashrrev_i32_e32 v64, 31, v15
	s_waitcnt lgkmcnt(1)
	v_add_co_u32 v8, vcc_lo, v9, v15
	v_add_co_ci_u32_e32 v9, vcc_lo, v10, v64, vcc_lo
	v_add_co_u32 v10, vcc_lo, v11, v15
	v_add_co_ci_u32_e32 v11, vcc_lo, v12, v64, vcc_lo
	s_waitcnt lgkmcnt(0)
	v_add_co_u32 v12, vcc_lo, v13, v15
	v_add_co_ci_u32_e32 v13, vcc_lo, v14, v64, vcc_lo
.LBB4_4592:                             ;   Parent Loop BB4_51 Depth=1
                                        ;     Parent Loop BB4_1893 Depth=2
                                        ;       Parent Loop BB4_1895 Depth=3
                                        ; =>      This Inner Loop Header: Depth=4
	s_cbranch_execz .LBB4_4593
; %bb.11615:
	s_getpc_b64 s[48:49]
.Lpost_getpc216:
	s_add_u32 s48, s48, (.LBB4_11253-.Lpost_getpc216)&4294967295
	s_addc_u32 s49, s49, (.LBB4_11253-.Lpost_getpc216)>>32
	s_setpc_b64 s[48:49]
.LBB4_4593:                             ;   in Loop: Header=BB4_4592 Depth=4
	ds_load_b64 v[14:15], v0
	s_waitcnt lgkmcnt(0)
	v_and_b32_e32 v15, 0xff, v14
	v_readfirstlane_b32 s13, v14
	s_delay_alu instid0(VALU_DEP_2)
	v_cmp_gt_i16_e32 vcc_lo, 0x80, v15
	s_cbranch_vccnz .LBB4_4597
; %bb.4594:                             ;   in Loop: Header=BB4_4592 Depth=4
	v_cmp_eq_u16_e32 vcc_lo, 0x80, v15
	s_mov_b32 s34, -1
                                        ; implicit-def: $sgpr35
	s_cbranch_vccz .LBB4_4596
; %bb.4595:                             ;   in Loop: Header=BB4_4592 Depth=4
	s_mov_b32 s34, 0
	s_mov_b32 s35, 0x7f800001
.LBB4_4596:                             ;   in Loop: Header=BB4_4592 Depth=4
	s_mov_b32 vcc_lo, 0
	s_branch .LBB4_4598
.LBB4_4597:                             ;   in Loop: Header=BB4_4592 Depth=4
	s_mov_b32 vcc_lo, -1
	s_mov_b32 s34, 0
                                        ; implicit-def: $sgpr35
.LBB4_4598:                             ;   in Loop: Header=BB4_4592 Depth=4
	s_and_b32 vcc_lo, exec_lo, vcc_lo
	s_cbranch_vccz .LBB4_4600
; %bb.4599:                             ;   in Loop: Header=BB4_4592 Depth=4
	v_cmp_ne_u16_e64 s34, 0, v15
	s_mov_b32 s35, 0
.LBB4_4600:                             ;   in Loop: Header=BB4_4592 Depth=4
	s_delay_alu instid0(SALU_CYCLE_1) | instskip(NEXT) | instid1(VALU_DEP_2)
	v_mov_b32_e32 v15, s35
	s_and_not1_b32 vcc_lo, exec_lo, s34
	s_cbranch_vccnz .LBB4_4602
; %bb.4601:                             ;   in Loop: Header=BB4_4592 Depth=4
	s_and_b32 vcc_lo, s13, 3
	s_bfe_u32 s35, s13, 0x50002
	s_clz_i32_u32 s34, vcc_lo
	v_lshlrev_b32_e32 v14, 24, v14
	s_min_u32 s34, s34, 32
	s_delay_alu instid0(SALU_CYCLE_1)
	s_sub_i32 s36, s34, 29
	s_sub_i32 s34, 30, s34
	s_lshl_b32 s13, s13, s36
	v_and_b32_e32 v14, 0x80000000, v14
	s_and_b32 s13, s13, 3
	s_cmp_eq_u32 s35, 0
	s_cselect_b32 s34, s34, s35
	s_cselect_b32 s13, s13, vcc_lo
	s_lshl_b32 vcc_lo, s34, 23
	s_lshl_b32 s13, s13, 21
	s_add_i32 vcc_lo, vcc_lo, 0x37800000
	s_delay_alu instid0(SALU_CYCLE_1) | instskip(NEXT) | instid1(VALU_DEP_1)
	v_or_b32_e32 v14, vcc_lo, v14
	v_or_b32_e32 v15, s13, v14
.LBB4_4602:                             ;   in Loop: Header=BB4_4592 Depth=4
	flat_load_u8 v14, v[8:9] slc dlc
	s_mov_b32 s13, 0
	s_mov_b32 s35, exec_lo
                                        ; implicit-def: $sgpr34
	s_waitcnt vmcnt(0) lgkmcnt(0)
	v_cmpx_lt_i16_e32 0x7f, v14
	s_xor_b32 s35, exec_lo, s35
	s_cbranch_execnz .LBB4_4631
; %bb.4603:                             ;   in Loop: Header=BB4_4592 Depth=4
	s_or_saveexec_b32 s35, s35
	v_mov_b32_e32 v64, s34
	s_xor_b32 exec_lo, exec_lo, s35
	s_cbranch_execnz .LBB4_4634
.LBB4_4604:                             ;   in Loop: Header=BB4_4592 Depth=4
	s_or_b32 exec_lo, exec_lo, s35
	s_and_saveexec_b32 s34, s13
	s_cbranch_execz .LBB4_4606
.LBB4_4605:                             ;   in Loop: Header=BB4_4592 Depth=4
	v_and_b32_e32 v64, 0xffff, v14
	v_lshlrev_b32_e32 v14, 24, v14
	s_delay_alu instid0(VALU_DEP_2) | instskip(NEXT) | instid1(VALU_DEP_2)
	v_and_b32_e32 v65, 3, v64
	v_and_b32_e32 v14, 0x80000000, v14
	s_delay_alu instid0(VALU_DEP_2) | instskip(NEXT) | instid1(VALU_DEP_1)
	v_clz_i32_u32_e32 v66, v65
	v_min_u32_e32 v66, 32, v66
	s_delay_alu instid0(VALU_DEP_1) | instskip(SKIP_1) | instid1(VALU_DEP_2)
	v_subrev_nc_u32_e32 v67, 29, v66
	v_sub_nc_u32_e32 v66, 30, v66
	v_lshlrev_b32_e32 v67, v67, v64
	v_bfe_u32 v64, v64, 2, 5
	s_delay_alu instid0(VALU_DEP_2) | instskip(NEXT) | instid1(VALU_DEP_2)
	v_and_b32_e32 v67, 3, v67
	v_cmp_eq_u32_e32 vcc_lo, 0, v64
	s_delay_alu instid0(VALU_DEP_2) | instskip(NEXT) | instid1(VALU_DEP_1)
	v_dual_cndmask_b32 v64, v64, v66 :: v_dual_cndmask_b32 v65, v65, v67
	v_lshl_add_u32 v64, v64, 23, 0x37800000
	s_delay_alu instid0(VALU_DEP_2) | instskip(NEXT) | instid1(VALU_DEP_1)
	v_lshlrev_b32_e32 v65, 21, v65
	v_or3_b32 v64, v14, v64, v65
.LBB4_4606:                             ;   in Loop: Header=BB4_4592 Depth=4
	s_or_b32 exec_lo, exec_lo, s34
	s_delay_alu instid0(VALU_DEP_1) | instskip(SKIP_2) | instid1(VALU_DEP_2)
	v_mul_f32_e32 v14, v15, v64
	v_mov_b32_e32 v64, 0x80
	s_mov_b32 s34, exec_lo
	v_and_b32_e32 v15, 0x7f800000, v14
	s_delay_alu instid0(VALU_DEP_1)
	v_cmpx_ne_u32_e32 0x7f800000, v15
	s_cbranch_execz .LBB4_4614
; %bb.4607:                             ;   in Loop: Header=BB4_4592 Depth=4
	v_mov_b32_e32 v64, 0
	s_mov_b32 s35, exec_lo
	v_cmpx_ne_u32_e32 0, v14
	s_cbranch_execz .LBB4_4613
; %bb.4608:                             ;   in Loop: Header=BB4_4592 Depth=4
	v_bfe_u32 v15, v14, 23, 8
	s_delay_alu instid0(VALU_DEP_1) | instskip(SKIP_1) | instid1(VALU_DEP_2)
	v_sub_nc_u32_e32 v65, 0x70, v15
	v_cmp_gt_u32_e32 vcc_lo, 0x71, v15
	v_dual_cndmask_b32 v65, 0, v65 :: v_dual_and_b32 v64, 0x7fffff, v14
	s_delay_alu instid0(VALU_DEP_1) | instskip(SKIP_2) | instid1(VALU_DEP_4)
	v_or_b32_e32 v66, 0x800000, v64
	v_cmp_eq_u32_e32 vcc_lo, 0, v15
	v_add_nc_u32_e32 v15, 0xffffff91, v15
	v_cndmask_b32_e64 v65, v65, 0x6f, vcc_lo
	s_delay_alu instid0(VALU_DEP_4) | instskip(NEXT) | instid1(VALU_DEP_3)
	v_cndmask_b32_e32 v64, v66, v64, vcc_lo
	v_cndmask_b32_e64 v15, v15, 0xffffff92, vcc_lo
	s_delay_alu instid0(VALU_DEP_3) | instskip(NEXT) | instid1(VALU_DEP_3)
	v_lshl_add_u32 v66, 0x200000, v65, -1
	v_lshrrev_b32_e32 v67, v65, v64
	v_lshlrev_b32_e64 v69, v65, 0x100000
	s_delay_alu instid0(VALU_DEP_4) | instskip(NEXT) | instid1(VALU_DEP_4)
	v_add_nc_u32_e32 v65, v65, v15
	v_and_b32_e32 v64, v66, v64
	s_delay_alu instid0(VALU_DEP_4) | instskip(NEXT) | instid1(VALU_DEP_2)
	v_bfe_u32 v68, v67, 21, 1
	v_cmp_eq_u32_e64 s13, v64, v69
	s_delay_alu instid0(VALU_DEP_2) | instskip(NEXT) | instid1(VALU_DEP_1)
	v_add_nc_u32_e32 v66, -1, v68
	v_cndmask_b32_e64 v64, 0, v66, s13
	v_lshrrev_b32_e32 v66, 23, v67
	s_mov_b32 s13, exec_lo
	s_delay_alu instid0(VALU_DEP_2) | instskip(NEXT) | instid1(VALU_DEP_2)
	v_add_nc_u32_e32 v64, v64, v67
	v_xor_b32_e32 v66, 1, v66
	s_delay_alu instid0(VALU_DEP_2) | instskip(NEXT) | instid1(VALU_DEP_1)
	v_and_b32_e32 v15, 0x1fffff, v64
	v_add_nc_u32_e32 v64, v15, v67
                                        ; implicit-def: $vgpr15
	s_delay_alu instid0(VALU_DEP_3)
	v_cmpx_ne_u32_e64 v65, v66
	s_xor_b32 s13, exec_lo, s13
; %bb.4609:                             ;   in Loop: Header=BB4_4592 Depth=4
	s_delay_alu instid0(VALU_DEP_2) | instskip(SKIP_2) | instid1(VALU_DEP_2)
	v_cmp_lt_u32_e32 vcc_lo, 0xffffff, v64
	v_sub_nc_u32_e32 v15, v65, v66
	v_cndmask_b32_e64 v65, 0, 1, vcc_lo
	v_add_co_ci_u32_e32 v15, vcc_lo, 0, v15, vcc_lo
	s_delay_alu instid0(VALU_DEP_2)
	v_lshrrev_b32_e32 v64, v65, v64
; %bb.4610:                             ;   in Loop: Header=BB4_4592 Depth=4
	s_and_not1_saveexec_b32 s13, s13
; %bb.4611:                             ;   in Loop: Header=BB4_4592 Depth=4
	s_delay_alu instid0(VALU_DEP_1)
	v_bfe_u32 v15, v64, 23, 1
; %bb.4612:                             ;   in Loop: Header=BB4_4592 Depth=4
	s_or_b32 exec_lo, exec_lo, s13
	v_lshrrev_b32_e32 v64, 21, v64
	s_delay_alu instid0(VALU_DEP_2) | instskip(SKIP_2) | instid1(VALU_DEP_4)
	v_cmp_gt_i32_e32 vcc_lo, 32, v15
	v_lshrrev_b32_e32 v14, 24, v14
	v_min_i32_e32 v65, 31, v15
	v_cndmask_b32_e32 v64, 3, v64, vcc_lo
	s_delay_alu instid0(VALU_DEP_3) | instskip(NEXT) | instid1(VALU_DEP_3)
	v_and_b32_e32 v14, 0x80, v14
	v_lshlrev_b32_e32 v65, 2, v65
	s_delay_alu instid0(VALU_DEP_3) | instskip(SKIP_1) | instid1(VALU_DEP_2)
	v_and_b32_e32 v66, 3, v64
	v_or_b32_e32 v15, v15, v64
	v_or3_b32 v14, v65, v14, v66
	s_delay_alu instid0(VALU_DEP_2) | instskip(NEXT) | instid1(VALU_DEP_2)
	v_cmp_ne_u32_e32 vcc_lo, 0, v15
	v_cndmask_b32_e32 v64, 0, v14, vcc_lo
.LBB4_4613:                             ;   in Loop: Header=BB4_4592 Depth=4
	s_or_b32 exec_lo, exec_lo, s35
.LBB4_4614:                             ;   in Loop: Header=BB4_4592 Depth=4
	s_delay_alu instid0(SALU_CYCLE_1) | instskip(SKIP_4) | instid1(VALU_DEP_1)
	s_or_b32 exec_lo, exec_lo, s34
	flat_load_u8 v14, v[10:11] slc dlc
	v_and_b32_e32 v65, 0xff, v64
	s_mov_b32 s13, 0
	s_mov_b32 s35, exec_lo
                                        ; implicit-def: $sgpr34
	v_cmpx_lt_i16_e32 0x7f, v65
	s_xor_b32 s35, exec_lo, s35
	s_cbranch_execnz .LBB4_4635
; %bb.4615:                             ;   in Loop: Header=BB4_4592 Depth=4
	s_or_saveexec_b32 s35, s35
	v_mov_b32_e32 v15, s34
	s_xor_b32 exec_lo, exec_lo, s35
	s_cbranch_execnz .LBB4_4638
.LBB4_4616:                             ;   in Loop: Header=BB4_4592 Depth=4
	s_or_b32 exec_lo, exec_lo, s35
	s_and_saveexec_b32 s34, s13
	s_cbranch_execz .LBB4_4618
.LBB4_4617:                             ;   in Loop: Header=BB4_4592 Depth=4
	v_and_b32_e32 v15, 3, v64
	v_lshrrev_b16 v67, 2, v64
	s_delay_alu instid0(VALU_DEP_2) | instskip(NEXT) | instid1(VALU_DEP_2)
	v_clz_i32_u32_e32 v65, v15
	v_and_b32_e32 v67, 31, v67
	s_delay_alu instid0(VALU_DEP_2) | instskip(NEXT) | instid1(VALU_DEP_2)
	v_min_u32_e32 v65, 32, v65
	v_cmp_eq_u32_e32 vcc_lo, 0, v67
	s_delay_alu instid0(VALU_DEP_2) | instskip(SKIP_1) | instid1(VALU_DEP_1)
	v_subrev_nc_u32_e32 v66, 29, v65
	v_sub_nc_u32_e32 v65, 30, v65
	v_dual_cndmask_b32 v65, v67, v65 :: v_dual_lshlrev_b32 v66, v66, v64
	s_delay_alu instid0(VALU_DEP_1) | instskip(SKIP_1) | instid1(VALU_DEP_3)
	v_and_b32_e32 v66, 3, v66
	v_lshlrev_b32_e32 v64, 24, v64
	v_lshl_add_u32 v65, v65, 23, 0x37800000
	s_delay_alu instid0(VALU_DEP_2) | instskip(NEXT) | instid1(VALU_DEP_1)
	v_dual_cndmask_b32 v15, v15, v66 :: v_dual_and_b32 v64, 0x80000000, v64
	v_lshlrev_b32_e32 v15, 21, v15
	s_delay_alu instid0(VALU_DEP_1)
	v_or3_b32 v15, v64, v65, v15
.LBB4_4618:                             ;   in Loop: Header=BB4_4592 Depth=4
	s_or_b32 exec_lo, exec_lo, s34
	s_waitcnt vmcnt(0) lgkmcnt(0)
	v_and_b32_e32 v65, 0xff, v14
	s_mov_b32 s13, 0
	s_mov_b32 s35, exec_lo
                                        ; implicit-def: $sgpr34
	s_delay_alu instid0(VALU_DEP_1)
	v_cmpx_lt_i16_e32 0x7f, v65
	s_xor_b32 s35, exec_lo, s35
	s_cbranch_execnz .LBB4_4639
; %bb.4619:                             ;   in Loop: Header=BB4_4592 Depth=4
	s_or_saveexec_b32 s35, s35
	v_mov_b32_e32 v64, s34
	s_xor_b32 exec_lo, exec_lo, s35
	s_cbranch_execnz .LBB4_4642
.LBB4_4620:                             ;   in Loop: Header=BB4_4592 Depth=4
	s_or_b32 exec_lo, exec_lo, s35
	s_and_saveexec_b32 s34, s13
	s_cbranch_execz .LBB4_4622
.LBB4_4621:                             ;   in Loop: Header=BB4_4592 Depth=4
	v_lshrrev_b16 v67, 2, v14
	s_delay_alu instid0(VALU_DEP_1) | instskip(NEXT) | instid1(VALU_DEP_1)
	v_and_b32_e32 v67, 31, v67
	v_cmp_eq_u32_e32 vcc_lo, 0, v67
	v_and_b32_e32 v64, 3, v14
	s_delay_alu instid0(VALU_DEP_1) | instskip(NEXT) | instid1(VALU_DEP_1)
	v_clz_i32_u32_e32 v65, v64
	v_min_u32_e32 v65, 32, v65
	s_delay_alu instid0(VALU_DEP_1) | instskip(SKIP_1) | instid1(VALU_DEP_1)
	v_subrev_nc_u32_e32 v66, 29, v65
	v_sub_nc_u32_e32 v65, 30, v65
	v_dual_cndmask_b32 v65, v67, v65 :: v_dual_lshlrev_b32 v66, v66, v14
	v_lshlrev_b32_e32 v14, 24, v14
	s_delay_alu instid0(VALU_DEP_2) | instskip(NEXT) | instid1(VALU_DEP_3)
	v_and_b32_e32 v66, 3, v66
	v_lshl_add_u32 v65, v65, 23, 0x37800000
	s_delay_alu instid0(VALU_DEP_3) | instskip(NEXT) | instid1(VALU_DEP_3)
	v_and_b32_e32 v14, 0x80000000, v14
	v_cndmask_b32_e32 v64, v64, v66, vcc_lo
	s_delay_alu instid0(VALU_DEP_1) | instskip(NEXT) | instid1(VALU_DEP_1)
	v_lshlrev_b32_e32 v64, 21, v64
	v_or3_b32 v64, v14, v65, v64
.LBB4_4622:                             ;   in Loop: Header=BB4_4592 Depth=4
	s_or_b32 exec_lo, exec_lo, s34
	s_delay_alu instid0(VALU_DEP_1) | instskip(NEXT) | instid1(VALU_DEP_1)
	v_add_f32_e32 v14, v15, v64
	v_and_b32_e32 v15, 0x7f800000, v14
	s_delay_alu instid0(VALU_DEP_1)
	v_cmp_ne_u32_e32 vcc_lo, 0x7f800000, v15
	v_mov_b32_e32 v15, 0x80
	s_and_saveexec_b32 s34, vcc_lo
	s_cbranch_execz .LBB4_4630
; %bb.4623:                             ;   in Loop: Header=BB4_4592 Depth=4
	v_mov_b32_e32 v15, 0
	s_mov_b32 s35, exec_lo
	v_cmpx_ne_u32_e32 0, v14
	s_cbranch_execz .LBB4_4629
; %bb.4624:                             ;   in Loop: Header=BB4_4592 Depth=4
	v_bfe_u32 v15, v14, 23, 8
	s_delay_alu instid0(VALU_DEP_1) | instskip(SKIP_1) | instid1(VALU_DEP_2)
	v_sub_nc_u32_e32 v65, 0x70, v15
	v_cmp_gt_u32_e32 vcc_lo, 0x71, v15
	v_dual_cndmask_b32 v65, 0, v65 :: v_dual_and_b32 v64, 0x7fffff, v14
	s_delay_alu instid0(VALU_DEP_1) | instskip(SKIP_2) | instid1(VALU_DEP_4)
	v_or_b32_e32 v66, 0x800000, v64
	v_cmp_eq_u32_e32 vcc_lo, 0, v15
	v_add_nc_u32_e32 v15, 0xffffff91, v15
	v_cndmask_b32_e64 v65, v65, 0x6f, vcc_lo
	s_delay_alu instid0(VALU_DEP_4) | instskip(NEXT) | instid1(VALU_DEP_3)
	v_cndmask_b32_e32 v64, v66, v64, vcc_lo
	v_cndmask_b32_e64 v15, v15, 0xffffff92, vcc_lo
	s_delay_alu instid0(VALU_DEP_3) | instskip(NEXT) | instid1(VALU_DEP_3)
	v_lshl_add_u32 v66, 0x200000, v65, -1
	v_lshrrev_b32_e32 v67, v65, v64
	v_lshlrev_b32_e64 v69, v65, 0x100000
	s_delay_alu instid0(VALU_DEP_4) | instskip(NEXT) | instid1(VALU_DEP_4)
	v_add_nc_u32_e32 v65, v65, v15
	v_and_b32_e32 v64, v66, v64
	s_delay_alu instid0(VALU_DEP_4) | instskip(NEXT) | instid1(VALU_DEP_2)
	v_bfe_u32 v68, v67, 21, 1
	v_cmp_eq_u32_e64 s13, v64, v69
	s_delay_alu instid0(VALU_DEP_2) | instskip(NEXT) | instid1(VALU_DEP_1)
	v_add_nc_u32_e32 v66, -1, v68
	v_cndmask_b32_e64 v64, 0, v66, s13
	v_lshrrev_b32_e32 v66, 23, v67
	s_mov_b32 s13, exec_lo
	s_delay_alu instid0(VALU_DEP_2) | instskip(NEXT) | instid1(VALU_DEP_2)
	v_add_nc_u32_e32 v64, v64, v67
	v_xor_b32_e32 v66, 1, v66
	s_delay_alu instid0(VALU_DEP_2) | instskip(NEXT) | instid1(VALU_DEP_1)
	v_and_b32_e32 v15, 0x1fffff, v64
	v_add_nc_u32_e32 v64, v15, v67
                                        ; implicit-def: $vgpr15
	s_delay_alu instid0(VALU_DEP_3)
	v_cmpx_ne_u32_e64 v65, v66
	s_xor_b32 s13, exec_lo, s13
; %bb.4625:                             ;   in Loop: Header=BB4_4592 Depth=4
	s_delay_alu instid0(VALU_DEP_2) | instskip(SKIP_2) | instid1(VALU_DEP_2)
	v_cmp_lt_u32_e32 vcc_lo, 0xffffff, v64
	v_sub_nc_u32_e32 v15, v65, v66
	v_cndmask_b32_e64 v65, 0, 1, vcc_lo
	v_add_co_ci_u32_e32 v15, vcc_lo, 0, v15, vcc_lo
	s_delay_alu instid0(VALU_DEP_2)
	v_lshrrev_b32_e32 v64, v65, v64
; %bb.4626:                             ;   in Loop: Header=BB4_4592 Depth=4
	s_and_not1_saveexec_b32 s13, s13
; %bb.4627:                             ;   in Loop: Header=BB4_4592 Depth=4
	s_delay_alu instid0(VALU_DEP_1)
	v_bfe_u32 v15, v64, 23, 1
; %bb.4628:                             ;   in Loop: Header=BB4_4592 Depth=4
	s_or_b32 exec_lo, exec_lo, s13
	v_lshrrev_b32_e32 v64, 21, v64
	s_delay_alu instid0(VALU_DEP_2) | instskip(SKIP_2) | instid1(VALU_DEP_2)
	v_cmp_gt_i32_e32 vcc_lo, 32, v15
	v_min_i32_e32 v65, 31, v15
	v_lshrrev_b32_e32 v14, 24, v14
	v_dual_cndmask_b32 v64, 3, v64 :: v_dual_lshlrev_b32 v65, 2, v65
	s_delay_alu instid0(VALU_DEP_2) | instskip(NEXT) | instid1(VALU_DEP_2)
	v_and_b32_e32 v14, 0x80, v14
	v_or_b32_e32 v15, v15, v64
	s_delay_alu instid0(VALU_DEP_1) | instskip(SKIP_1) | instid1(VALU_DEP_1)
	v_cmp_ne_u32_e32 vcc_lo, 0, v15
	v_and_b32_e32 v66, 3, v64
	v_or3_b32 v14, v65, v14, v66
	s_delay_alu instid0(VALU_DEP_1)
	v_cndmask_b32_e32 v15, 0, v14, vcc_lo
.LBB4_4629:                             ;   in Loop: Header=BB4_4592 Depth=4
	s_or_b32 exec_lo, exec_lo, s35
.LBB4_4630:                             ;   in Loop: Header=BB4_4592 Depth=4
	s_delay_alu instid0(SALU_CYCLE_1)
	s_or_b32 exec_lo, exec_lo, s34
	v_add_co_u32 v8, vcc_lo, v8, v112
	v_sub_nc_u32_e32 v2, v2, v82
	v_add_co_ci_u32_e32 v9, vcc_lo, v9, v113, vcc_lo
	v_add_co_u32 v10, vcc_lo, v10, v112
	v_add_co_ci_u32_e32 v11, vcc_lo, v11, v113, vcc_lo
	flat_store_b8 v[12:13], v15 glc slc dlc
	v_cmp_gt_i32_e32 vcc_lo, 1, v2
	v_add_co_u32 v12, s13, v12, v112
	s_delay_alu instid0(VALU_DEP_1) | instskip(SKIP_1) | instid1(SALU_CYCLE_1)
	v_add_co_ci_u32_e64 v13, s13, v13, v113, s13
	s_or_b32 s31, vcc_lo, s31
	s_and_not1_b32 exec_lo, exec_lo, s31
	s_cbranch_execnz .LBB4_4592
	s_branch .LBB4_4643
.LBB4_4631:                             ;   in Loop: Header=BB4_4592 Depth=4
	s_mov_b32 s13, -1
	s_mov_b32 s36, exec_lo
                                        ; implicit-def: $sgpr34
	v_cmpx_eq_u16_e32 0x80, v14
; %bb.4632:                             ;   in Loop: Header=BB4_4592 Depth=4
	s_mov_b32 s34, 0x7f800001
	s_xor_b32 s13, exec_lo, -1
; %bb.4633:                             ;   in Loop: Header=BB4_4592 Depth=4
	s_or_b32 exec_lo, exec_lo, s36
	s_delay_alu instid0(SALU_CYCLE_1)
	s_and_b32 s13, s13, exec_lo
	s_or_saveexec_b32 s35, s35
	v_mov_b32_e32 v64, s34
	s_xor_b32 exec_lo, exec_lo, s35
	s_cbranch_execz .LBB4_4604
.LBB4_4634:                             ;   in Loop: Header=BB4_4592 Depth=4
	v_cmp_ne_u16_e32 vcc_lo, 0, v14
	v_mov_b32_e32 v64, 0
	s_and_not1_b32 s13, s13, exec_lo
	s_and_b32 vcc_lo, vcc_lo, exec_lo
	s_delay_alu instid0(SALU_CYCLE_1)
	s_or_b32 s13, s13, vcc_lo
	s_or_b32 exec_lo, exec_lo, s35
	s_and_saveexec_b32 s34, s13
	s_cbranch_execnz .LBB4_4605
	s_branch .LBB4_4606
.LBB4_4635:                             ;   in Loop: Header=BB4_4592 Depth=4
	s_mov_b32 s13, -1
	s_mov_b32 s36, exec_lo
                                        ; implicit-def: $sgpr34
	v_cmpx_eq_u16_e32 0x80, v65
; %bb.4636:                             ;   in Loop: Header=BB4_4592 Depth=4
	s_mov_b32 s34, 0x7f800001
	s_xor_b32 s13, exec_lo, -1
; %bb.4637:                             ;   in Loop: Header=BB4_4592 Depth=4
	s_or_b32 exec_lo, exec_lo, s36
	s_delay_alu instid0(SALU_CYCLE_1)
	s_and_b32 s13, s13, exec_lo
                                        ; implicit-def: $vgpr65
	s_or_saveexec_b32 s35, s35
	v_mov_b32_e32 v15, s34
	s_xor_b32 exec_lo, exec_lo, s35
	s_cbranch_execz .LBB4_4616
.LBB4_4638:                             ;   in Loop: Header=BB4_4592 Depth=4
	v_cmp_ne_u16_e32 vcc_lo, 0, v65
	v_mov_b32_e32 v15, 0
	s_and_not1_b32 s13, s13, exec_lo
	s_and_b32 vcc_lo, vcc_lo, exec_lo
	s_delay_alu instid0(SALU_CYCLE_1)
	s_or_b32 s13, s13, vcc_lo
	s_or_b32 exec_lo, exec_lo, s35
	s_and_saveexec_b32 s34, s13
	s_cbranch_execnz .LBB4_4617
	s_branch .LBB4_4618
.LBB4_4639:                             ;   in Loop: Header=BB4_4592 Depth=4
	s_mov_b32 s13, -1
	s_mov_b32 s36, exec_lo
                                        ; implicit-def: $sgpr34
	v_cmpx_eq_u16_e32 0x80, v65
; %bb.4640:                             ;   in Loop: Header=BB4_4592 Depth=4
	s_mov_b32 s34, 0x7f800001
	s_xor_b32 s13, exec_lo, -1
; %bb.4641:                             ;   in Loop: Header=BB4_4592 Depth=4
	s_or_b32 exec_lo, exec_lo, s36
	s_delay_alu instid0(SALU_CYCLE_1)
	s_and_b32 s13, s13, exec_lo
                                        ; implicit-def: $vgpr65
	s_or_saveexec_b32 s35, s35
	v_mov_b32_e32 v64, s34
	s_xor_b32 exec_lo, exec_lo, s35
	s_cbranch_execz .LBB4_4620
.LBB4_4642:                             ;   in Loop: Header=BB4_4592 Depth=4
	v_cmp_ne_u16_e32 vcc_lo, 0, v65
	v_mov_b32_e32 v64, 0
	s_and_not1_b32 s13, s13, exec_lo
	s_and_b32 vcc_lo, vcc_lo, exec_lo
	s_delay_alu instid0(SALU_CYCLE_1)
	s_or_b32 s13, s13, vcc_lo
	s_or_b32 exec_lo, exec_lo, s35
	s_and_saveexec_b32 s34, s13
	s_cbranch_execnz .LBB4_4621
	s_branch .LBB4_4622
.LBB4_4643:                             ;   in Loop: Header=BB4_1895 Depth=3
	s_or_b32 exec_lo, exec_lo, s30
.LBB4_4644:                             ;   in Loop: Header=BB4_1895 Depth=3
	s_delay_alu instid0(SALU_CYCLE_1)
	s_or_b32 exec_lo, exec_lo, s14
.LBB4_4645:                             ;   in Loop: Header=BB4_1895 Depth=3
	s_and_saveexec_b32 s13, s3
	s_cbranch_execz .LBB4_4667
; %bb.4646:                             ;   in Loop: Header=BB4_1895 Depth=3
	s_and_saveexec_b32 s14, s4
	s_delay_alu instid0(SALU_CYCLE_1)
	s_xor_b32 s14, exec_lo, s14
	s_cbranch_execz .LBB4_4664
; %bb.4647:                             ;   in Loop: Header=BB4_1895 Depth=3
	s_and_saveexec_b32 s30, s1
	s_cbranch_execz .LBB4_4663
; %bb.4648:                             ;   in Loop: Header=BB4_1895 Depth=3
	s_mov_b32 s34, exec_lo
	s_mov_b32 s31, exec_lo
	v_mbcnt_lo_u32_b32 v2, s34, 0
	s_waitcnt lgkmcnt(0)
	s_waitcnt_vscnt null, 0x0
	buffer_gl1_inv
	buffer_gl0_inv
	v_cmpx_eq_u32_e32 0, v2
	s_cbranch_execz .LBB4_4650
; %bb.4649:                             ;   in Loop: Header=BB4_1895 Depth=3
	s_bcnt1_i32_b32 vcc_lo, s34
	s_delay_alu instid0(SALU_CYCLE_1)
	v_mov_b32_e32 v2, vcc_lo
	ds_add_u64 v0, v[2:3]
	s_cbranch_execz .LBB4_4650
; %bb.11617:
	s_getpc_b64 s[48:49]
.Lpost_getpc217:
	s_add_u32 s48, s48, (.LBB4_11211-.Lpost_getpc217)&4294967295
	s_addc_u32 s49, s49, (.LBB4_11211-.Lpost_getpc217)>>32
	s_setpc_b64 s[48:49]
.LBB4_4650:                             ;   in Loop: Header=BB4_1895 Depth=3
	s_or_b32 exec_lo, exec_lo, s31
	s_cbranch_execz .LBB4_4651
; %bb.11619:
	s_getpc_b64 s[48:49]
.Lpost_getpc218:
	s_add_u32 s48, s48, (.LBB4_11187-.Lpost_getpc218)&4294967295
	s_addc_u32 s49, s49, (.LBB4_11187-.Lpost_getpc218)>>32
	s_setpc_b64 s[48:49]
.LBB4_4651:                             ;   in Loop: Header=BB4_1895 Depth=3
	ds_load_b64 v[8:9], v0
	v_add_co_u32 v32, vcc_lo, v32, v81
	v_add_co_ci_u32_e32 v33, vcc_lo, 0, v33, vcc_lo
	s_mov_b32 s31, exec_lo
	s_waitcnt lgkmcnt(0)
	s_delay_alu instid0(VALU_DEP_1)
	v_cmpx_lt_u64_e64 v[8:9], v[32:33]
	s_cbranch_execz .LBB4_4662
; %bb.4652:                             ;   in Loop: Header=BB4_1895 Depth=3
	s_mov_b32 s34, 0
	s_mov_b32 s37, 0
                                        ; implicit-def: $sgpr35
                                        ; implicit-def: $sgpr36
	s_branch .LBB4_4654
.LBB4_4653:                             ;   in Loop: Header=BB4_4654 Depth=4
	s_or_b32 exec_lo, exec_lo, s39
	s_delay_alu instid0(SALU_CYCLE_1) | instskip(NEXT) | instid1(SALU_CYCLE_1)
	s_and_b32 vcc_lo, exec_lo, vcc_lo
	s_or_b32 s34, vcc_lo, s34
	s_and_not1_b32 vcc_lo, s35, exec_lo
	s_and_b32 s35, s36, exec_lo
	s_delay_alu instid0(SALU_CYCLE_1)
	s_or_b32 s35, vcc_lo, s35
	s_and_not1_b32 exec_lo, exec_lo, s34
	s_cbranch_execz .LBB4_4660
.LBB4_4654:                             ;   Parent Loop BB4_51 Depth=1
                                        ;     Parent Loop BB4_1893 Depth=2
                                        ;       Parent Loop BB4_1895 Depth=3
                                        ; =>      This Inner Loop Header: Depth=4
	s_add_i32 s37, s37, 1
                                        ; implicit-def: $sgpr39
	s_delay_alu instid0(SALU_CYCLE_1) | instskip(SKIP_1) | instid1(SALU_CYCLE_1)
	s_cmpk_lg_i32 s37, 0x2710
	s_cselect_b32 s38, -1, 0
	s_and_b32 vcc_lo, exec_lo, s38
	s_cbranch_vccz .LBB4_4658
.LBB4_4655:                             ;   in Loop: Header=BB4_4654 Depth=4
	s_and_not1_b32 s36, s36, exec_lo
	s_and_b32 s39, s39, exec_lo
	s_mov_b32 vcc_lo, -1
	s_or_b32 s36, s36, s39
	s_and_saveexec_b32 s39, s38
	s_cbranch_execz .LBB4_4653
; %bb.4656:                             ;   in Loop: Header=BB4_4654 Depth=4
	s_sleep 1
	s_cbranch_execz .LBB4_4657
; %bb.11621:
	s_getpc_b64 s[48:49]
.Lpost_getpc219:
	s_add_u32 s48, s48, (.LBB4_11269-.Lpost_getpc219)&4294967295
	s_addc_u32 s49, s49, (.LBB4_11269-.Lpost_getpc219)>>32
	s_setpc_b64 s[48:49]
.LBB4_4657:                             ;   in Loop: Header=BB4_4654 Depth=4
	ds_load_b64 v[8:9], v0
	s_and_not1_b32 s36, s36, exec_lo
	s_waitcnt lgkmcnt(0)
	v_cmp_ge_u64_e32 vcc_lo, v[8:9], v[32:33]
	s_or_not1_b32 vcc_lo, vcc_lo, exec_lo
	s_branch .LBB4_4653
.LBB4_4658:                             ;   in Loop: Header=BB4_4654 Depth=4
	s_cbranch_execz .LBB4_4659
; %bb.11623:
	s_getpc_b64 s[48:49]
.Lpost_getpc220:
	s_add_u32 s48, s48, (.LBB4_11283-.Lpost_getpc220)&4294967295
	s_addc_u32 s49, s49, (.LBB4_11283-.Lpost_getpc220)>>32
	s_setpc_b64 s[48:49]
.LBB4_4659:                             ;   in Loop: Header=BB4_4654 Depth=4
	ds_load_b64 v[8:9], v0
	s_and_not1_b32 s38, s38, exec_lo
	s_mov_b32 s37, 0
	s_mov_b32 s39, -1
	s_waitcnt lgkmcnt(0)
	flat_load_b32 v2, v[8:9] glc
	s_waitcnt vmcnt(0) lgkmcnt(0)
	buffer_gl1_inv
	buffer_gl0_inv
	v_cmp_eq_u32_e32 vcc_lo, 0, v2
	s_and_b32 vcc_lo, vcc_lo, exec_lo
	s_delay_alu instid0(SALU_CYCLE_1)
	s_or_b32 s38, s38, vcc_lo
	s_branch .LBB4_4655
.LBB4_4660:                             ;   in Loop: Header=BB4_1895 Depth=3
	s_or_b32 exec_lo, exec_lo, s34
	s_and_saveexec_b32 vcc_lo, s35
	s_delay_alu instid0(SALU_CYCLE_1)
	s_xor_b32 vcc_lo, exec_lo, vcc_lo
	s_cbranch_execz .LBB4_4662
; %bb.4661:                             ;   in Loop: Header=BB4_1895 Depth=3
	ds_store_b32 v0, v118
	s_cbranch_execz .LBB4_4662
; %bb.11625:
	s_getpc_b64 s[48:49]
.Lpost_getpc221:
	s_add_u32 s48, s48, (.LBB4_11419-.Lpost_getpc221)&4294967295
	s_addc_u32 s49, s49, (.LBB4_11419-.Lpost_getpc221)>>32
	s_setpc_b64 s[48:49]
.LBB4_4662:                             ;   in Loop: Header=BB4_1895 Depth=3
	s_or_b32 exec_lo, exec_lo, s31
	;;#ASMSTART
	s_wakeup
	;;#ASMEND
.LBB4_4663:                             ;   in Loop: Header=BB4_1895 Depth=3
	s_or_b32 exec_lo, exec_lo, s30
.LBB4_4664:                             ;   in Loop: Header=BB4_1895 Depth=3
	s_and_not1_saveexec_b32 s14, s14
	s_cbranch_execz .LBB4_4666
; %bb.4665:                             ;   in Loop: Header=BB4_1895 Depth=3
	s_waitcnt lgkmcnt(0)
	s_waitcnt_vscnt null, 0x0
	buffer_gl1_inv
	buffer_gl0_inv
	s_barrier
.LBB4_4666:                             ;   in Loop: Header=BB4_1895 Depth=3
	s_or_b32 exec_lo, exec_lo, s14
.LBB4_4667:                             ;   in Loop: Header=BB4_1895 Depth=3
	s_delay_alu instid0(SALU_CYCLE_1) | instskip(SKIP_1) | instid1(SALU_CYCLE_1)
	s_or_b32 exec_lo, exec_lo, s13
                                        ; implicit-def: $vgpr2
	s_and_saveexec_b32 s13, s7
	s_xor_b32 s14, exec_lo, s13
	s_cbranch_execz .LBB4_4671
; %bb.4668:                             ;   in Loop: Header=BB4_1895 Depth=3
	v_and_b32_e32 v2, 16, v30
	v_cmp_lt_i32_e32 vcc_lo, 0, v53
	s_delay_alu instid0(VALU_DEP_2) | instskip(SKIP_1) | instid1(VALU_DEP_2)
	v_cmp_ne_u32_e64 s13, 0, v2
	v_and_b32_e32 v2, 16, v30
	s_and_b32 vcc_lo, s13, vcc_lo
	s_delay_alu instid0(SALU_CYCLE_1)
	s_and_saveexec_b32 s13, vcc_lo
	s_cbranch_execz .LBB4_4670
; %bb.4669:                             ;   in Loop: Header=BB4_1895 Depth=3
	v_mov_b32_e32 v2, 1
	s_waitcnt lgkmcnt(0)
	s_waitcnt_vscnt null, 0x0
	buffer_gl1_inv
	buffer_gl0_inv
.LBB4_4670:                             ;   in Loop: Header=BB4_1895 Depth=3
	s_or_b32 exec_lo, exec_lo, s13
.LBB4_4671:                             ;   in Loop: Header=BB4_1895 Depth=3
	s_and_not1_saveexec_b32 s13, s14
	s_cbranch_execz .LBB4_4693
; %bb.4672:                             ;   in Loop: Header=BB4_1895 Depth=3
	s_and_saveexec_b32 s14, s4
	s_delay_alu instid0(SALU_CYCLE_1)
	s_xor_b32 s14, exec_lo, s14
	s_cbranch_execz .LBB4_4690
; %bb.4673:                             ;   in Loop: Header=BB4_1895 Depth=3
	s_and_saveexec_b32 s30, s1
	s_cbranch_execz .LBB4_4689
; %bb.4674:                             ;   in Loop: Header=BB4_1895 Depth=3
	s_mov_b32 s34, exec_lo
	s_mov_b32 s31, exec_lo
	v_mbcnt_lo_u32_b32 v2, s34, 0
	;;#ASMSTART
	s_waitcnt lgkmcnt(0) vmcnt(0)
	;;#ASMEND
	s_delay_alu instid0(VALU_DEP_1)
	v_cmpx_eq_u32_e32 0, v2
	s_cbranch_execz .LBB4_4676
; %bb.4675:                             ;   in Loop: Header=BB4_1895 Depth=3
	s_bcnt1_i32_b32 vcc_lo, s34
	s_delay_alu instid0(SALU_CYCLE_1)
	v_mov_b32_e32 v2, vcc_lo
	ds_add_u64 v0, v[2:3]
	s_cbranch_execz .LBB4_4676
; %bb.11627:
	s_getpc_b64 s[48:49]
.Lpost_getpc222:
	s_add_u32 s48, s48, (.LBB4_11221-.Lpost_getpc222)&4294967295
	s_addc_u32 s49, s49, (.LBB4_11221-.Lpost_getpc222)>>32
	s_setpc_b64 s[48:49]
.LBB4_4676:                             ;   in Loop: Header=BB4_1895 Depth=3
	s_or_b32 exec_lo, exec_lo, s31
	s_cbranch_execz .LBB4_4677
; %bb.11629:
	s_getpc_b64 s[48:49]
.Lpost_getpc223:
	s_add_u32 s48, s48, (.LBB4_11197-.Lpost_getpc223)&4294967295
	s_addc_u32 s49, s49, (.LBB4_11197-.Lpost_getpc223)>>32
	s_setpc_b64 s[48:49]
.LBB4_4677:                             ;   in Loop: Header=BB4_1895 Depth=3
	ds_load_b64 v[8:9], v0
	v_add_co_u32 v32, vcc_lo, v32, v81
	v_add_co_ci_u32_e32 v33, vcc_lo, 0, v33, vcc_lo
	s_mov_b32 s31, exec_lo
	s_waitcnt lgkmcnt(0)
	s_delay_alu instid0(VALU_DEP_1)
	v_cmpx_lt_u64_e64 v[8:9], v[32:33]
	s_cbranch_execz .LBB4_4688
; %bb.4678:                             ;   in Loop: Header=BB4_1895 Depth=3
	s_mov_b32 s34, 0
	s_mov_b32 s37, 0
                                        ; implicit-def: $sgpr35
                                        ; implicit-def: $sgpr36
	s_branch .LBB4_4680
.LBB4_4679:                             ;   in Loop: Header=BB4_4680 Depth=4
	s_or_b32 exec_lo, exec_lo, s39
	s_delay_alu instid0(SALU_CYCLE_1) | instskip(NEXT) | instid1(SALU_CYCLE_1)
	s_and_b32 vcc_lo, exec_lo, vcc_lo
	s_or_b32 s34, vcc_lo, s34
	s_and_not1_b32 vcc_lo, s35, exec_lo
	s_and_b32 s35, s36, exec_lo
	s_delay_alu instid0(SALU_CYCLE_1)
	s_or_b32 s35, vcc_lo, s35
	s_and_not1_b32 exec_lo, exec_lo, s34
	s_cbranch_execz .LBB4_4686
.LBB4_4680:                             ;   Parent Loop BB4_51 Depth=1
                                        ;     Parent Loop BB4_1893 Depth=2
                                        ;       Parent Loop BB4_1895 Depth=3
                                        ; =>      This Inner Loop Header: Depth=4
	s_add_i32 s37, s37, 1
                                        ; implicit-def: $sgpr39
	s_delay_alu instid0(SALU_CYCLE_1) | instskip(SKIP_1) | instid1(SALU_CYCLE_1)
	s_cmpk_lg_i32 s37, 0x2710
	s_cselect_b32 s38, -1, 0
	s_and_b32 vcc_lo, exec_lo, s38
	s_cbranch_vccz .LBB4_4684
.LBB4_4681:                             ;   in Loop: Header=BB4_4680 Depth=4
	s_and_not1_b32 s36, s36, exec_lo
	s_and_b32 s39, s39, exec_lo
	s_mov_b32 vcc_lo, -1
	s_or_b32 s36, s36, s39
	s_and_saveexec_b32 s39, s38
	s_cbranch_execz .LBB4_4679
; %bb.4682:                             ;   in Loop: Header=BB4_4680 Depth=4
	s_sleep 1
	s_cbranch_execz .LBB4_4683
; %bb.11631:
	s_getpc_b64 s[48:49]
.Lpost_getpc224:
	s_add_u32 s48, s48, (.LBB4_11275-.Lpost_getpc224)&4294967295
	s_addc_u32 s49, s49, (.LBB4_11275-.Lpost_getpc224)>>32
	s_setpc_b64 s[48:49]
.LBB4_4683:                             ;   in Loop: Header=BB4_4680 Depth=4
	ds_load_b64 v[8:9], v0
	s_and_not1_b32 s36, s36, exec_lo
	s_waitcnt lgkmcnt(0)
	v_cmp_ge_u64_e32 vcc_lo, v[8:9], v[32:33]
	s_or_not1_b32 vcc_lo, vcc_lo, exec_lo
	s_branch .LBB4_4679
.LBB4_4684:                             ;   in Loop: Header=BB4_4680 Depth=4
	s_cbranch_execz .LBB4_4685
; %bb.11633:
	s_getpc_b64 s[48:49]
.Lpost_getpc225:
	s_add_u32 s48, s48, (.LBB4_11297-.Lpost_getpc225)&4294967295
	s_addc_u32 s49, s49, (.LBB4_11297-.Lpost_getpc225)>>32
	s_setpc_b64 s[48:49]
.LBB4_4685:                             ;   in Loop: Header=BB4_4680 Depth=4
	ds_load_b64 v[8:9], v0
	s_and_not1_b32 s38, s38, exec_lo
	s_mov_b32 s37, 0
	s_mov_b32 s39, -1
	s_waitcnt lgkmcnt(0)
	s_waitcnt_vscnt null, 0x0
	flat_load_b32 v2, v[8:9] glc
	s_waitcnt vmcnt(0) lgkmcnt(0)
	buffer_gl1_inv
	buffer_gl0_inv
	v_cmp_eq_u32_e32 vcc_lo, 0, v2
	s_and_b32 vcc_lo, vcc_lo, exec_lo
	s_delay_alu instid0(SALU_CYCLE_1)
	s_or_b32 s38, s38, vcc_lo
	s_branch .LBB4_4681
.LBB4_4686:                             ;   in Loop: Header=BB4_1895 Depth=3
	s_or_b32 exec_lo, exec_lo, s34
	s_and_saveexec_b32 vcc_lo, s35
	s_delay_alu instid0(SALU_CYCLE_1)
	s_xor_b32 vcc_lo, exec_lo, vcc_lo
	s_cbranch_execz .LBB4_4688
; %bb.4687:                             ;   in Loop: Header=BB4_1895 Depth=3
	ds_store_b32 v0, v118
	s_cbranch_execz .LBB4_4688
; %bb.11635:
	s_getpc_b64 s[48:49]
.Lpost_getpc226:
	s_add_u32 s48, s48, (.LBB4_11423-.Lpost_getpc226)&4294967295
	s_addc_u32 s49, s49, (.LBB4_11423-.Lpost_getpc226)>>32
	s_setpc_b64 s[48:49]
.LBB4_4688:                             ;   in Loop: Header=BB4_1895 Depth=3
	s_or_b32 exec_lo, exec_lo, s31
	;;#ASMSTART
	s_wakeup
	;;#ASMEND
.LBB4_4689:                             ;   in Loop: Header=BB4_1895 Depth=3
	s_or_b32 exec_lo, exec_lo, s30
.LBB4_4690:                             ;   in Loop: Header=BB4_1895 Depth=3
	s_and_not1_saveexec_b32 s14, s14
	s_cbranch_execz .LBB4_4692
; %bb.4691:                             ;   in Loop: Header=BB4_1895 Depth=3
	;;#ASMSTART
	s_waitcnt lgkmcnt(0) vmcnt(0)
	;;#ASMEND
	s_waitcnt lgkmcnt(0)
	s_waitcnt_vscnt null, 0x0
	s_barrier
.LBB4_4692:                             ;   in Loop: Header=BB4_1895 Depth=3
	s_or_b32 exec_lo, exec_lo, s14
	v_and_b32_e32 v2, 16, v30
.LBB4_4693:                             ;   in Loop: Header=BB4_1895 Depth=3
	s_or_b32 exec_lo, exec_lo, s13
	s_delay_alu instid0(VALU_DEP_1) | instskip(SKIP_1) | instid1(SALU_CYCLE_1)
	v_cmp_ne_u32_e32 vcc_lo, 0, v2
	s_xor_b32 s13, s10, -1
	s_and_b32 s14, vcc_lo, s13
	s_delay_alu instid0(SALU_CYCLE_1)
	s_and_saveexec_b32 s13, s14
	s_cbranch_execz .LBB4_4695
; %bb.4694:                             ;   in Loop: Header=BB4_1895 Depth=3
	s_waitcnt lgkmcnt(0)
	s_waitcnt_vscnt null, 0x0
	flat_store_b32 v[28:29], v118
.LBB4_4695:                             ;   in Loop: Header=BB4_1895 Depth=3
	s_or_b32 exec_lo, exec_lo, s13
	v_and_b32_e32 v2, 48, v30
	s_mov_b32 s13, exec_lo
	s_delay_alu instid0(VALU_DEP_1)
	v_cmpx_ne_u32_e32 0, v2
	s_cbranch_execz .LBB4_4697
; %bb.4696:                             ;   in Loop: Header=BB4_1895 Depth=3
	v_add_co_u32 v24, vcc_lo, v24, 2
	v_add_co_ci_u32_e32 v25, vcc_lo, 0, v25, vcc_lo
	s_waitcnt lgkmcnt(0)
	s_waitcnt_vscnt null, 0x0
	flat_store_b64 v[22:23], v[24:25]
.LBB4_4697:                             ;   in Loop: Header=BB4_1895 Depth=3
	s_or_b32 exec_lo, exec_lo, s13
	v_add_nc_u32_e32 v130, v52, v130
	v_readlane_b32 s13, v122, 10
	v_readlane_b32 s35, v122, 5
	;; [unrolled: 1-line block ×4, first 2 shown]
	v_cmp_ge_i32_e32 vcc_lo, v130, v129
	s_xor_b32 s13, s13, -1
	v_readlane_b32 s31, v122, 1
	s_mov_b32 s36, 0
	s_mov_b32 s37, 2
	s_or_b32 s13, s13, vcc_lo
	s_delay_alu instid0(SALU_CYCLE_1) | instskip(SKIP_3) | instid1(VALU_DEP_2)
	s_and_b32 s14, exec_lo, s13
	v_readlane_b32 s13, v122, 11
	s_or_b32 s17, s14, s17
	v_readlane_b32 s14, v122, 3
	v_mov_b32_e32 v2, s13
	s_and_not1_b32 exec_lo, exec_lo, s17
	s_cbranch_execnz .LBB4_1895
; %bb.4698:                             ;   in Loop: Header=BB4_1893 Depth=2
	s_or_b32 exec_lo, exec_lo, s17
.LBB4_4699:                             ;   in Loop: Header=BB4_1893 Depth=2
	s_delay_alu instid0(SALU_CYCLE_1) | instskip(NEXT) | instid1(SALU_CYCLE_1)
	s_or_b32 exec_lo, exec_lo, s16
	s_mov_b32 s16, exec_lo
	v_cmpx_gt_i32_e32 2, v2
	s_cbranch_execz .LBB4_4783
; %bb.4700:                             ;   in Loop: Header=BB4_1893 Depth=2
	v_cmp_eq_u32_e64 s13, 0, v2
	s_mov_b32 s17, 0
.LBB4_4701:                             ;   Parent Loop BB4_51 Depth=1
                                        ;     Parent Loop BB4_1893 Depth=2
                                        ; =>    This Loop Header: Depth=3
                                        ;         Child Loop BB4_4707 Depth 4
                                        ;         Child Loop BB4_4737 Depth 4
	;; [unrolled: 1-line block ×3, first 2 shown]
	v_and_b32_e32 v2, 12, v30
	s_mov_b32 s37, -1
	s_mov_b32 s36, exec_lo
	s_delay_alu instid0(VALU_DEP_1)
	v_cmpx_ne_u32_e32 0, v2
	s_cbranch_execz .LBB4_4715
; %bb.4702:                             ;   in Loop: Header=BB4_4701 Depth=3
	v_and_b32_e32 v2, 8, v30
	s_delay_alu instid0(VALU_DEP_1) | instskip(SKIP_3) | instid1(VALU_DEP_1)
	v_add_co_u32 v10, vcc_lo, v34, v2
	v_add_co_ci_u32_e32 v11, vcc_lo, 0, v35, vcc_lo
	v_add_co_u32 v8, vcc_lo, v24, 2
	v_add_co_ci_u32_e32 v9, vcc_lo, 0, v25, vcc_lo
	v_cmp_lt_u64_e32 vcc_lo, v[10:11], v[8:9]
	v_mov_b32_e32 v10, 1
	s_and_saveexec_b32 s37, vcc_lo
	s_cbranch_execz .LBB4_4714
; %bb.4703:                             ;   in Loop: Header=BB4_4701 Depth=3
	v_mov_b32_e32 v10, 0
	s_mov_b32 s38, 0
                                        ; implicit-def: $sgpr39
	s_branch .LBB4_4707
.LBB4_4704:                             ;   in Loop: Header=BB4_4707 Depth=4
	s_or_b32 exec_lo, exec_lo, s43
	v_mov_b32_e32 v11, 0
	s_or_not1_b32 s42, s42, exec_lo
.LBB4_4705:                             ;   in Loop: Header=BB4_4707 Depth=4
	s_or_b32 exec_lo, exec_lo, s41
	s_delay_alu instid0(VALU_DEP_1) | instskip(SKIP_2) | instid1(SALU_CYCLE_1)
	v_mov_b32_e32 v10, v11
	s_and_not1_b32 vcc_lo, s39, exec_lo
	s_and_b32 s39, s42, exec_lo
	s_or_b32 s39, vcc_lo, s39
.LBB4_4706:                             ;   in Loop: Header=BB4_4707 Depth=4
	s_or_b32 exec_lo, exec_lo, s40
	s_waitcnt vmcnt(0) lgkmcnt(0)
	v_add_co_u32 v11, vcc_lo, v34, v2
	v_add_co_ci_u32_e32 v12, vcc_lo, 0, v35, vcc_lo
	s_xor_b32 s40, s39, -1
	s_delay_alu instid0(VALU_DEP_1) | instskip(SKIP_1) | instid1(SALU_CYCLE_1)
	v_cmp_ge_u64_e32 vcc_lo, v[11:12], v[8:9]
	s_or_b32 vcc_lo, s40, vcc_lo
	s_and_b32 vcc_lo, exec_lo, vcc_lo
	s_delay_alu instid0(SALU_CYCLE_1) | instskip(NEXT) | instid1(SALU_CYCLE_1)
	s_or_b32 s38, vcc_lo, s38
	s_and_not1_b32 exec_lo, exec_lo, s38
	s_cbranch_execz .LBB4_4713
.LBB4_4707:                             ;   Parent Loop BB4_51 Depth=1
                                        ;     Parent Loop BB4_1893 Depth=2
                                        ;       Parent Loop BB4_4701 Depth=3
                                        ; =>      This Inner Loop Header: Depth=4
	s_sleep 1
	flat_load_b64 v[34:35], v[22:23] glc
	v_and_b32_e32 v11, 64, v30
	s_and_not1_b32 s39, s39, exec_lo
	s_mov_b32 s40, exec_lo
	s_delay_alu instid0(VALU_DEP_1)
	v_cmpx_eq_u32_e32 0, v11
	s_cbranch_execz .LBB4_4706
; %bb.4708:                             ;   in Loop: Header=BB4_4707 Depth=4
	v_add_nc_u32_e32 v11, 1, v10
	s_mov_b32 s42, -1
	s_mov_b32 s41, exec_lo
	v_cmpx_lt_i32_e32 0x270e, v10
	s_cbranch_execz .LBB4_4705
; %bb.4709:                             ;   in Loop: Header=BB4_4707 Depth=4
	s_cbranch_execz .LBB4_4710
; %bb.11637:
	s_getpc_b64 s[48:49]
.Lpost_getpc227:
	s_add_u32 s48, s48, (.LBB4_11005-.Lpost_getpc227)&4294967295
	s_addc_u32 s49, s49, (.LBB4_11005-.Lpost_getpc227)>>32
	s_setpc_b64 s[48:49]
.LBB4_4710:                             ;   in Loop: Header=BB4_4707 Depth=4
	ds_load_b64 v[10:11], v0
	s_mov_b32 s43, exec_lo
	s_waitcnt vmcnt(0) lgkmcnt(0)
	s_waitcnt_vscnt null, 0x0
	flat_load_b32 v10, v[10:11] glc
	s_waitcnt vmcnt(0) lgkmcnt(0)
	buffer_gl1_inv
	buffer_gl0_inv
	v_cmpx_ne_u32_e32 0, v10
	s_cbranch_execz .LBB4_4704
; %bb.4711:                             ;   in Loop: Header=BB4_4707 Depth=4
	ds_store_b32 v0, v10
	s_cbranch_execz .LBB4_4712
; %bb.11639:
	s_getpc_b64 s[48:49]
.Lpost_getpc228:
	s_add_u32 s48, s48, (.LBB4_11055-.Lpost_getpc228)&4294967295
	s_addc_u32 s49, s49, (.LBB4_11055-.Lpost_getpc228)>>32
	s_setpc_b64 s[48:49]
.LBB4_4712:                             ;   in Loop: Header=BB4_4707 Depth=4
	v_or_b32_e32 v30, 64, v30
	s_xor_b32 s42, exec_lo, -1
	s_branch .LBB4_4704
.LBB4_4713:                             ;   in Loop: Header=BB4_4701 Depth=3
	s_or_b32 exec_lo, exec_lo, s38
	v_and_b32_e32 v10, 12, v30
.LBB4_4714:                             ;   in Loop: Header=BB4_4701 Depth=3
	s_or_b32 exec_lo, exec_lo, s37
	s_delay_alu instid0(VALU_DEP_1)
	v_cmp_eq_u32_e32 vcc_lo, 0, v10
	;;#ASMSTART
	s_wakeup
	;;#ASMEND
	s_or_not1_b32 s37, vcc_lo, exec_lo
.LBB4_4715:                             ;   in Loop: Header=BB4_4701 Depth=3
	s_or_b32 exec_lo, exec_lo, s36
	v_sub_nc_u32_e32 v2, v129, v130
	s_xor_b32 s13, s13, -1
	s_delay_alu instid0(SALU_CYCLE_1) | instskip(NEXT) | instid1(SALU_CYCLE_1)
	s_and_b32 s13, exec_lo, s13
	s_or_b32 s17, s13, s17
	s_delay_alu instid0(VALU_DEP_1) | instskip(SKIP_1) | instid1(SALU_CYCLE_1)
	v_min_i32_e32 v52, v52, v2
	s_xor_b32 s13, s37, -1
	s_and_saveexec_b32 s36, s13
	s_cbranch_execz .LBB4_4728
; %bb.4716:                             ;   in Loop: Header=BB4_4701 Depth=3
	v_and_b32_e32 v2, 0x108, v30
	s_delay_alu instid0(VALU_DEP_1) | instskip(SKIP_2) | instid1(SALU_CYCLE_1)
	v_cmp_ne_u32_e32 vcc_lo, 0x108, v2
	v_and_b32_e32 v2, 7, v24
	s_and_saveexec_b32 s13, vcc_lo
	s_xor_b32 s13, exec_lo, s13
	s_delay_alu instid0(SALU_CYCLE_1)
	s_and_not1_saveexec_b32 s13, s13
	s_cbranch_execz .LBB4_4718
; %bb.4717:                             ;   in Loop: Header=BB4_4701 Depth=3
	v_mad_u64_u32 v[8:9], null, v2, 24, v[6:7]
	v_ashrrev_i32_e32 v53, 31, v52
	flat_store_b64 v[8:9], v[52:53] offset:8
.LBB4_4718:                             ;   in Loop: Header=BB4_4701 Depth=3
	s_or_b32 exec_lo, exec_lo, s13
	v_and_b32_e32 v8, 0x100, v30
	s_mov_b32 s13, -1
	s_delay_alu instid0(VALU_DEP_1)
	v_cmp_ne_u32_e32 vcc_lo, 0, v8
                                        ; implicit-def: $vgpr8_vgpr9
	s_and_saveexec_b32 s37, vcc_lo
	s_cbranch_execnz .LBB4_4721
; %bb.4719:                             ;   in Loop: Header=BB4_4701 Depth=3
	s_or_b32 exec_lo, exec_lo, s37
	s_and_saveexec_b32 vcc_lo, s13
	s_cbranch_execnz .LBB4_4724
.LBB4_4720:                             ;   in Loop: Header=BB4_4701 Depth=3
	s_or_b32 exec_lo, exec_lo, vcc_lo
	s_cbranch_execz .LBB4_4725
; %bb.11641:
	s_getpc_b64 s[48:49]
.Lpost_getpc229:
	s_add_u32 s48, s48, (.LBB4_10997-.Lpost_getpc229)&4294967295
	s_addc_u32 s49, s49, (.LBB4_10997-.Lpost_getpc229)>>32
	s_setpc_b64 s[48:49]
.LBB4_4721:                             ;   in Loop: Header=BB4_4701 Depth=3
	v_mad_u64_u32 v[10:11], null, v2, 24, v[6:7]
	s_delay_alu instid0(VALU_DEP_1) | instskip(NEXT) | instid1(VALU_DEP_1)
	v_mov_b32_e32 v8, v11
	v_mad_u64_u32 v[11:12], null, v3, 24, v[8:9]
	flat_load_b32 v8, v[10:11]
	s_waitcnt vmcnt(0) lgkmcnt(0)
	v_cmp_ne_u32_e32 vcc_lo, 1, v8
	v_cmp_eq_u32_e64 s13, 1, v8
                                        ; implicit-def: $vgpr8_vgpr9
	s_delay_alu instid0(VALU_DEP_1)
	s_and_saveexec_b32 s38, s13
	s_cbranch_execz .LBB4_4723
; %bb.4722:                             ;   in Loop: Header=BB4_4701 Depth=3
	flat_load_b32 v8, v[10:11] offset:4 glc
	s_waitcnt vmcnt(0) lgkmcnt(0)
	v_ashrrev_i32_e32 v9, 31, v8
.LBB4_4723:                             ;   in Loop: Header=BB4_4701 Depth=3
	s_or_b32 exec_lo, exec_lo, s38
	s_delay_alu instid0(SALU_CYCLE_1)
	s_or_not1_b32 s13, vcc_lo, exec_lo
	s_or_b32 exec_lo, exec_lo, s37
	s_and_saveexec_b32 vcc_lo, s13
	s_cbranch_execz .LBB4_4720
.LBB4_4724:                             ;   in Loop: Header=BB4_4701 Depth=3
	v_mul_lo_u32 v10, v3, v70
	v_mul_lo_u32 v11, v2, v80
	v_mad_u64_u32 v[8:9], null, v2, v70, 0
	s_delay_alu instid0(VALU_DEP_1)
	v_add3_u32 v9, v9, v11, v10
	s_or_b32 exec_lo, exec_lo, vcc_lo
	s_cbranch_execz .LBB4_4725
; %bb.11643:
	s_getpc_b64 s[48:49]
.Lpost_getpc230:
	s_add_u32 s48, s48, (.LBB4_10997-.Lpost_getpc230)&4294967295
	s_addc_u32 s49, s49, (.LBB4_10997-.Lpost_getpc230)>>32
	s_setpc_b64 s[48:49]
.LBB4_4725:                             ;   in Loop: Header=BB4_4701 Depth=3
	s_delay_alu instid0(VALU_DEP_2)
	v_add_co_u32 v8, vcc_lo, v26, v8
	v_and_b32_e32 v2, 0x2000, v30
	v_add_co_ci_u32_e32 v9, vcc_lo, v27, v9, vcc_lo
	s_mov_b32 s13, exec_lo
	ds_store_b64 v0, v[8:9]
	v_cmpx_ne_u32_e32 0, v2
	s_cbranch_execz .LBB4_4727
; %bb.4726:                             ;   in Loop: Header=BB4_4701 Depth=3
	ds_load_b64 v[8:9], v0 offset:584
	s_waitcnt lgkmcnt(0)
	v_add_co_u32 v8, vcc_lo, v8, 1
	v_add_co_ci_u32_e32 v9, vcc_lo, 0, v9, vcc_lo
	ds_store_b64 v0, v[8:9] offset:584
.LBB4_4727:                             ;   in Loop: Header=BB4_4701 Depth=3
	s_or_b32 exec_lo, exec_lo, s13
	v_add_co_u32 v24, vcc_lo, v24, 2
	v_add_co_ci_u32_e32 v25, vcc_lo, 0, v25, vcc_lo
.LBB4_4728:                             ;   in Loop: Header=BB4_4701 Depth=3
	s_or_b32 exec_lo, exec_lo, s36
	s_and_saveexec_b32 s13, s3
	s_cbranch_execz .LBB4_4750
; %bb.4729:                             ;   in Loop: Header=BB4_4701 Depth=3
	s_and_saveexec_b32 vcc_lo, s4
	s_delay_alu instid0(SALU_CYCLE_1)
	s_xor_b32 s36, exec_lo, vcc_lo
	s_cbranch_execz .LBB4_4747
; %bb.4730:                             ;   in Loop: Header=BB4_4701 Depth=3
	s_and_saveexec_b32 s37, s1
	s_cbranch_execz .LBB4_4746
; %bb.4731:                             ;   in Loop: Header=BB4_4701 Depth=3
	s_mov_b32 s39, exec_lo
	s_mov_b32 s38, exec_lo
	v_mbcnt_lo_u32_b32 v2, s39, 0
	s_waitcnt lgkmcnt(0)
	s_waitcnt_vscnt null, 0x0
	buffer_gl1_inv
	buffer_gl0_inv
	v_cmpx_eq_u32_e32 0, v2
	s_cbranch_execz .LBB4_4733
; %bb.4732:                             ;   in Loop: Header=BB4_4701 Depth=3
	s_bcnt1_i32_b32 vcc_lo, s39
	s_delay_alu instid0(SALU_CYCLE_1)
	v_mov_b32_e32 v2, vcc_lo
	ds_add_u64 v0, v[2:3]
	s_cbranch_execz .LBB4_4733
; %bb.11645:
	s_getpc_b64 s[48:49]
.Lpost_getpc231:
	s_add_u32 s48, s48, (.LBB4_11107-.Lpost_getpc231)&4294967295
	s_addc_u32 s49, s49, (.LBB4_11107-.Lpost_getpc231)>>32
	s_setpc_b64 s[48:49]
.LBB4_4733:                             ;   in Loop: Header=BB4_4701 Depth=3
	s_or_b32 exec_lo, exec_lo, s38
	s_cbranch_execz .LBB4_4734
; %bb.11647:
	s_getpc_b64 s[48:49]
.Lpost_getpc232:
	s_add_u32 s48, s48, (.LBB4_11075-.Lpost_getpc232)&4294967295
	s_addc_u32 s49, s49, (.LBB4_11075-.Lpost_getpc232)>>32
	s_setpc_b64 s[48:49]
.LBB4_4734:                             ;   in Loop: Header=BB4_4701 Depth=3
	ds_load_b64 v[8:9], v0
	v_add_co_u32 v32, vcc_lo, v32, v81
	v_add_co_ci_u32_e32 v33, vcc_lo, 0, v33, vcc_lo
	s_mov_b32 s38, exec_lo
	s_waitcnt lgkmcnt(0)
	s_delay_alu instid0(VALU_DEP_1)
	v_cmpx_lt_u64_e64 v[8:9], v[32:33]
	s_cbranch_execz .LBB4_4745
; %bb.4735:                             ;   in Loop: Header=BB4_4701 Depth=3
	s_mov_b32 s39, 0
	s_mov_b32 s42, 0
                                        ; implicit-def: $sgpr40
                                        ; implicit-def: $sgpr41
	s_branch .LBB4_4737
.LBB4_4736:                             ;   in Loop: Header=BB4_4737 Depth=4
	s_or_b32 exec_lo, exec_lo, s44
	s_delay_alu instid0(SALU_CYCLE_1) | instskip(NEXT) | instid1(SALU_CYCLE_1)
	s_and_b32 vcc_lo, exec_lo, vcc_lo
	s_or_b32 s39, vcc_lo, s39
	s_and_not1_b32 vcc_lo, s40, exec_lo
	s_and_b32 s40, s41, exec_lo
	s_delay_alu instid0(SALU_CYCLE_1)
	s_or_b32 s40, vcc_lo, s40
	s_and_not1_b32 exec_lo, exec_lo, s39
	s_cbranch_execz .LBB4_4743
.LBB4_4737:                             ;   Parent Loop BB4_51 Depth=1
                                        ;     Parent Loop BB4_1893 Depth=2
                                        ;       Parent Loop BB4_4701 Depth=3
                                        ; =>      This Inner Loop Header: Depth=4
	s_add_i32 s42, s42, 1
                                        ; implicit-def: $sgpr44
	s_delay_alu instid0(SALU_CYCLE_1) | instskip(SKIP_1) | instid1(SALU_CYCLE_1)
	s_cmpk_lg_i32 s42, 0x2710
	s_cselect_b32 s43, -1, 0
	s_and_b32 vcc_lo, exec_lo, s43
	s_cbranch_vccz .LBB4_4741
.LBB4_4738:                             ;   in Loop: Header=BB4_4737 Depth=4
	s_and_not1_b32 s41, s41, exec_lo
	s_and_b32 s44, s44, exec_lo
	s_mov_b32 vcc_lo, -1
	s_or_b32 s41, s41, s44
	s_and_saveexec_b32 s44, s43
	s_cbranch_execz .LBB4_4736
; %bb.4739:                             ;   in Loop: Header=BB4_4737 Depth=4
	s_sleep 1
	s_cbranch_execz .LBB4_4740
; %bb.11649:
	s_getpc_b64 s[48:49]
.Lpost_getpc233:
	s_add_u32 s48, s48, (.LBB4_11157-.Lpost_getpc233)&4294967295
	s_addc_u32 s49, s49, (.LBB4_11157-.Lpost_getpc233)>>32
	s_setpc_b64 s[48:49]
.LBB4_4740:                             ;   in Loop: Header=BB4_4737 Depth=4
	ds_load_b64 v[8:9], v0
	s_and_not1_b32 s41, s41, exec_lo
	s_waitcnt lgkmcnt(0)
	v_cmp_ge_u64_e32 vcc_lo, v[8:9], v[32:33]
	s_or_not1_b32 vcc_lo, vcc_lo, exec_lo
	s_branch .LBB4_4736
.LBB4_4741:                             ;   in Loop: Header=BB4_4737 Depth=4
	s_cbranch_execz .LBB4_4742
; %bb.11651:
	s_getpc_b64 s[48:49]
.Lpost_getpc234:
	s_add_u32 s48, s48, (.LBB4_11171-.Lpost_getpc234)&4294967295
	s_addc_u32 s49, s49, (.LBB4_11171-.Lpost_getpc234)>>32
	s_setpc_b64 s[48:49]
.LBB4_4742:                             ;   in Loop: Header=BB4_4737 Depth=4
	ds_load_b64 v[8:9], v0
	s_and_not1_b32 s43, s43, exec_lo
	s_mov_b32 s42, 0
	s_mov_b32 s44, -1
	s_waitcnt lgkmcnt(0)
	flat_load_b32 v2, v[8:9] glc
	s_waitcnt vmcnt(0) lgkmcnt(0)
	buffer_gl1_inv
	buffer_gl0_inv
	v_cmp_eq_u32_e32 vcc_lo, 0, v2
	s_and_b32 vcc_lo, vcc_lo, exec_lo
	s_delay_alu instid0(SALU_CYCLE_1)
	s_or_b32 s43, s43, vcc_lo
	s_branch .LBB4_4738
.LBB4_4743:                             ;   in Loop: Header=BB4_4701 Depth=3
	s_or_b32 exec_lo, exec_lo, s39
	s_and_saveexec_b32 vcc_lo, s40
	s_delay_alu instid0(SALU_CYCLE_1)
	s_xor_b32 vcc_lo, exec_lo, vcc_lo
	s_cbranch_execz .LBB4_4745
; %bb.4744:                             ;   in Loop: Header=BB4_4701 Depth=3
	ds_store_b32 v0, v118
	s_cbranch_execz .LBB4_4745
; %bb.11653:
	s_getpc_b64 s[48:49]
.Lpost_getpc235:
	s_add_u32 s48, s48, (.LBB4_11381-.Lpost_getpc235)&4294967295
	s_addc_u32 s49, s49, (.LBB4_11381-.Lpost_getpc235)>>32
	s_setpc_b64 s[48:49]
.LBB4_4745:                             ;   in Loop: Header=BB4_4701 Depth=3
	s_or_b32 exec_lo, exec_lo, s38
	;;#ASMSTART
	s_wakeup
	;;#ASMEND
.LBB4_4746:                             ;   in Loop: Header=BB4_4701 Depth=3
	s_or_b32 exec_lo, exec_lo, s37
.LBB4_4747:                             ;   in Loop: Header=BB4_4701 Depth=3
	s_and_not1_saveexec_b32 vcc_lo, s36
	s_cbranch_execz .LBB4_4749
; %bb.4748:                             ;   in Loop: Header=BB4_4701 Depth=3
	s_waitcnt lgkmcnt(0)
	s_waitcnt_vscnt null, 0x0
	buffer_gl1_inv
	buffer_gl0_inv
	s_barrier
.LBB4_4749:                             ;   in Loop: Header=BB4_4701 Depth=3
	s_or_b32 exec_lo, exec_lo, vcc_lo
.LBB4_4750:                             ;   in Loop: Header=BB4_4701 Depth=3
	s_delay_alu instid0(SALU_CYCLE_1) | instskip(SKIP_1) | instid1(SALU_CYCLE_1)
	s_or_b32 exec_lo, exec_lo, s13
                                        ; implicit-def: $vgpr2
	s_and_saveexec_b32 s13, vcc_hi
	s_xor_b32 s13, exec_lo, s13
	s_cbranch_execz .LBB4_4772
; %bb.4751:                             ;   in Loop: Header=BB4_4701 Depth=3
	s_and_saveexec_b32 vcc_lo, s4
	s_delay_alu instid0(SALU_CYCLE_1)
	s_xor_b32 s36, exec_lo, vcc_lo
	s_cbranch_execz .LBB4_4769
; %bb.4752:                             ;   in Loop: Header=BB4_4701 Depth=3
	s_and_saveexec_b32 s37, s1
	s_cbranch_execz .LBB4_4768
; %bb.4753:                             ;   in Loop: Header=BB4_4701 Depth=3
	s_mov_b32 s39, exec_lo
	s_mov_b32 s38, exec_lo
	v_mbcnt_lo_u32_b32 v2, s39, 0
	;;#ASMSTART
	s_waitcnt lgkmcnt(0) vmcnt(0)
	;;#ASMEND
	s_delay_alu instid0(VALU_DEP_1)
	v_cmpx_eq_u32_e32 0, v2
	s_cbranch_execz .LBB4_4755
; %bb.4754:                             ;   in Loop: Header=BB4_4701 Depth=3
	s_bcnt1_i32_b32 vcc_lo, s39
	s_delay_alu instid0(SALU_CYCLE_1)
	v_mov_b32_e32 v2, vcc_lo
	ds_add_u64 v0, v[2:3]
	s_cbranch_execz .LBB4_4755
; %bb.11655:
	s_getpc_b64 s[48:49]
.Lpost_getpc236:
	s_add_u32 s48, s48, (.LBB4_11115-.Lpost_getpc236)&4294967295
	s_addc_u32 s49, s49, (.LBB4_11115-.Lpost_getpc236)>>32
	s_setpc_b64 s[48:49]
.LBB4_4755:                             ;   in Loop: Header=BB4_4701 Depth=3
	s_or_b32 exec_lo, exec_lo, s38
	s_cbranch_execz .LBB4_4756
; %bb.11657:
	s_getpc_b64 s[48:49]
.Lpost_getpc237:
	s_add_u32 s48, s48, (.LBB4_11083-.Lpost_getpc237)&4294967295
	s_addc_u32 s49, s49, (.LBB4_11083-.Lpost_getpc237)>>32
	s_setpc_b64 s[48:49]
.LBB4_4756:                             ;   in Loop: Header=BB4_4701 Depth=3
	ds_load_b64 v[8:9], v0
	v_add_co_u32 v32, vcc_lo, v32, v81
	v_add_co_ci_u32_e32 v33, vcc_lo, 0, v33, vcc_lo
	s_mov_b32 s38, exec_lo
	s_waitcnt lgkmcnt(0)
	s_delay_alu instid0(VALU_DEP_1)
	v_cmpx_lt_u64_e64 v[8:9], v[32:33]
	s_cbranch_execz .LBB4_4767
; %bb.4757:                             ;   in Loop: Header=BB4_4701 Depth=3
	s_mov_b32 s39, 0
	s_mov_b32 s42, 0
                                        ; implicit-def: $sgpr40
                                        ; implicit-def: $sgpr41
	s_branch .LBB4_4759
.LBB4_4758:                             ;   in Loop: Header=BB4_4759 Depth=4
	s_or_b32 exec_lo, exec_lo, s44
	s_delay_alu instid0(SALU_CYCLE_1) | instskip(NEXT) | instid1(SALU_CYCLE_1)
	s_and_b32 vcc_lo, exec_lo, vcc_lo
	s_or_b32 s39, vcc_lo, s39
	s_and_not1_b32 vcc_lo, s40, exec_lo
	s_and_b32 s40, s41, exec_lo
	s_delay_alu instid0(SALU_CYCLE_1)
	s_or_b32 s40, vcc_lo, s40
	s_and_not1_b32 exec_lo, exec_lo, s39
	s_cbranch_execz .LBB4_4765
.LBB4_4759:                             ;   Parent Loop BB4_51 Depth=1
                                        ;     Parent Loop BB4_1893 Depth=2
                                        ;       Parent Loop BB4_4701 Depth=3
                                        ; =>      This Inner Loop Header: Depth=4
	s_add_i32 s42, s42, 1
                                        ; implicit-def: $sgpr44
	s_delay_alu instid0(SALU_CYCLE_1) | instskip(SKIP_1) | instid1(SALU_CYCLE_1)
	s_cmpk_lg_i32 s42, 0x2710
	s_cselect_b32 s43, -1, 0
	s_and_b32 vcc_lo, exec_lo, s43
	s_cbranch_vccz .LBB4_4763
.LBB4_4760:                             ;   in Loop: Header=BB4_4759 Depth=4
	s_and_not1_b32 s41, s41, exec_lo
	s_and_b32 s44, s44, exec_lo
	s_mov_b32 vcc_lo, -1
	s_or_b32 s41, s41, s44
	s_and_saveexec_b32 s44, s43
	s_cbranch_execz .LBB4_4758
; %bb.4761:                             ;   in Loop: Header=BB4_4759 Depth=4
	s_sleep 1
	s_cbranch_execz .LBB4_4762
; %bb.11659:
	s_getpc_b64 s[48:49]
.Lpost_getpc238:
	s_add_u32 s48, s48, (.LBB4_11163-.Lpost_getpc238)&4294967295
	s_addc_u32 s49, s49, (.LBB4_11163-.Lpost_getpc238)>>32
	s_setpc_b64 s[48:49]
.LBB4_4762:                             ;   in Loop: Header=BB4_4759 Depth=4
	ds_load_b64 v[8:9], v0
	s_and_not1_b32 s41, s41, exec_lo
	s_waitcnt lgkmcnt(0)
	v_cmp_ge_u64_e32 vcc_lo, v[8:9], v[32:33]
	s_or_not1_b32 vcc_lo, vcc_lo, exec_lo
	s_branch .LBB4_4758
.LBB4_4763:                             ;   in Loop: Header=BB4_4759 Depth=4
	s_cbranch_execz .LBB4_4764
; %bb.11661:
	s_getpc_b64 s[48:49]
.Lpost_getpc239:
	s_add_u32 s48, s48, (.LBB4_11183-.Lpost_getpc239)&4294967295
	s_addc_u32 s49, s49, (.LBB4_11183-.Lpost_getpc239)>>32
	s_setpc_b64 s[48:49]
.LBB4_4764:                             ;   in Loop: Header=BB4_4759 Depth=4
	ds_load_b64 v[8:9], v0
	s_and_not1_b32 s43, s43, exec_lo
	s_mov_b32 s42, 0
	s_mov_b32 s44, -1
	s_waitcnt lgkmcnt(0)
	s_waitcnt_vscnt null, 0x0
	flat_load_b32 v2, v[8:9] glc
	s_waitcnt vmcnt(0) lgkmcnt(0)
	buffer_gl1_inv
	buffer_gl0_inv
	v_cmp_eq_u32_e32 vcc_lo, 0, v2
	s_and_b32 vcc_lo, vcc_lo, exec_lo
	s_delay_alu instid0(SALU_CYCLE_1)
	s_or_b32 s43, s43, vcc_lo
	s_branch .LBB4_4760
.LBB4_4765:                             ;   in Loop: Header=BB4_4701 Depth=3
	s_or_b32 exec_lo, exec_lo, s39
	s_and_saveexec_b32 vcc_lo, s40
	s_delay_alu instid0(SALU_CYCLE_1)
	s_xor_b32 vcc_lo, exec_lo, vcc_lo
	s_cbranch_execz .LBB4_4767
; %bb.4766:                             ;   in Loop: Header=BB4_4701 Depth=3
	ds_store_b32 v0, v118
	s_cbranch_execz .LBB4_4767
; %bb.11663:
	s_getpc_b64 s[48:49]
.Lpost_getpc240:
	s_add_u32 s48, s48, (.LBB4_11385-.Lpost_getpc240)&4294967295
	s_addc_u32 s49, s49, (.LBB4_11385-.Lpost_getpc240)>>32
	s_setpc_b64 s[48:49]
.LBB4_4767:                             ;   in Loop: Header=BB4_4701 Depth=3
	s_or_b32 exec_lo, exec_lo, s38
	;;#ASMSTART
	s_wakeup
	;;#ASMEND
.LBB4_4768:                             ;   in Loop: Header=BB4_4701 Depth=3
	s_or_b32 exec_lo, exec_lo, s37
.LBB4_4769:                             ;   in Loop: Header=BB4_4701 Depth=3
	s_and_not1_saveexec_b32 vcc_lo, s36
	s_cbranch_execz .LBB4_4771
; %bb.4770:                             ;   in Loop: Header=BB4_4701 Depth=3
	;;#ASMSTART
	s_waitcnt lgkmcnt(0) vmcnt(0)
	;;#ASMEND
	s_waitcnt lgkmcnt(0)
	s_waitcnt_vscnt null, 0x0
	s_barrier
.LBB4_4771:                             ;   in Loop: Header=BB4_4701 Depth=3
	s_or_b32 exec_lo, exec_lo, vcc_lo
	v_and_b32_e32 v2, 16, v30
.LBB4_4772:                             ;   in Loop: Header=BB4_4701 Depth=3
	s_and_not1_saveexec_b32 s36, s13
	s_cbranch_execz .LBB4_4777
; %bb.4773:                             ;   in Loop: Header=BB4_4701 Depth=3
	s_cbranch_execz .LBB4_4774
; %bb.11665:
	s_getpc_b64 s[48:49]
.Lpost_getpc241:
	s_add_u32 s48, s48, (.LBB4_11019-.Lpost_getpc241)&4294967295
	s_addc_u32 s49, s49, (.LBB4_11019-.Lpost_getpc241)>>32
	s_setpc_b64 s[48:49]
.LBB4_4774:                             ;   in Loop: Header=BB4_4701 Depth=3
	ds_load_b32 v2, v0
	v_cmp_lt_i32_e32 vcc_lo, 0, v52
	s_waitcnt lgkmcnt(0)
	v_readfirstlane_b32 s13, v2
	v_and_b32_e32 v2, 16, v30
	s_delay_alu instid0(VALU_DEP_2) | instskip(NEXT) | instid1(VALU_DEP_1)
	s_cmp_eq_u32 s13, 0
	v_cmp_ne_u32_e64 s13, 0, v2
	s_cselect_b32 s37, -1, 0
	v_and_b32_e32 v2, 16, v30
	s_and_b32 vcc_lo, vcc_lo, s37
	s_delay_alu instid0(VALU_DEP_2) | instid1(SALU_CYCLE_1)
	s_and_b32 vcc_lo, s13, vcc_lo
	s_delay_alu instid0(SALU_CYCLE_1)
	s_and_saveexec_b32 s13, vcc_lo
	s_cbranch_execz .LBB4_4776
; %bb.4775:                             ;   in Loop: Header=BB4_4701 Depth=3
	v_mov_b32_e32 v2, 1
	s_waitcnt_vscnt null, 0x0
	buffer_gl1_inv
	buffer_gl0_inv
.LBB4_4776:                             ;   in Loop: Header=BB4_4701 Depth=3
	s_or_b32 exec_lo, exec_lo, s13
.LBB4_4777:                             ;   in Loop: Header=BB4_4701 Depth=3
	s_delay_alu instid0(SALU_CYCLE_1) | instskip(NEXT) | instid1(VALU_DEP_1)
	s_or_b32 exec_lo, exec_lo, s36
	v_cmp_ne_u32_e32 vcc_lo, 0, v2
	s_xor_b32 s13, s10, -1
	s_delay_alu instid0(SALU_CYCLE_1) | instskip(NEXT) | instid1(SALU_CYCLE_1)
	s_and_b32 vcc_lo, vcc_lo, s13
	s_and_saveexec_b32 s13, vcc_lo
	s_cbranch_execz .LBB4_4779
; %bb.4778:                             ;   in Loop: Header=BB4_4701 Depth=3
	s_waitcnt lgkmcnt(0)
	s_waitcnt_vscnt null, 0x0
	flat_store_b32 v[28:29], v118
.LBB4_4779:                             ;   in Loop: Header=BB4_4701 Depth=3
	s_or_b32 exec_lo, exec_lo, s13
	v_and_b32_e32 v2, 48, v30
	s_mov_b32 s13, exec_lo
	s_delay_alu instid0(VALU_DEP_1)
	v_cmpx_ne_u32_e32 0, v2
	s_cbranch_execz .LBB4_4781
; %bb.4780:                             ;   in Loop: Header=BB4_4701 Depth=3
	v_add_co_u32 v24, vcc_lo, v24, 2
	v_add_co_ci_u32_e32 v25, vcc_lo, 0, v25, vcc_lo
	s_waitcnt lgkmcnt(0)
	s_waitcnt_vscnt null, 0x0
	flat_store_b64 v[22:23], v[24:25]
.LBB4_4781:                             ;   in Loop: Header=BB4_4701 Depth=3
	s_or_b32 exec_lo, exec_lo, s13
	v_add_nc_u32_e32 v130, v52, v130
	s_mov_b32 s13, 0
	s_and_not1_b32 exec_lo, exec_lo, s17
	s_cbranch_execnz .LBB4_4701
; %bb.4782:                             ;   in Loop: Header=BB4_1893 Depth=2
	s_or_b32 exec_lo, exec_lo, s17
.LBB4_4783:                             ;   in Loop: Header=BB4_1893 Depth=2
	s_delay_alu instid0(SALU_CYCLE_1) | instskip(SKIP_1) | instid1(SALU_CYCLE_1)
	s_or_b32 exec_lo, exec_lo, s16
	s_add_i32 s15, s15, 1
	s_cmp_eq_u32 s15, s19
	s_cbranch_scc0 .LBB4_1893
.LBB4_4784:                             ;   in Loop: Header=BB4_51 Depth=1
	v_mul_lo_u32 v2, v49, s19
	v_mul_lo_u32 v10, v48, s21
	v_mad_u64_u32 v[8:9], null, v48, s19, 0
	s_mov_b32 s37, 0
	v_mov_b32_e32 v129, 0
	s_delay_alu instid0(VALU_DEP_2) | instskip(NEXT) | instid1(VALU_DEP_3)
	v_add3_u32 v9, v9, v10, v2
	v_sub_co_u32 v10, vcc_lo, v50, v8
	s_delay_alu instid0(VALU_DEP_2) | instskip(NEXT) | instid1(VALU_DEP_1)
	v_sub_co_ci_u32_e32 v11, vcc_lo, v51, v9, vcc_lo
	v_cmp_lt_i64_e32 vcc_lo, v[48:49], v[10:11]
	v_cndmask_b32_e32 v10, v10, v48, vcc_lo
	s_delay_alu instid0(VALU_DEP_1) | instskip(NEXT) | instid1(VALU_DEP_1)
	v_max_i32_e32 v55, 0, v10
	v_add_nc_u32_e32 v2, 31, v55
	s_delay_alu instid0(VALU_DEP_1) | instskip(NEXT) | instid1(VALU_DEP_1)
	v_lshrrev_b32_e32 v2, 1, v2
	v_and_b32_e32 v11, 0x3ffffff0, v2
	v_cmp_lt_i32_e32 vcc_lo, 0, v10
	v_mov_b32_e32 v2, 0
	s_delay_alu instid0(VALU_DEP_3) | instskip(SKIP_1) | instid1(SALU_CYCLE_1)
	v_max_i32_e32 v52, s28, v11
	s_and_b32 s15, s30, vcc_lo
	s_and_saveexec_b32 s13, s15
	s_cbranch_execnz .LBB4_4785
; %bb.11667:                            ;   in Loop: Header=BB4_51 Depth=1
	s_getpc_b64 s[48:49]
.Lpost_getpc242:
	s_add_u32 s48, s48, (.LBB4_10267-.Lpost_getpc242)&4294967295
	s_addc_u32 s49, s49, (.LBB4_10267-.Lpost_getpc242)>>32
	s_setpc_b64 s[48:49]
.LBB4_4785:                             ;   in Loop: Header=BB4_51 Depth=1
	v_add_co_u32 v130, vcc_lo, v8, v119
	v_add_co_ci_u32_e32 v131, vcc_lo, v9, v128, vcc_lo
	v_mov_b32_e32 v129, 0
	s_mov_b32 s17, 1
	s_mov_b32 s16, -1
	v_writelane_b32 v122, s13, 6
.LBB4_4786:                             ;   Parent Loop BB4_51 Depth=1
                                        ; =>  This Loop Header: Depth=2
                                        ;       Child Loop BB4_4795 Depth 3
                                        ;       Child Loop BB4_4825 Depth 3
	;; [unrolled: 1-line block ×5, first 2 shown]
                                        ;         Child Loop BB4_6627 Depth 4
                                        ;       Child Loop BB4_6830 Depth 3
                                        ;       Child Loop BB4_7486 Depth 3
                                        ;         Child Loop BB4_7525 Depth 4
                                        ;       Child Loop BB4_7553 Depth 3
                                        ;       Child Loop BB4_8848 Depth 3
	;; [unrolled: 1-line block ×6, first 2 shown]
	s_and_saveexec_b32 s15, s0
	s_cbranch_execz .LBB4_4789
; %bb.4787:                             ;   in Loop: Header=BB4_4786 Depth=2
	s_cbranch_execz .LBB4_4788
; %bb.11669:
	s_getpc_b64 s[48:49]
.Lpost_getpc243:
	s_add_u32 s48, s48, (.LBB4_10987-.Lpost_getpc243)&4294967295
	s_addc_u32 s49, s49, (.LBB4_10987-.Lpost_getpc243)>>32
	s_setpc_b64 s[48:49]
.LBB4_4788:                             ;   in Loop: Header=BB4_4786 Depth=2
	ds_load_2addr_b64 v[8:11], v0 offset1:1
	ds_load_b64 v[12:13], v0
	v_ashrrev_i32_e32 v2, 31, v129
	s_waitcnt lgkmcnt(1)
	v_add_co_u32 v8, vcc_lo, v8, v130
	v_add_co_ci_u32_e32 v9, vcc_lo, v9, v131, vcc_lo
	v_add_co_u32 v10, vcc_lo, v10, v130
	v_add_co_ci_u32_e32 v11, vcc_lo, v11, v131, vcc_lo
	s_waitcnt lgkmcnt(0)
	v_add_co_u32 v14, vcc_lo, v12, v130
	v_add_co_ci_u32_e32 v15, vcc_lo, v13, v131, vcc_lo
	v_add_co_u32 v8, vcc_lo, v8, v129
	v_add_co_ci_u32_e32 v9, vcc_lo, v9, v2, vcc_lo
	s_delay_alu instid0(VALU_DEP_4) | instskip(NEXT) | instid1(VALU_DEP_4)
	v_add_co_u32 v14, vcc_lo, v14, v129
	v_add_co_ci_u32_e32 v15, vcc_lo, v15, v2, vcc_lo
	v_cmp_ne_u64_e32 vcc_lo, 0, v[12:13]
	v_add_co_u32 v10, s13, v10, v129
	s_delay_alu instid0(VALU_DEP_1) | instskip(NEXT) | instid1(VALU_DEP_4)
	v_add_co_ci_u32_e64 v11, s13, v11, v2, s13
	v_dual_cndmask_b32 v13, 0, v15 :: v_dual_cndmask_b32 v12, 0, v14
	ds_store_b64 v0, v[8:9]
	ds_store_b64 v0, v[10:11]
	;; [unrolled: 1-line block ×3, first 2 shown]
.LBB4_4789:                             ;   in Loop: Header=BB4_4786 Depth=2
	s_or_b32 exec_lo, exec_lo, s15
	v_and_b32_e32 v2, 12, v30
	s_mov_b32 s36, -1
	s_mov_b32 s13, exec_lo
	s_delay_alu instid0(VALU_DEP_1)
	v_cmpx_ne_u32_e32 0, v2
	s_cbranch_execz .LBB4_4803
; %bb.4790:                             ;   in Loop: Header=BB4_4786 Depth=2
	v_and_b32_e32 v2, 8, v30
	s_mov_b32 s15, s17
	s_mov_b32 s17, s37
	s_delay_alu instid0(VALU_DEP_1) | instskip(SKIP_3) | instid1(VALU_DEP_1)
	v_add_co_u32 v10, vcc_lo, v34, v2
	v_add_co_ci_u32_e32 v11, vcc_lo, 0, v35, vcc_lo
	v_add_co_u32 v8, vcc_lo, v24, 2
	v_add_co_ci_u32_e32 v9, vcc_lo, 0, v25, vcc_lo
	v_cmp_lt_u64_e32 vcc_lo, v[10:11], v[8:9]
	v_mov_b32_e32 v10, 1
	s_and_saveexec_b32 s36, vcc_lo
	s_cbranch_execz .LBB4_4802
; %bb.4791:                             ;   in Loop: Header=BB4_4786 Depth=2
	v_mov_b32_e32 v10, 0
	s_mov_b32 s37, 0
                                        ; implicit-def: $sgpr38
	s_branch .LBB4_4795
.LBB4_4792:                             ;   in Loop: Header=BB4_4795 Depth=3
	s_or_b32 exec_lo, exec_lo, s42
	v_mov_b32_e32 v11, 0
	s_or_not1_b32 s41, s41, exec_lo
.LBB4_4793:                             ;   in Loop: Header=BB4_4795 Depth=3
	s_or_b32 exec_lo, exec_lo, s40
	s_delay_alu instid0(VALU_DEP_1) | instskip(SKIP_2) | instid1(SALU_CYCLE_1)
	v_mov_b32_e32 v10, v11
	s_and_not1_b32 vcc_lo, s38, exec_lo
	s_and_b32 s38, s41, exec_lo
	s_or_b32 s38, vcc_lo, s38
.LBB4_4794:                             ;   in Loop: Header=BB4_4795 Depth=3
	s_or_b32 exec_lo, exec_lo, s39
	s_waitcnt vmcnt(0) lgkmcnt(0)
	v_add_co_u32 v11, vcc_lo, v34, v2
	v_add_co_ci_u32_e32 v12, vcc_lo, 0, v35, vcc_lo
	s_xor_b32 s39, s38, -1
	s_delay_alu instid0(VALU_DEP_1) | instskip(SKIP_1) | instid1(SALU_CYCLE_1)
	v_cmp_ge_u64_e32 vcc_lo, v[11:12], v[8:9]
	s_or_b32 vcc_lo, s39, vcc_lo
	s_and_b32 vcc_lo, exec_lo, vcc_lo
	s_delay_alu instid0(SALU_CYCLE_1) | instskip(NEXT) | instid1(SALU_CYCLE_1)
	s_or_b32 s37, vcc_lo, s37
	s_and_not1_b32 exec_lo, exec_lo, s37
	s_cbranch_execz .LBB4_4801
.LBB4_4795:                             ;   Parent Loop BB4_51 Depth=1
                                        ;     Parent Loop BB4_4786 Depth=2
                                        ; =>    This Inner Loop Header: Depth=3
	s_sleep 1
	flat_load_b64 v[34:35], v[22:23] glc
	v_and_b32_e32 v11, 64, v30
	s_and_not1_b32 s38, s38, exec_lo
	s_mov_b32 s39, exec_lo
	s_delay_alu instid0(VALU_DEP_1)
	v_cmpx_eq_u32_e32 0, v11
	s_cbranch_execz .LBB4_4794
; %bb.4796:                             ;   in Loop: Header=BB4_4795 Depth=3
	v_add_nc_u32_e32 v11, 1, v10
	s_mov_b32 s41, -1
	s_mov_b32 s40, exec_lo
	v_cmpx_lt_i32_e32 0x270e, v10
	s_cbranch_execz .LBB4_4793
; %bb.4797:                             ;   in Loop: Header=BB4_4795 Depth=3
	s_cbranch_execz .LBB4_4798
; %bb.11671:
	s_getpc_b64 s[48:49]
.Lpost_getpc244:
	s_add_u32 s48, s48, (.LBB4_11013-.Lpost_getpc244)&4294967295
	s_addc_u32 s49, s49, (.LBB4_11013-.Lpost_getpc244)>>32
	s_setpc_b64 s[48:49]
.LBB4_4798:                             ;   in Loop: Header=BB4_4795 Depth=3
	ds_load_b64 v[10:11], v0
	s_mov_b32 s42, exec_lo
	s_waitcnt vmcnt(0) lgkmcnt(0)
	s_waitcnt_vscnt null, 0x0
	flat_load_b32 v10, v[10:11] glc
	s_waitcnt vmcnt(0) lgkmcnt(0)
	buffer_gl1_inv
	buffer_gl0_inv
	v_cmpx_ne_u32_e32 0, v10
	s_cbranch_execz .LBB4_4792
; %bb.4799:                             ;   in Loop: Header=BB4_4795 Depth=3
	ds_store_b32 v0, v10
	s_cbranch_execz .LBB4_4800
; %bb.11673:
	s_getpc_b64 s[48:49]
.Lpost_getpc245:
	s_add_u32 s48, s48, (.LBB4_11067-.Lpost_getpc245)&4294967295
	s_addc_u32 s49, s49, (.LBB4_11067-.Lpost_getpc245)>>32
	s_setpc_b64 s[48:49]
.LBB4_4800:                             ;   in Loop: Header=BB4_4795 Depth=3
	v_or_b32_e32 v30, 64, v30
	s_xor_b32 s41, exec_lo, -1
	s_branch .LBB4_4792
.LBB4_4801:                             ;   in Loop: Header=BB4_4786 Depth=2
	s_or_b32 exec_lo, exec_lo, s37
	v_and_b32_e32 v10, 12, v30
.LBB4_4802:                             ;   in Loop: Header=BB4_4786 Depth=2
	s_or_b32 exec_lo, exec_lo, s36
	s_delay_alu instid0(VALU_DEP_1)
	v_cmp_eq_u32_e32 vcc_lo, 0, v10
	s_mov_b32 s37, s17
	s_mov_b32 s17, s15
	;;#ASMSTART
	s_wakeup
	;;#ASMEND
	s_or_not1_b32 s36, vcc_lo, exec_lo
.LBB4_4803:                             ;   in Loop: Header=BB4_4786 Depth=2
	s_or_b32 exec_lo, exec_lo, s13
	v_sub_nc_u32_e32 v2, v55, v129
	s_xor_b32 s13, s36, -1
	s_delay_alu instid0(VALU_DEP_1)
	v_min_i32_e32 v52, v52, v2
	s_and_saveexec_b32 s15, s13
	s_cbranch_execz .LBB4_4816
; %bb.4804:                             ;   in Loop: Header=BB4_4786 Depth=2
	v_and_b32_e32 v2, 0x108, v30
	s_mov_b32 s36, s16
	s_mov_b32 s16, s37
	s_delay_alu instid0(VALU_DEP_1) | instskip(SKIP_2) | instid1(SALU_CYCLE_1)
	v_cmp_ne_u32_e32 vcc_lo, 0x108, v2
	v_and_b32_e32 v2, 7, v24
	s_and_saveexec_b32 s13, vcc_lo
	s_xor_b32 s13, exec_lo, s13
	s_delay_alu instid0(SALU_CYCLE_1)
	s_and_not1_saveexec_b32 s13, s13
	s_cbranch_execz .LBB4_4806
; %bb.4805:                             ;   in Loop: Header=BB4_4786 Depth=2
	v_mad_u64_u32 v[8:9], null, v2, 24, v[6:7]
	v_ashrrev_i32_e32 v53, 31, v52
	flat_store_b64 v[8:9], v[52:53] offset:8
.LBB4_4806:                             ;   in Loop: Header=BB4_4786 Depth=2
	s_or_b32 exec_lo, exec_lo, s13
	v_and_b32_e32 v8, 0x100, v30
	s_mov_b32 s13, -1
	s_delay_alu instid0(VALU_DEP_1)
	v_cmp_ne_u32_e32 vcc_lo, 0, v8
                                        ; implicit-def: $vgpr8_vgpr9
	s_and_saveexec_b32 s37, vcc_lo
	s_cbranch_execnz .LBB4_4809
; %bb.4807:                             ;   in Loop: Header=BB4_4786 Depth=2
	s_or_b32 exec_lo, exec_lo, s37
	s_and_saveexec_b32 vcc_lo, s13
	s_cbranch_execnz .LBB4_4812
.LBB4_4808:                             ;   in Loop: Header=BB4_4786 Depth=2
	s_or_b32 exec_lo, exec_lo, vcc_lo
	s_cbranch_execz .LBB4_4813
; %bb.11675:
	s_getpc_b64 s[48:49]
.Lpost_getpc246:
	s_add_u32 s48, s48, (.LBB4_11007-.Lpost_getpc246)&4294967295
	s_addc_u32 s49, s49, (.LBB4_11007-.Lpost_getpc246)>>32
	s_setpc_b64 s[48:49]
.LBB4_4809:                             ;   in Loop: Header=BB4_4786 Depth=2
	v_mad_u64_u32 v[10:11], null, v2, 24, v[6:7]
	s_delay_alu instid0(VALU_DEP_1) | instskip(NEXT) | instid1(VALU_DEP_1)
	v_mov_b32_e32 v8, v11
	v_mad_u64_u32 v[11:12], null, v3, 24, v[8:9]
	flat_load_b32 v8, v[10:11]
	s_waitcnt vmcnt(0) lgkmcnt(0)
	v_cmp_ne_u32_e32 vcc_lo, 1, v8
	v_cmp_eq_u32_e64 s13, 1, v8
                                        ; implicit-def: $vgpr8_vgpr9
	s_delay_alu instid0(VALU_DEP_1)
	s_and_saveexec_b32 s38, s13
	s_cbranch_execz .LBB4_4811
; %bb.4810:                             ;   in Loop: Header=BB4_4786 Depth=2
	flat_load_b32 v8, v[10:11] offset:4 glc
	s_waitcnt vmcnt(0) lgkmcnt(0)
	v_ashrrev_i32_e32 v9, 31, v8
.LBB4_4811:                             ;   in Loop: Header=BB4_4786 Depth=2
	s_or_b32 exec_lo, exec_lo, s38
	s_delay_alu instid0(SALU_CYCLE_1)
	s_or_not1_b32 s13, vcc_lo, exec_lo
	s_or_b32 exec_lo, exec_lo, s37
	s_and_saveexec_b32 vcc_lo, s13
	s_cbranch_execz .LBB4_4808
.LBB4_4812:                             ;   in Loop: Header=BB4_4786 Depth=2
	v_mul_lo_u32 v10, v3, v70
	v_mul_lo_u32 v11, v2, v80
	v_mad_u64_u32 v[8:9], null, v2, v70, 0
	s_delay_alu instid0(VALU_DEP_1)
	v_add3_u32 v9, v9, v11, v10
	s_or_b32 exec_lo, exec_lo, vcc_lo
	s_cbranch_execz .LBB4_4813
; %bb.11677:
	s_getpc_b64 s[48:49]
.Lpost_getpc247:
	s_add_u32 s48, s48, (.LBB4_11007-.Lpost_getpc247)&4294967295
	s_addc_u32 s49, s49, (.LBB4_11007-.Lpost_getpc247)>>32
	s_setpc_b64 s[48:49]
.LBB4_4813:                             ;   in Loop: Header=BB4_4786 Depth=2
	s_delay_alu instid0(VALU_DEP_2)
	v_add_co_u32 v8, vcc_lo, v26, v8
	v_and_b32_e32 v2, 0x2000, v30
	v_add_co_ci_u32_e32 v9, vcc_lo, v27, v9, vcc_lo
	s_mov_b32 s13, exec_lo
	ds_store_b64 v0, v[8:9]
	v_cmpx_ne_u32_e32 0, v2
	s_cbranch_execz .LBB4_4815
; %bb.4814:                             ;   in Loop: Header=BB4_4786 Depth=2
	ds_load_b64 v[8:9], v0 offset:584
	s_waitcnt lgkmcnt(0)
	v_add_co_u32 v8, vcc_lo, v8, 1
	v_add_co_ci_u32_e32 v9, vcc_lo, 0, v9, vcc_lo
	ds_store_b64 v0, v[8:9] offset:584
.LBB4_4815:                             ;   in Loop: Header=BB4_4786 Depth=2
	s_or_b32 exec_lo, exec_lo, s13
	v_add_co_u32 v24, vcc_lo, v24, 2
	v_add_co_ci_u32_e32 v25, vcc_lo, 0, v25, vcc_lo
	s_mov_b32 s37, s16
	s_mov_b32 s16, s36
.LBB4_4816:                             ;   in Loop: Header=BB4_4786 Depth=2
	s_delay_alu instid0(SALU_CYCLE_1)
	v_writelane_b32 v122, s16, 7
	v_writelane_b32 v122, s17, 8
	;; [unrolled: 1-line block ×8, first 2 shown]
	s_or_b32 exec_lo, exec_lo, s15
	s_and_saveexec_b32 s13, s3
	s_cbranch_execz .LBB4_4838
; %bb.4817:                             ;   in Loop: Header=BB4_4786 Depth=2
	s_and_saveexec_b32 s14, s4
	s_delay_alu instid0(SALU_CYCLE_1)
	s_xor_b32 s14, exec_lo, s14
	s_cbranch_execz .LBB4_4835
; %bb.4818:                             ;   in Loop: Header=BB4_4786 Depth=2
	s_and_saveexec_b32 s15, s1
	s_cbranch_execz .LBB4_4834
; %bb.4819:                             ;   in Loop: Header=BB4_4786 Depth=2
	s_mov_b32 s17, exec_lo
	s_mov_b32 s16, exec_lo
	v_mbcnt_lo_u32_b32 v2, s17, 0
	s_waitcnt lgkmcnt(0)
	s_waitcnt_vscnt null, 0x0
	buffer_gl1_inv
	buffer_gl0_inv
	v_cmpx_eq_u32_e32 0, v2
	s_cbranch_execz .LBB4_4821
; %bb.4820:                             ;   in Loop: Header=BB4_4786 Depth=2
	s_bcnt1_i32_b32 s17, s17
	s_delay_alu instid0(SALU_CYCLE_1)
	v_mov_b32_e32 v2, s17
	ds_add_u64 v0, v[2:3]
	s_cbranch_execz .LBB4_4821
; %bb.11679:
	s_getpc_b64 s[48:49]
.Lpost_getpc248:
	s_add_u32 s48, s48, (.LBB4_11121-.Lpost_getpc248)&4294967295
	s_addc_u32 s49, s49, (.LBB4_11121-.Lpost_getpc248)>>32
	s_setpc_b64 s[48:49]
.LBB4_4821:                             ;   in Loop: Header=BB4_4786 Depth=2
	s_or_b32 exec_lo, exec_lo, s16
	s_cbranch_execz .LBB4_4822
; %bb.11681:
	s_getpc_b64 s[48:49]
.Lpost_getpc249:
	s_add_u32 s48, s48, (.LBB4_11097-.Lpost_getpc249)&4294967295
	s_addc_u32 s49, s49, (.LBB4_11097-.Lpost_getpc249)>>32
	s_setpc_b64 s[48:49]
.LBB4_4822:                             ;   in Loop: Header=BB4_4786 Depth=2
	ds_load_b64 v[8:9], v0
	v_add_co_u32 v32, vcc_lo, v32, v81
	v_add_co_ci_u32_e32 v33, vcc_lo, 0, v33, vcc_lo
	s_mov_b32 s16, exec_lo
	s_waitcnt lgkmcnt(0)
	s_delay_alu instid0(VALU_DEP_1)
	v_cmpx_lt_u64_e64 v[8:9], v[32:33]
	s_cbranch_execz .LBB4_4833
; %bb.4823:                             ;   in Loop: Header=BB4_4786 Depth=2
	s_mov_b32 s17, 0
	s_mov_b32 s34, 0
                                        ; implicit-def: $sgpr30
                                        ; implicit-def: $sgpr31
	s_branch .LBB4_4825
.LBB4_4824:                             ;   in Loop: Header=BB4_4825 Depth=3
	s_or_b32 exec_lo, exec_lo, s36
	s_delay_alu instid0(SALU_CYCLE_1) | instskip(NEXT) | instid1(SALU_CYCLE_1)
	s_and_b32 vcc_lo, exec_lo, vcc_lo
	s_or_b32 s17, vcc_lo, s17
	s_and_not1_b32 vcc_lo, s30, exec_lo
	s_and_b32 s30, s31, exec_lo
	s_delay_alu instid0(SALU_CYCLE_1)
	s_or_b32 s30, vcc_lo, s30
	s_and_not1_b32 exec_lo, exec_lo, s17
	s_cbranch_execz .LBB4_4831
.LBB4_4825:                             ;   Parent Loop BB4_51 Depth=1
                                        ;     Parent Loop BB4_4786 Depth=2
                                        ; =>    This Inner Loop Header: Depth=3
	s_add_i32 s34, s34, 1
                                        ; implicit-def: $sgpr36
	s_delay_alu instid0(SALU_CYCLE_1) | instskip(SKIP_1) | instid1(SALU_CYCLE_1)
	s_cmpk_lg_i32 s34, 0x2710
	s_cselect_b32 s35, -1, 0
	s_and_b32 vcc_lo, exec_lo, s35
	s_cbranch_vccz .LBB4_4829
.LBB4_4826:                             ;   in Loop: Header=BB4_4825 Depth=3
	s_and_not1_b32 s31, s31, exec_lo
	s_and_b32 s36, s36, exec_lo
	s_mov_b32 vcc_lo, -1
	s_or_b32 s31, s31, s36
	s_and_saveexec_b32 s36, s35
	s_cbranch_execz .LBB4_4824
; %bb.4827:                             ;   in Loop: Header=BB4_4825 Depth=3
	s_sleep 1
	s_cbranch_execz .LBB4_4828
; %bb.11683:
	s_getpc_b64 s[48:49]
.Lpost_getpc250:
	s_add_u32 s48, s48, (.LBB4_11175-.Lpost_getpc250)&4294967295
	s_addc_u32 s49, s49, (.LBB4_11175-.Lpost_getpc250)>>32
	s_setpc_b64 s[48:49]
.LBB4_4828:                             ;   in Loop: Header=BB4_4825 Depth=3
	ds_load_b64 v[8:9], v0
	s_and_not1_b32 s31, s31, exec_lo
	s_waitcnt lgkmcnt(0)
	v_cmp_ge_u64_e32 vcc_lo, v[8:9], v[32:33]
	s_or_not1_b32 vcc_lo, vcc_lo, exec_lo
	s_branch .LBB4_4824
.LBB4_4829:                             ;   in Loop: Header=BB4_4825 Depth=3
	s_cbranch_execz .LBB4_4830
; %bb.11685:
	s_getpc_b64 s[48:49]
.Lpost_getpc251:
	s_add_u32 s48, s48, (.LBB4_11189-.Lpost_getpc251)&4294967295
	s_addc_u32 s49, s49, (.LBB4_11189-.Lpost_getpc251)>>32
	s_setpc_b64 s[48:49]
.LBB4_4830:                             ;   in Loop: Header=BB4_4825 Depth=3
	ds_load_b64 v[8:9], v0
	s_and_not1_b32 s35, s35, exec_lo
	s_mov_b32 s34, 0
	s_mov_b32 s36, -1
	s_waitcnt lgkmcnt(0)
	flat_load_b32 v2, v[8:9] glc
	s_waitcnt vmcnt(0) lgkmcnt(0)
	buffer_gl1_inv
	buffer_gl0_inv
	v_cmp_eq_u32_e32 vcc_lo, 0, v2
	s_and_b32 vcc_lo, vcc_lo, exec_lo
	s_delay_alu instid0(SALU_CYCLE_1)
	s_or_b32 s35, s35, vcc_lo
	s_branch .LBB4_4826
.LBB4_4831:                             ;   in Loop: Header=BB4_4786 Depth=2
	s_or_b32 exec_lo, exec_lo, s17
	s_and_saveexec_b32 s17, s30
	s_delay_alu instid0(SALU_CYCLE_1)
	s_xor_b32 s17, exec_lo, s17
	s_cbranch_execz .LBB4_4833
; %bb.4832:                             ;   in Loop: Header=BB4_4786 Depth=2
	ds_store_b32 v0, v118
	s_cbranch_execz .LBB4_4833
; %bb.11687:
	s_getpc_b64 s[48:49]
.Lpost_getpc252:
	s_add_u32 s48, s48, (.LBB4_11391-.Lpost_getpc252)&4294967295
	s_addc_u32 s49, s49, (.LBB4_11391-.Lpost_getpc252)>>32
	s_setpc_b64 s[48:49]
.LBB4_4833:                             ;   in Loop: Header=BB4_4786 Depth=2
	s_or_b32 exec_lo, exec_lo, s16
	;;#ASMSTART
	s_wakeup
	;;#ASMEND
.LBB4_4834:                             ;   in Loop: Header=BB4_4786 Depth=2
	s_or_b32 exec_lo, exec_lo, s15
.LBB4_4835:                             ;   in Loop: Header=BB4_4786 Depth=2
	s_and_not1_saveexec_b32 s14, s14
	s_cbranch_execz .LBB4_4837
; %bb.4836:                             ;   in Loop: Header=BB4_4786 Depth=2
	s_waitcnt lgkmcnt(0)
	s_waitcnt_vscnt null, 0x0
	buffer_gl1_inv
	buffer_gl0_inv
	s_barrier
.LBB4_4837:                             ;   in Loop: Header=BB4_4786 Depth=2
	s_or_b32 exec_lo, exec_lo, s14
.LBB4_4838:                             ;   in Loop: Header=BB4_4786 Depth=2
	s_delay_alu instid0(SALU_CYCLE_1)
	s_or_b32 exec_lo, exec_lo, s13
	s_cbranch_execz .LBB4_4839
; %bb.11689:
	s_getpc_b64 s[48:49]
.Lpost_getpc253:
	s_add_u32 s48, s48, (.LBB4_10993-.Lpost_getpc253)&4294967295
	s_addc_u32 s49, s49, (.LBB4_10993-.Lpost_getpc253)>>32
	s_setpc_b64 s[48:49]
.LBB4_4839:                             ;   in Loop: Header=BB4_4786 Depth=2
	ds_load_b32 v8, v0
	v_and_b32_e32 v2, 0x4000, v30
	s_xor_b32 s13, s2, -1
	s_delay_alu instid0(VALU_DEP_1) | instskip(SKIP_1) | instid1(SALU_CYCLE_1)
	v_cmp_ne_u32_e32 vcc_lo, 0, v2
	s_and_b32 s14, s13, vcc_lo
	s_and_saveexec_b32 s13, s14
	s_cbranch_execz .LBB4_4861
; %bb.4840:                             ;   in Loop: Header=BB4_4786 Depth=2
	s_and_saveexec_b32 s14, s4
	s_delay_alu instid0(SALU_CYCLE_1)
	s_xor_b32 s14, exec_lo, s14
	s_cbranch_execz .LBB4_4858
; %bb.4841:                             ;   in Loop: Header=BB4_4786 Depth=2
	s_and_saveexec_b32 s15, s1
	s_cbranch_execz .LBB4_4857
; %bb.4842:                             ;   in Loop: Header=BB4_4786 Depth=2
	s_mov_b32 s17, exec_lo
	s_mov_b32 s16, exec_lo
	v_mbcnt_lo_u32_b32 v2, s17, 0
	s_waitcnt lgkmcnt(0)
	s_waitcnt_vscnt null, 0x0
	buffer_gl1_inv
	buffer_gl0_inv
	v_cmpx_eq_u32_e32 0, v2
	s_cbranch_execz .LBB4_4844
; %bb.4843:                             ;   in Loop: Header=BB4_4786 Depth=2
	s_bcnt1_i32_b32 s17, s17
	s_delay_alu instid0(SALU_CYCLE_1)
	v_mov_b32_e32 v2, s17
	ds_add_u64 v0, v[2:3]
	s_cbranch_execz .LBB4_4844
; %bb.11691:
	s_getpc_b64 s[48:49]
.Lpost_getpc254:
	s_add_u32 s48, s48, (.LBB4_11167-.Lpost_getpc254)&4294967295
	s_addc_u32 s49, s49, (.LBB4_11167-.Lpost_getpc254)>>32
	s_setpc_b64 s[48:49]
.LBB4_4844:                             ;   in Loop: Header=BB4_4786 Depth=2
	s_or_b32 exec_lo, exec_lo, s16
	s_cbranch_execz .LBB4_4845
; %bb.11693:
	s_getpc_b64 s[48:49]
.Lpost_getpc255:
	s_add_u32 s48, s48, (.LBB4_11135-.Lpost_getpc255)&4294967295
	s_addc_u32 s49, s49, (.LBB4_11135-.Lpost_getpc255)>>32
	s_setpc_b64 s[48:49]
.LBB4_4845:                             ;   in Loop: Header=BB4_4786 Depth=2
	ds_load_b64 v[9:10], v0
	v_add_co_u32 v32, vcc_lo, v32, v81
	v_add_co_ci_u32_e32 v33, vcc_lo, 0, v33, vcc_lo
	s_mov_b32 s16, exec_lo
	s_waitcnt lgkmcnt(0)
	s_delay_alu instid0(VALU_DEP_1)
	v_cmpx_lt_u64_e64 v[9:10], v[32:33]
	s_cbranch_execz .LBB4_4856
; %bb.4846:                             ;   in Loop: Header=BB4_4786 Depth=2
	s_mov_b32 s17, 0
	s_mov_b32 s34, 0
                                        ; implicit-def: $sgpr30
                                        ; implicit-def: $sgpr31
	s_branch .LBB4_4848
.LBB4_4847:                             ;   in Loop: Header=BB4_4848 Depth=3
	s_or_b32 exec_lo, exec_lo, s36
	s_delay_alu instid0(SALU_CYCLE_1) | instskip(NEXT) | instid1(SALU_CYCLE_1)
	s_and_b32 vcc_lo, exec_lo, vcc_lo
	s_or_b32 s17, vcc_lo, s17
	s_and_not1_b32 vcc_lo, s30, exec_lo
	s_and_b32 s30, s31, exec_lo
	s_delay_alu instid0(SALU_CYCLE_1)
	s_or_b32 s30, vcc_lo, s30
	s_and_not1_b32 exec_lo, exec_lo, s17
	s_cbranch_execz .LBB4_4854
.LBB4_4848:                             ;   Parent Loop BB4_51 Depth=1
                                        ;     Parent Loop BB4_4786 Depth=2
                                        ; =>    This Inner Loop Header: Depth=3
	s_add_i32 s34, s34, 1
                                        ; implicit-def: $sgpr36
	s_delay_alu instid0(SALU_CYCLE_1) | instskip(SKIP_1) | instid1(SALU_CYCLE_1)
	s_cmpk_lg_i32 s34, 0x2710
	s_cselect_b32 s35, -1, 0
	s_and_b32 vcc_lo, exec_lo, s35
	s_cbranch_vccz .LBB4_4852
.LBB4_4849:                             ;   in Loop: Header=BB4_4848 Depth=3
	s_and_not1_b32 s31, s31, exec_lo
	s_and_b32 s36, s36, exec_lo
	s_mov_b32 vcc_lo, -1
	s_or_b32 s31, s31, s36
	s_and_saveexec_b32 s36, s35
	s_cbranch_execz .LBB4_4847
; %bb.4850:                             ;   in Loop: Header=BB4_4848 Depth=3
	s_sleep 1
	s_cbranch_execz .LBB4_4851
; %bb.11695:
	s_getpc_b64 s[48:49]
.Lpost_getpc256:
	s_add_u32 s48, s48, (.LBB4_11225-.Lpost_getpc256)&4294967295
	s_addc_u32 s49, s49, (.LBB4_11225-.Lpost_getpc256)>>32
	s_setpc_b64 s[48:49]
.LBB4_4851:                             ;   in Loop: Header=BB4_4848 Depth=3
	ds_load_b64 v[9:10], v0
	s_and_not1_b32 s31, s31, exec_lo
	s_waitcnt lgkmcnt(0)
	v_cmp_ge_u64_e32 vcc_lo, v[9:10], v[32:33]
	s_or_not1_b32 vcc_lo, vcc_lo, exec_lo
	s_branch .LBB4_4847
.LBB4_4852:                             ;   in Loop: Header=BB4_4848 Depth=3
	s_cbranch_execz .LBB4_4853
; %bb.11697:
	s_getpc_b64 s[48:49]
.Lpost_getpc257:
	s_add_u32 s48, s48, (.LBB4_11241-.Lpost_getpc257)&4294967295
	s_addc_u32 s49, s49, (.LBB4_11241-.Lpost_getpc257)>>32
	s_setpc_b64 s[48:49]
.LBB4_4853:                             ;   in Loop: Header=BB4_4848 Depth=3
	ds_load_b64 v[9:10], v0
	s_and_not1_b32 s35, s35, exec_lo
	s_mov_b32 s34, 0
	s_mov_b32 s36, -1
	s_waitcnt lgkmcnt(0)
	flat_load_b32 v2, v[9:10] glc
	s_waitcnt vmcnt(0) lgkmcnt(0)
	buffer_gl1_inv
	buffer_gl0_inv
	v_cmp_eq_u32_e32 vcc_lo, 0, v2
	s_and_b32 vcc_lo, vcc_lo, exec_lo
	s_delay_alu instid0(SALU_CYCLE_1)
	s_or_b32 s35, s35, vcc_lo
	s_branch .LBB4_4849
.LBB4_4854:                             ;   in Loop: Header=BB4_4786 Depth=2
	s_or_b32 exec_lo, exec_lo, s17
	s_and_saveexec_b32 s17, s30
	s_delay_alu instid0(SALU_CYCLE_1)
	s_xor_b32 s17, exec_lo, s17
	s_cbranch_execz .LBB4_4856
; %bb.4855:                             ;   in Loop: Header=BB4_4786 Depth=2
	ds_store_b32 v0, v118
	s_cbranch_execz .LBB4_4856
; %bb.11699:
	s_getpc_b64 s[48:49]
.Lpost_getpc258:
	s_add_u32 s48, s48, (.LBB4_11415-.Lpost_getpc258)&4294967295
	s_addc_u32 s49, s49, (.LBB4_11415-.Lpost_getpc258)>>32
	s_setpc_b64 s[48:49]
.LBB4_4856:                             ;   in Loop: Header=BB4_4786 Depth=2
	s_or_b32 exec_lo, exec_lo, s16
	;;#ASMSTART
	s_wakeup
	;;#ASMEND
.LBB4_4857:                             ;   in Loop: Header=BB4_4786 Depth=2
	s_or_b32 exec_lo, exec_lo, s15
.LBB4_4858:                             ;   in Loop: Header=BB4_4786 Depth=2
	s_and_not1_saveexec_b32 s14, s14
	s_cbranch_execz .LBB4_4860
; %bb.4859:                             ;   in Loop: Header=BB4_4786 Depth=2
	s_waitcnt lgkmcnt(0)
	s_waitcnt_vscnt null, 0x0
	buffer_gl1_inv
	buffer_gl0_inv
	s_barrier
.LBB4_4860:                             ;   in Loop: Header=BB4_4786 Depth=2
	s_or_b32 exec_lo, exec_lo, s14
.LBB4_4861:                             ;   in Loop: Header=BB4_4786 Depth=2
	s_delay_alu instid0(SALU_CYCLE_1)
	s_or_b32 exec_lo, exec_lo, s13
	s_cbranch_execz .LBB4_4862
; %bb.11701:
	s_getpc_b64 s[48:49]
.Lpost_getpc259:
	s_add_u32 s48, s48, (.LBB4_11027-.Lpost_getpc259)&4294967295
	s_addc_u32 s49, s49, (.LBB4_11027-.Lpost_getpc259)>>32
	s_setpc_b64 s[48:49]
.LBB4_4862:                             ;   in Loop: Header=BB4_4786 Depth=2
	ds_load_b64 v[9:10], v0
	v_mov_b32_e32 v132, 0
	s_waitcnt lgkmcnt(0)
	v_cmp_eq_u64_e32 vcc_lo, 0, v[9:10]
	s_or_b32 s13, vcc_lo, vcc_lo
	s_delay_alu instid0(SALU_CYCLE_1)
	s_and_b32 vcc_lo, exec_lo, s13
	s_cbranch_vccz .LBB4_4863
; %bb.11703:                            ;   in Loop: Header=BB4_4786 Depth=2
	s_getpc_b64 s[48:49]
.Lpost_getpc260:
	s_add_u32 s48, s48, (.LBB4_10213-.Lpost_getpc260)&4294967295
	s_addc_u32 s49, s49, (.LBB4_10213-.Lpost_getpc260)>>32
	s_setpc_b64 s[48:49]
.LBB4_4863:                             ;   in Loop: Header=BB4_4786 Depth=2
	v_cmp_eq_u32_e32 vcc_lo, 0, v8
	s_cbranch_execz .LBB4_4864
; %bb.11705:
	s_getpc_b64 s[48:49]
.Lpost_getpc261:
	s_add_u32 s48, s48, (.LBB4_11087-.Lpost_getpc261)&4294967295
	s_addc_u32 s49, s49, (.LBB4_11087-.Lpost_getpc261)>>32
	s_setpc_b64 s[48:49]
.LBB4_4864:                             ;   in Loop: Header=BB4_4786 Depth=2
	ds_load_b64 v[8:9], v0
	v_cndmask_b32_e32 v132, 0, v52, vcc_lo
	s_waitcnt lgkmcnt(0)
	v_cmp_ne_u64_e64 s13, 0, v[8:9]
	s_delay_alu instid0(VALU_DEP_1)
	s_and_b32 vcc_lo, exec_lo, s13
	s_cbranch_vccz .LBB4_6163
; %bb.4865:                             ;   in Loop: Header=BB4_4786 Depth=2
	s_mov_b32 s13, -1
	s_and_saveexec_b32 s14, s12
	s_cbranch_execz .LBB4_4867
; %bb.4866:                             ;   in Loop: Header=BB4_4786 Depth=2
	ds_load_b32 v2, v0 offset:720
	s_waitcnt lgkmcnt(0)
	v_and_b32_e32 v2, 15, v2
	s_delay_alu instid0(VALU_DEP_1)
	v_cmp_eq_u32_e32 vcc_lo, 0, v2
	s_or_not1_b32 s13, vcc_lo, exec_lo
.LBB4_4867:                             ;   in Loop: Header=BB4_4786 Depth=2
	s_or_b32 exec_lo, exec_lo, s14
	s_and_saveexec_b32 s14, s12
	s_cbranch_execz .LBB4_4869
; %bb.4868:                             ;   in Loop: Header=BB4_4786 Depth=2
	ds_load_b32 v2, v0 offset:784
	s_waitcnt lgkmcnt(0)
	v_and_b32_e32 v2, 15, v2
	s_delay_alu instid0(VALU_DEP_1) | instskip(SKIP_3) | instid1(SALU_CYCLE_1)
	v_cmp_eq_u32_e32 vcc_lo, 0, v2
	s_and_b32 s15, s13, vcc_lo
	s_and_not1_b32 s13, s13, exec_lo
	s_and_b32 s15, s15, exec_lo
	s_or_b32 s13, s13, s15
.LBB4_4869:                             ;   in Loop: Header=BB4_4786 Depth=2
	s_or_b32 exec_lo, exec_lo, s14
	s_xor_b32 s13, s13, -1
	v_dual_mov_b32 v64, 0 :: v_dual_mov_b32 v65, v132
	v_cndmask_b32_e64 v2, 0, 1, s13
	;;#ASMSTART
	;;#ASMEND
	s_delay_alu instid0(VALU_DEP_1)
	v_cmp_ne_u32_e32 vcc_lo, 0, v2
	v_dual_mov_b32 v67, v0 :: v_dual_mov_b32 v8, v83
	s_mov_b32 s13, -1
	s_cbranch_vccnz .LBB4_6826
; %bb.4870:                             ;   in Loop: Header=BB4_4786 Depth=2
	v_ashrrev_i32_e32 v2, 31, v132
	s_mov_b32 s14, exec_lo
	s_delay_alu instid0(VALU_DEP_1) | instskip(NEXT) | instid1(VALU_DEP_1)
	v_lshrrev_b32_e32 v2, 22, v2
	v_add_nc_u32_e32 v2, v132, v2
	s_delay_alu instid0(VALU_DEP_1) | instskip(NEXT) | instid1(VALU_DEP_1)
	v_ashrrev_i32_e32 v133, 10, v2
	v_sub_nc_u32_e32 v2, v133, v83
	s_delay_alu instid0(VALU_DEP_1)
	v_cmpx_lt_i32_e32 0, v2
	s_cbranch_execz .LBB4_6165
; %bb.4871:                             ;   in Loop: Header=BB4_4786 Depth=2
	s_cbranch_execz .LBB4_4872
; %bb.11707:
	s_getpc_b64 s[48:49]
.Lpost_getpc262:
	s_add_u32 s48, s48, (.LBB4_11267-.Lpost_getpc262)&4294967295
	s_addc_u32 s49, s49, (.LBB4_11267-.Lpost_getpc262)>>32
	s_setpc_b64 s[48:49]
.LBB4_4872:                             ;   in Loop: Header=BB4_4786 Depth=2
	ds_load_b64 v[12:13], v0
	ds_load_b128 v[8:11], v0
	s_waitcnt lgkmcnt(1)
	v_readfirstlane_b32 s13, v12
	s_waitcnt lgkmcnt(0)
	v_add_co_u32 v53, vcc_lo, v8, v114
	v_add_co_ci_u32_e32 v54, vcc_lo, v9, v115, vcc_lo
	s_delay_alu instid0(VALU_DEP_3)
	s_and_b32 s15, s13, 3
	v_add_co_u32 v64, vcc_lo, v10, v114
	s_clz_i32_u32 s16, s15
	v_add_co_ci_u32_e32 v65, vcc_lo, v11, v115, vcc_lo
	s_min_u32 s16, s16, 32
	s_bfe_u32 vcc_lo, s13, 0x50002
	s_sub_i32 s17, s16, 29
	s_sub_i32 s16, 30, s16
	s_lshl_b32 s17, s13, s17
	v_dual_mov_b32 v67, v54 :: v_dual_and_b32 v134, 0xff, v12
	s_and_b32 s17, s17, 3
	s_cmp_eq_u32 vcc_lo, 0
	v_mov_b32_e32 v66, v53
	s_cselect_b32 s16, s16, vcc_lo
	s_cselect_b32 s15, s17, s15
	s_lshl_b32 s13, s13, 24
	s_lshl_b32 s17, s15, 21
	;; [unrolled: 1-line block ×3, first 2 shown]
	s_and_b32 s13, s13, 0x80000000
	s_add_i32 s15, s15, 0x37800000
	v_dual_mov_b32 v69, v65 :: v_dual_mov_b32 v68, v64
	s_or_b32 s13, s13, s15
	s_mov_b32 s15, 0
	s_or_b32 s16, s13, s17
	s_branch .LBB4_4876
.LBB4_4873:                             ;   in Loop: Header=BB4_4876 Depth=3
	s_or_b32 exec_lo, exec_lo, s13
	s_delay_alu instid0(VALU_DEP_1) | instskip(NEXT) | instid1(VALU_DEP_2)
	v_lshrrev_b32_e32 v151, 21, v151
	v_cmp_gt_i32_e32 vcc_lo, 32, v148
	v_min_i32_e32 v165, 31, v148
	v_lshrrev_b32_e32 v11, 24, v11
	s_delay_alu instid0(VALU_DEP_4) | instskip(NEXT) | instid1(VALU_DEP_2)
	v_cndmask_b32_e32 v151, 3, v151, vcc_lo
	v_and_b32_e32 v11, 0x80, v11
	s_delay_alu instid0(VALU_DEP_2) | instskip(SKIP_1) | instid1(VALU_DEP_2)
	v_or_b32_e32 v148, v148, v151
	v_and_b32_e32 v177, 3, v151
	v_cmp_ne_u32_e32 vcc_lo, 0, v148
	v_lshlrev_b32_e32 v165, 2, v165
	s_delay_alu instid0(VALU_DEP_1) | instskip(NEXT) | instid1(VALU_DEP_1)
	v_and_b32_e32 v165, 0xfc, v165
	v_or3_b32 v11, v11, v165, v177
	s_delay_alu instid0(VALU_DEP_1) | instskip(NEXT) | instid1(VALU_DEP_1)
	v_lshlrev_b32_e32 v11, 8, v11
	v_cndmask_b32_e32 v148, 0, v11, vcc_lo
.LBB4_4874:                             ;   in Loop: Header=BB4_4876 Depth=3
	s_or_b32 exec_lo, exec_lo, s30
.LBB4_4875:                             ;   in Loop: Header=BB4_4876 Depth=3
	s_delay_alu instid0(SALU_CYCLE_1)
	s_or_b32 exec_lo, exec_lo, s17
	v_or_b32_e32 v11, v13, v40
	v_and_b32_e32 v151, 0xff, v161
	v_lshlrev_b32_e32 v161, 24, v12
	v_lshlrev_b32_e32 v12, 8, v147
	v_and_b32_e32 v147, 0xff, v41
	v_lshlrev_b32_e32 v165, 8, v42
	v_and_b32_e32 v13, 0xff, v176
	v_lshlrev_b32_e32 v11, 16, v11
	v_lshlrev_b32_e32 v151, 16, v151
	v_perm_b32 v135, v12, v135, 0xc0c0500
	v_lshlrev_b32_e32 v14, 24, v14
	v_lshlrev_b32_e32 v147, 16, v147
	v_perm_b32 v165, v165, v44, 0xc0c0500
	v_or_b32_e32 v15, v15, v180
	v_or3_b32 v12, v179, v13, v11
	v_or3_b32 v11, v161, v151, v135
	v_or_b32_e32 v9, v9, v162
	v_and_b32_e32 v135, 0xff, v166
	v_lshlrev_b32_e32 v151, 8, v167
	v_and_b32_e32 v149, 0xff, v149
	v_lshlrev_b32_e32 v150, 8, v150
	v_or_b32_e32 v144, v148, v144
	v_or3_b32 v13, v14, v147, v165
	v_and_b32_e32 v14, 0xff, v181
	v_lshlrev_b32_e32 v15, 16, v15
	v_and_b32_e32 v147, 0xff, v163
	v_lshlrev_b32_e32 v9, 16, v9
	v_lshlrev_b32_e32 v8, 24, v8
	;; [unrolled: 1-line block ×3, first 2 shown]
	v_perm_b32 v151, v151, v178, 0xc0c0500
	v_lshlrev_b32_e32 v10, 24, v10
	v_lshlrev_b32_e32 v149, 16, v149
	v_perm_b32 v150, v150, v160, 0xc0c0500
	v_and_b32_e32 v145, 0xff, v145
	v_lshlrev_b32_e32 v144, 16, v144
	v_add_co_u32 v53, vcc_lo, v53, v116
	v_or3_b32 v14, v182, v14, v15
	v_or3_b32 v148, v164, v147, v9
	;; [unrolled: 1-line block ×5, first 2 shown]
	v_add_co_ci_u32_e32 v54, vcc_lo, v54, v117, vcc_lo
	v_add_co_u32 v64, vcc_lo, v64, v116
	v_sub_nc_u32_e32 v2, v2, v81
	v_add_co_ci_u32_e32 v65, vcc_lo, v65, v117, vcc_lo
	s_clause 0x1
	global_store_b128 v[66:67], v[11:14], off glc slc dlc
	global_store_b128 v[66:67], v[147:150], off offset:512 glc slc dlc
	s_clause 0x1
	global_store_b128 v[68:69], v[11:14], off glc slc dlc
	global_store_b128 v[68:69], v[147:150], off offset:512 glc slc dlc
	v_add_co_u32 v66, vcc_lo, v66, v116
	v_add_co_ci_u32_e32 v67, vcc_lo, v67, v117, vcc_lo
	v_cmp_gt_i32_e32 vcc_lo, 1, v2
	v_add_co_u32 v68, s13, v68, v116
	s_delay_alu instid0(VALU_DEP_1) | instskip(SKIP_1) | instid1(SALU_CYCLE_1)
	v_add_co_ci_u32_e64 v69, s13, v69, v117, s13
	s_or_b32 s15, vcc_lo, s15
	s_and_not1_b32 exec_lo, exec_lo, s15
	s_cbranch_execz .LBB4_6164
.LBB4_4876:                             ;   Parent Loop BB4_51 Depth=1
                                        ;     Parent Loop BB4_4786 Depth=2
                                        ; =>    This Inner Loop Header: Depth=3
	v_cmp_gt_i16_e64 vcc_lo, 0x80, v134
	s_delay_alu instid0(VALU_DEP_1)
	s_and_b32 vcc_lo, exec_lo, vcc_lo
	s_cbranch_vccnz .LBB4_4880
; %bb.4877:                             ;   in Loop: Header=BB4_4876 Depth=3
	v_cmp_eq_u16_e64 vcc_lo, 0x80, v134
	s_mov_b32 s13, -1
                                        ; implicit-def: $sgpr17
	s_delay_alu instid0(VALU_DEP_1)
	s_and_b32 vcc_lo, exec_lo, vcc_lo
	s_cbranch_vccz .LBB4_4879
; %bb.4878:                             ;   in Loop: Header=BB4_4876 Depth=3
	s_mov_b32 s13, 0
	s_mov_b32 s17, 0x7f800001
.LBB4_4879:                             ;   in Loop: Header=BB4_4876 Depth=3
	s_mov_b32 vcc_lo, 0
	s_branch .LBB4_4881
.LBB4_4880:                             ;   in Loop: Header=BB4_4876 Depth=3
	s_mov_b32 vcc_lo, -1
	s_mov_b32 s13, 0
                                        ; implicit-def: $sgpr17
.LBB4_4881:                             ;   in Loop: Header=BB4_4876 Depth=3
	s_and_b32 vcc_lo, exec_lo, vcc_lo
	s_cbranch_vccz .LBB4_4883
; %bb.4882:                             ;   in Loop: Header=BB4_4876 Depth=3
	v_cmp_ne_u16_e64 s13, 0, v134
	s_mov_b32 s17, 0
.LBB4_4883:                             ;   in Loop: Header=BB4_4876 Depth=3
	s_delay_alu instid0(VALU_DEP_1)
	s_and_not1_b32 vcc_lo, exec_lo, s13
	s_cbranch_vccnz .LBB4_4885
; %bb.4884:                             ;   in Loop: Header=BB4_4876 Depth=3
	s_mov_b32 s17, s16
.LBB4_4885:                             ;   in Loop: Header=BB4_4876 Depth=3
	global_load_b128 v[8:11], v[53:54], off slc dlc
	s_mov_b32 s13, 0
	s_mov_b32 s31, exec_lo
                                        ; implicit-def: $sgpr30
	s_waitcnt vmcnt(0)
	v_and_b32_e32 v13, 0xff, v8
	s_delay_alu instid0(VALU_DEP_1)
	v_cmpx_lt_i16_e32 0x7f, v13
	s_xor_b32 s31, exec_lo, s31
	s_cbranch_execnz .LBB4_5779
; %bb.4886:                             ;   in Loop: Header=BB4_4876 Depth=3
	s_or_saveexec_b32 s31, s31
	v_mov_b32_e32 v12, s30
	s_xor_b32 exec_lo, exec_lo, s31
	s_cbranch_execnz .LBB4_5782
.LBB4_4887:                             ;   in Loop: Header=BB4_4876 Depth=3
	s_or_b32 exec_lo, exec_lo, s31
	s_and_saveexec_b32 s30, s13
	s_cbranch_execz .LBB4_4889
.LBB4_4888:                             ;   in Loop: Header=BB4_4876 Depth=3
	v_bfe_u32 v15, v8, 2, 5
	s_delay_alu instid0(VALU_DEP_1) | instskip(SKIP_1) | instid1(VALU_DEP_1)
	v_cmp_eq_u32_e32 vcc_lo, 0, v15
	v_and_b32_e32 v12, 3, v8
	v_clz_i32_u32_e32 v13, v12
	s_delay_alu instid0(VALU_DEP_1) | instskip(NEXT) | instid1(VALU_DEP_1)
	v_min_u32_e32 v13, 32, v13
	v_subrev_nc_u32_e32 v14, 29, v13
	v_sub_nc_u32_e32 v13, 30, v13
	s_delay_alu instid0(VALU_DEP_1) | instskip(NEXT) | instid1(VALU_DEP_1)
	v_dual_cndmask_b32 v13, v15, v13 :: v_dual_lshlrev_b32 v14, v14, v8
	v_and_b32_e32 v14, 3, v14
	v_lshlrev_b32_e32 v135, 24, v8
	s_delay_alu instid0(VALU_DEP_3) | instskip(NEXT) | instid1(VALU_DEP_3)
	v_lshl_add_u32 v13, v13, 23, 0x37800000
	v_cndmask_b32_e32 v12, v12, v14, vcc_lo
	s_delay_alu instid0(VALU_DEP_3) | instskip(NEXT) | instid1(VALU_DEP_2)
	v_and_b32_e32 v14, 0x80000000, v135
	v_lshlrev_b32_e32 v12, 21, v12
	s_delay_alu instid0(VALU_DEP_1)
	v_or3_b32 v12, v14, v13, v12
.LBB4_4889:                             ;   in Loop: Header=BB4_4876 Depth=3
	s_or_b32 exec_lo, exec_lo, s30
	s_delay_alu instid0(VALU_DEP_1) | instskip(SKIP_1) | instid1(VALU_DEP_1)
	v_dual_mul_f32 v12, s17, v12 :: v_dual_mov_b32 v135, 0x80
	s_mov_b32 s30, exec_lo
	v_and_b32_e32 v13, 0x7f800000, v12
	s_delay_alu instid0(VALU_DEP_1)
	v_cmpx_ne_u32_e32 0x7f800000, v13
	s_cbranch_execz .LBB4_4897
; %bb.4890:                             ;   in Loop: Header=BB4_4876 Depth=3
	v_mov_b32_e32 v135, 0
	s_mov_b32 s31, exec_lo
	v_cmpx_ne_u32_e32 0, v12
	s_cbranch_execz .LBB4_4896
; %bb.4891:                             ;   in Loop: Header=BB4_4876 Depth=3
	v_bfe_u32 v13, v12, 23, 8
	s_delay_alu instid0(VALU_DEP_1) | instskip(SKIP_1) | instid1(VALU_DEP_2)
	v_sub_nc_u32_e32 v15, 0x70, v13
	v_cmp_gt_u32_e32 vcc_lo, 0x71, v13
	v_dual_cndmask_b32 v15, 0, v15 :: v_dual_and_b32 v14, 0x7fffff, v12
	s_delay_alu instid0(VALU_DEP_1) | instskip(SKIP_2) | instid1(VALU_DEP_4)
	v_or_b32_e32 v135, 0x800000, v14
	v_cmp_eq_u32_e32 vcc_lo, 0, v13
	v_add_nc_u32_e32 v13, 0xffffff91, v13
	v_cndmask_b32_e64 v15, v15, 0x6f, vcc_lo
	s_delay_alu instid0(VALU_DEP_4) | instskip(NEXT) | instid1(VALU_DEP_3)
	v_cndmask_b32_e32 v14, v135, v14, vcc_lo
	v_cndmask_b32_e64 v13, v13, 0xffffff92, vcc_lo
	s_delay_alu instid0(VALU_DEP_3) | instskip(NEXT) | instid1(VALU_DEP_3)
	v_lshl_add_u32 v135, 0x200000, v15, -1
	v_lshrrev_b32_e32 v144, v15, v14
	v_lshlrev_b32_e64 v146, v15, 0x100000
	s_delay_alu instid0(VALU_DEP_4) | instskip(NEXT) | instid1(VALU_DEP_4)
	v_add_nc_u32_e32 v15, v15, v13
	v_and_b32_e32 v14, v135, v14
	s_delay_alu instid0(VALU_DEP_4) | instskip(NEXT) | instid1(VALU_DEP_2)
	v_bfe_u32 v145, v144, 21, 1
	v_cmp_eq_u32_e64 s13, v14, v146
	s_delay_alu instid0(VALU_DEP_2) | instskip(NEXT) | instid1(VALU_DEP_1)
	v_add_nc_u32_e32 v135, -1, v145
	v_cndmask_b32_e64 v14, 0, v135, s13
	v_lshrrev_b32_e32 v135, 23, v144
	s_mov_b32 s13, exec_lo
	s_delay_alu instid0(VALU_DEP_2) | instskip(NEXT) | instid1(VALU_DEP_2)
	v_add_nc_u32_e32 v14, v14, v144
	v_xor_b32_e32 v135, 1, v135
	s_delay_alu instid0(VALU_DEP_2) | instskip(NEXT) | instid1(VALU_DEP_1)
	v_and_b32_e32 v13, 0x1fffff, v14
	v_add_nc_u32_e32 v14, v13, v144
                                        ; implicit-def: $vgpr13
	s_delay_alu instid0(VALU_DEP_3)
	v_cmpx_ne_u32_e64 v15, v135
	s_xor_b32 s13, exec_lo, s13
; %bb.4892:                             ;   in Loop: Header=BB4_4876 Depth=3
	s_delay_alu instid0(VALU_DEP_2) | instskip(SKIP_2) | instid1(VALU_DEP_2)
	v_cmp_lt_u32_e32 vcc_lo, 0xffffff, v14
	v_sub_nc_u32_e32 v13, v15, v135
	v_cndmask_b32_e64 v15, 0, 1, vcc_lo
	v_add_co_ci_u32_e32 v13, vcc_lo, 0, v13, vcc_lo
	s_delay_alu instid0(VALU_DEP_2)
	v_lshrrev_b32_e32 v14, v15, v14
; %bb.4893:                             ;   in Loop: Header=BB4_4876 Depth=3
	s_and_not1_saveexec_b32 s13, s13
; %bb.4894:                             ;   in Loop: Header=BB4_4876 Depth=3
	s_delay_alu instid0(VALU_DEP_1)
	v_bfe_u32 v13, v14, 23, 1
; %bb.4895:                             ;   in Loop: Header=BB4_4876 Depth=3
	s_or_b32 exec_lo, exec_lo, s13
	v_lshrrev_b32_e32 v14, 21, v14
	s_delay_alu instid0(VALU_DEP_2) | instskip(SKIP_2) | instid1(VALU_DEP_4)
	v_cmp_gt_i32_e32 vcc_lo, 32, v13
	v_lshrrev_b32_e32 v12, 24, v12
	v_min_i32_e32 v15, 31, v13
	v_cndmask_b32_e32 v14, 3, v14, vcc_lo
	s_delay_alu instid0(VALU_DEP_3) | instskip(NEXT) | instid1(VALU_DEP_3)
	v_and_b32_e32 v12, 0x80, v12
	v_lshlrev_b32_e32 v15, 2, v15
	s_delay_alu instid0(VALU_DEP_3) | instskip(SKIP_1) | instid1(VALU_DEP_2)
	v_and_b32_e32 v135, 3, v14
	v_or_b32_e32 v13, v13, v14
	v_or3_b32 v12, v15, v12, v135
	s_delay_alu instid0(VALU_DEP_2) | instskip(NEXT) | instid1(VALU_DEP_2)
	v_cmp_ne_u32_e32 vcc_lo, 0, v13
	v_cndmask_b32_e32 v135, 0, v12, vcc_lo
.LBB4_4896:                             ;   in Loop: Header=BB4_4876 Depth=3
	s_or_b32 exec_lo, exec_lo, s31
.LBB4_4897:                             ;   in Loop: Header=BB4_4876 Depth=3
	s_delay_alu instid0(SALU_CYCLE_1) | instskip(SKIP_3) | instid1(VALU_DEP_1)
	s_or_b32 exec_lo, exec_lo, s30
	v_lshrrev_b16 v12, 8, v8
	s_mov_b32 s13, 0
	s_mov_b32 s31, exec_lo
                                        ; implicit-def: $sgpr30
	v_cmpx_lt_i16_e32 0x7f, v12
	s_xor_b32 s31, exec_lo, s31
	s_cbranch_execnz .LBB4_5783
; %bb.4898:                             ;   in Loop: Header=BB4_4876 Depth=3
	s_or_saveexec_b32 s31, s31
	v_mov_b32_e32 v13, s30
	s_xor_b32 exec_lo, exec_lo, s31
	s_cbranch_execnz .LBB4_5786
.LBB4_4899:                             ;   in Loop: Header=BB4_4876 Depth=3
	s_or_b32 exec_lo, exec_lo, s31
	s_and_saveexec_b32 s30, s13
	s_cbranch_execz .LBB4_4901
.LBB4_4900:                             ;   in Loop: Header=BB4_4876 Depth=3
	v_and_b32_e32 v13, 0xffff, v12
	v_lshlrev_b32_e32 v12, 24, v12
	s_delay_alu instid0(VALU_DEP_2) | instskip(NEXT) | instid1(VALU_DEP_2)
	v_and_b32_e32 v14, 3, v13
	v_and_b32_e32 v12, 0x80000000, v12
	s_delay_alu instid0(VALU_DEP_2) | instskip(NEXT) | instid1(VALU_DEP_1)
	v_clz_i32_u32_e32 v15, v14
	v_min_u32_e32 v15, 32, v15
	s_delay_alu instid0(VALU_DEP_1) | instskip(SKIP_1) | instid1(VALU_DEP_2)
	v_subrev_nc_u32_e32 v144, 29, v15
	v_sub_nc_u32_e32 v15, 30, v15
	v_lshlrev_b32_e32 v144, v144, v13
	v_bfe_u32 v13, v13, 2, 5
	s_delay_alu instid0(VALU_DEP_2) | instskip(NEXT) | instid1(VALU_DEP_2)
	v_and_b32_e32 v144, 3, v144
	v_cmp_eq_u32_e32 vcc_lo, 0, v13
	s_delay_alu instid0(VALU_DEP_2) | instskip(NEXT) | instid1(VALU_DEP_1)
	v_dual_cndmask_b32 v13, v13, v15 :: v_dual_cndmask_b32 v14, v14, v144
	v_lshl_add_u32 v13, v13, 23, 0x37800000
	s_delay_alu instid0(VALU_DEP_2) | instskip(NEXT) | instid1(VALU_DEP_1)
	v_lshlrev_b32_e32 v14, 21, v14
	v_or3_b32 v13, v12, v13, v14
.LBB4_4901:                             ;   in Loop: Header=BB4_4876 Depth=3
	s_or_b32 exec_lo, exec_lo, s30
	s_delay_alu instid0(VALU_DEP_1) | instskip(SKIP_1) | instid1(VALU_DEP_1)
	v_dual_mul_f32 v12, s17, v13 :: v_dual_mov_b32 v147, 0x80
	s_mov_b32 s30, exec_lo
	v_and_b32_e32 v13, 0x7f800000, v12
	s_delay_alu instid0(VALU_DEP_1)
	v_cmpx_ne_u32_e32 0x7f800000, v13
	s_cbranch_execz .LBB4_4909
; %bb.4902:                             ;   in Loop: Header=BB4_4876 Depth=3
	v_mov_b32_e32 v147, 0
	s_mov_b32 s31, exec_lo
	v_cmpx_ne_u32_e32 0, v12
	s_cbranch_execz .LBB4_4908
; %bb.4903:                             ;   in Loop: Header=BB4_4876 Depth=3
	v_bfe_u32 v13, v12, 23, 8
	s_delay_alu instid0(VALU_DEP_1) | instskip(SKIP_1) | instid1(VALU_DEP_2)
	v_sub_nc_u32_e32 v15, 0x70, v13
	v_cmp_gt_u32_e32 vcc_lo, 0x71, v13
	v_dual_cndmask_b32 v15, 0, v15 :: v_dual_and_b32 v14, 0x7fffff, v12
	s_delay_alu instid0(VALU_DEP_1) | instskip(SKIP_2) | instid1(VALU_DEP_4)
	v_or_b32_e32 v144, 0x800000, v14
	v_cmp_eq_u32_e32 vcc_lo, 0, v13
	v_add_nc_u32_e32 v13, 0xffffff91, v13
	v_cndmask_b32_e64 v15, v15, 0x6f, vcc_lo
	s_delay_alu instid0(VALU_DEP_4) | instskip(NEXT) | instid1(VALU_DEP_3)
	v_cndmask_b32_e32 v14, v144, v14, vcc_lo
	v_cndmask_b32_e64 v13, v13, 0xffffff92, vcc_lo
	s_delay_alu instid0(VALU_DEP_3) | instskip(NEXT) | instid1(VALU_DEP_3)
	v_lshl_add_u32 v144, 0x200000, v15, -1
	v_lshrrev_b32_e32 v145, v15, v14
	v_lshlrev_b32_e64 v147, v15, 0x100000
	s_delay_alu instid0(VALU_DEP_4) | instskip(NEXT) | instid1(VALU_DEP_4)
	v_add_nc_u32_e32 v15, v15, v13
	v_and_b32_e32 v14, v144, v14
	s_delay_alu instid0(VALU_DEP_4) | instskip(NEXT) | instid1(VALU_DEP_2)
	v_bfe_u32 v146, v145, 21, 1
	v_cmp_eq_u32_e64 s13, v14, v147
	s_delay_alu instid0(VALU_DEP_2) | instskip(NEXT) | instid1(VALU_DEP_1)
	v_add_nc_u32_e32 v144, -1, v146
	v_cndmask_b32_e64 v14, 0, v144, s13
	v_lshrrev_b32_e32 v144, 23, v145
	s_mov_b32 s13, exec_lo
	s_delay_alu instid0(VALU_DEP_2) | instskip(NEXT) | instid1(VALU_DEP_2)
	v_add_nc_u32_e32 v14, v14, v145
	v_xor_b32_e32 v144, 1, v144
	s_delay_alu instid0(VALU_DEP_2) | instskip(NEXT) | instid1(VALU_DEP_1)
	v_and_b32_e32 v13, 0x1fffff, v14
	v_add_nc_u32_e32 v14, v13, v145
                                        ; implicit-def: $vgpr13
	s_delay_alu instid0(VALU_DEP_3)
	v_cmpx_ne_u32_e64 v15, v144
	s_xor_b32 s13, exec_lo, s13
; %bb.4904:                             ;   in Loop: Header=BB4_4876 Depth=3
	s_delay_alu instid0(VALU_DEP_2) | instskip(SKIP_2) | instid1(VALU_DEP_2)
	v_cmp_lt_u32_e32 vcc_lo, 0xffffff, v14
	v_sub_nc_u32_e32 v13, v15, v144
	v_cndmask_b32_e64 v15, 0, 1, vcc_lo
	v_add_co_ci_u32_e32 v13, vcc_lo, 0, v13, vcc_lo
	s_delay_alu instid0(VALU_DEP_2)
	v_lshrrev_b32_e32 v14, v15, v14
; %bb.4905:                             ;   in Loop: Header=BB4_4876 Depth=3
	s_and_not1_saveexec_b32 s13, s13
; %bb.4906:                             ;   in Loop: Header=BB4_4876 Depth=3
	s_delay_alu instid0(VALU_DEP_1)
	v_bfe_u32 v13, v14, 23, 1
; %bb.4907:                             ;   in Loop: Header=BB4_4876 Depth=3
	s_or_b32 exec_lo, exec_lo, s13
	v_lshrrev_b32_e32 v14, 21, v14
	s_delay_alu instid0(VALU_DEP_2) | instskip(SKIP_2) | instid1(VALU_DEP_2)
	v_cmp_gt_i32_e32 vcc_lo, 32, v13
	v_min_i32_e32 v15, 31, v13
	v_lshrrev_b32_e32 v12, 24, v12
	v_dual_cndmask_b32 v14, 3, v14 :: v_dual_lshlrev_b32 v15, 2, v15
	s_delay_alu instid0(VALU_DEP_2) | instskip(NEXT) | instid1(VALU_DEP_2)
	v_and_b32_e32 v12, 0x80, v12
	v_or_b32_e32 v13, v13, v14
	s_delay_alu instid0(VALU_DEP_1) | instskip(SKIP_1) | instid1(VALU_DEP_1)
	v_cmp_ne_u32_e32 vcc_lo, 0, v13
	v_and_b32_e32 v144, 3, v14
	v_or3_b32 v12, v15, v12, v144
	s_delay_alu instid0(VALU_DEP_1)
	v_cndmask_b32_e32 v147, 0, v12, vcc_lo
.LBB4_4908:                             ;   in Loop: Header=BB4_4876 Depth=3
	s_or_b32 exec_lo, exec_lo, s31
.LBB4_4909:                             ;   in Loop: Header=BB4_4876 Depth=3
	s_delay_alu instid0(SALU_CYCLE_1) | instskip(SKIP_3) | instid1(VALU_DEP_1)
	s_or_b32 exec_lo, exec_lo, s30
	v_lshrrev_b32_e32 v12, 16, v8
	s_mov_b32 s13, 0
	s_mov_b32 s31, exec_lo
                                        ; implicit-def: $sgpr30
	v_and_b32_e32 v14, 0xff, v12
	s_delay_alu instid0(VALU_DEP_1)
	v_cmpx_lt_i16_e32 0x7f, v14
	s_xor_b32 s31, exec_lo, s31
	s_cbranch_execnz .LBB4_5787
; %bb.4910:                             ;   in Loop: Header=BB4_4876 Depth=3
	s_or_saveexec_b32 s31, s31
	v_mov_b32_e32 v13, s30
	s_xor_b32 exec_lo, exec_lo, s31
	s_cbranch_execnz .LBB4_5790
.LBB4_4911:                             ;   in Loop: Header=BB4_4876 Depth=3
	s_or_b32 exec_lo, exec_lo, s31
	s_and_saveexec_b32 s30, s13
	s_cbranch_execz .LBB4_4913
.LBB4_4912:                             ;   in Loop: Header=BB4_4876 Depth=3
	v_bfe_u32 v13, v8, 16, 2
	v_lshlrev_b32_e32 v144, 8, v8
	s_delay_alu instid0(VALU_DEP_2) | instskip(NEXT) | instid1(VALU_DEP_1)
	v_clz_i32_u32_e32 v14, v13
	v_min_u32_e32 v14, 32, v14
	s_delay_alu instid0(VALU_DEP_1) | instskip(SKIP_1) | instid1(VALU_DEP_2)
	v_subrev_nc_u32_e32 v15, 29, v14
	v_sub_nc_u32_e32 v14, 30, v14
	v_lshlrev_b32_e32 v12, v15, v12
	v_bfe_u32 v15, v8, 18, 5
	s_delay_alu instid0(VALU_DEP_2) | instskip(NEXT) | instid1(VALU_DEP_2)
	v_and_b32_e32 v12, 3, v12
	v_cmp_eq_u32_e32 vcc_lo, 0, v15
	v_cndmask_b32_e32 v14, v15, v14, vcc_lo
	s_delay_alu instid0(VALU_DEP_3) | instskip(SKIP_1) | instid1(VALU_DEP_3)
	v_cndmask_b32_e32 v12, v13, v12, vcc_lo
	v_and_b32_e32 v13, 0x80000000, v144
	v_lshl_add_u32 v14, v14, 23, 0x37800000
	s_delay_alu instid0(VALU_DEP_3) | instskip(NEXT) | instid1(VALU_DEP_1)
	v_lshlrev_b32_e32 v12, 21, v12
	v_or3_b32 v13, v13, v14, v12
.LBB4_4913:                             ;   in Loop: Header=BB4_4876 Depth=3
	s_or_b32 exec_lo, exec_lo, s30
	s_delay_alu instid0(VALU_DEP_1) | instskip(SKIP_1) | instid1(VALU_DEP_1)
	v_dual_mul_f32 v12, s17, v13 :: v_dual_mov_b32 v161, 0x80
	s_mov_b32 s30, exec_lo
	v_and_b32_e32 v13, 0x7f800000, v12
	s_delay_alu instid0(VALU_DEP_1)
	v_cmpx_ne_u32_e32 0x7f800000, v13
	s_cbranch_execz .LBB4_4921
; %bb.4914:                             ;   in Loop: Header=BB4_4876 Depth=3
	v_mov_b32_e32 v161, 0
	s_mov_b32 s31, exec_lo
	v_cmpx_ne_u32_e32 0, v12
	s_cbranch_execz .LBB4_4920
; %bb.4915:                             ;   in Loop: Header=BB4_4876 Depth=3
	v_bfe_u32 v13, v12, 23, 8
	s_delay_alu instid0(VALU_DEP_1) | instskip(SKIP_1) | instid1(VALU_DEP_2)
	v_sub_nc_u32_e32 v15, 0x70, v13
	v_cmp_gt_u32_e32 vcc_lo, 0x71, v13
	v_dual_cndmask_b32 v15, 0, v15 :: v_dual_and_b32 v14, 0x7fffff, v12
	s_delay_alu instid0(VALU_DEP_1) | instskip(SKIP_2) | instid1(VALU_DEP_4)
	v_or_b32_e32 v144, 0x800000, v14
	v_cmp_eq_u32_e32 vcc_lo, 0, v13
	v_add_nc_u32_e32 v13, 0xffffff91, v13
	v_cndmask_b32_e64 v15, v15, 0x6f, vcc_lo
	s_delay_alu instid0(VALU_DEP_4) | instskip(NEXT) | instid1(VALU_DEP_3)
	v_cndmask_b32_e32 v14, v144, v14, vcc_lo
	v_cndmask_b32_e64 v13, v13, 0xffffff92, vcc_lo
	s_delay_alu instid0(VALU_DEP_3) | instskip(NEXT) | instid1(VALU_DEP_3)
	v_lshl_add_u32 v144, 0x200000, v15, -1
	v_lshrrev_b32_e32 v145, v15, v14
	v_lshlrev_b32_e64 v148, v15, 0x100000
	s_delay_alu instid0(VALU_DEP_4) | instskip(NEXT) | instid1(VALU_DEP_4)
	v_add_nc_u32_e32 v15, v15, v13
	v_and_b32_e32 v14, v144, v14
	s_delay_alu instid0(VALU_DEP_4) | instskip(NEXT) | instid1(VALU_DEP_2)
	v_bfe_u32 v146, v145, 21, 1
	v_cmp_eq_u32_e64 s13, v14, v148
	s_delay_alu instid0(VALU_DEP_2) | instskip(NEXT) | instid1(VALU_DEP_1)
	v_add_nc_u32_e32 v144, -1, v146
	v_cndmask_b32_e64 v14, 0, v144, s13
	v_lshrrev_b32_e32 v144, 23, v145
	s_mov_b32 s13, exec_lo
	s_delay_alu instid0(VALU_DEP_2) | instskip(NEXT) | instid1(VALU_DEP_2)
	v_add_nc_u32_e32 v14, v14, v145
	v_xor_b32_e32 v144, 1, v144
	s_delay_alu instid0(VALU_DEP_2) | instskip(NEXT) | instid1(VALU_DEP_1)
	v_and_b32_e32 v13, 0x1fffff, v14
	v_add_nc_u32_e32 v14, v13, v145
                                        ; implicit-def: $vgpr13
	s_delay_alu instid0(VALU_DEP_3)
	v_cmpx_ne_u32_e64 v15, v144
	s_xor_b32 s13, exec_lo, s13
; %bb.4916:                             ;   in Loop: Header=BB4_4876 Depth=3
	s_delay_alu instid0(VALU_DEP_2) | instskip(SKIP_2) | instid1(VALU_DEP_2)
	v_cmp_lt_u32_e32 vcc_lo, 0xffffff, v14
	v_sub_nc_u32_e32 v13, v15, v144
	v_cndmask_b32_e64 v15, 0, 1, vcc_lo
	v_add_co_ci_u32_e32 v13, vcc_lo, 0, v13, vcc_lo
	s_delay_alu instid0(VALU_DEP_2)
	v_lshrrev_b32_e32 v14, v15, v14
; %bb.4917:                             ;   in Loop: Header=BB4_4876 Depth=3
	s_and_not1_saveexec_b32 s13, s13
; %bb.4918:                             ;   in Loop: Header=BB4_4876 Depth=3
	s_delay_alu instid0(VALU_DEP_1)
	v_bfe_u32 v13, v14, 23, 1
; %bb.4919:                             ;   in Loop: Header=BB4_4876 Depth=3
	s_or_b32 exec_lo, exec_lo, s13
	v_lshrrev_b32_e32 v14, 21, v14
	s_delay_alu instid0(VALU_DEP_2) | instskip(SKIP_2) | instid1(VALU_DEP_2)
	v_cmp_gt_i32_e32 vcc_lo, 32, v13
	v_min_i32_e32 v15, 31, v13
	v_lshrrev_b32_e32 v12, 24, v12
	v_dual_cndmask_b32 v14, 3, v14 :: v_dual_lshlrev_b32 v15, 2, v15
	s_delay_alu instid0(VALU_DEP_2) | instskip(NEXT) | instid1(VALU_DEP_2)
	v_and_b32_e32 v12, 0x80, v12
	v_or_b32_e32 v13, v13, v14
	s_delay_alu instid0(VALU_DEP_1) | instskip(SKIP_1) | instid1(VALU_DEP_1)
	v_cmp_ne_u32_e32 vcc_lo, 0, v13
	v_and_b32_e32 v144, 3, v14
	v_or3_b32 v12, v15, v12, v144
	s_delay_alu instid0(VALU_DEP_1)
	v_cndmask_b32_e32 v161, 0, v12, vcc_lo
.LBB4_4920:                             ;   in Loop: Header=BB4_4876 Depth=3
	s_or_b32 exec_lo, exec_lo, s31
.LBB4_4921:                             ;   in Loop: Header=BB4_4876 Depth=3
	s_delay_alu instid0(SALU_CYCLE_1) | instskip(SKIP_3) | instid1(VALU_DEP_1)
	s_or_b32 exec_lo, exec_lo, s30
	v_lshrrev_b32_e32 v12, 24, v8
	s_mov_b32 s13, 0
	s_mov_b32 s31, exec_lo
                                        ; implicit-def: $sgpr30
	v_cmpx_lt_i16_e32 0x7f, v12
	s_xor_b32 s31, exec_lo, s31
	s_cbranch_execnz .LBB4_5791
; %bb.4922:                             ;   in Loop: Header=BB4_4876 Depth=3
	s_or_saveexec_b32 s31, s31
	v_mov_b32_e32 v13, s30
	s_xor_b32 exec_lo, exec_lo, s31
	s_cbranch_execnz .LBB4_5794
.LBB4_4923:                             ;   in Loop: Header=BB4_4876 Depth=3
	s_or_b32 exec_lo, exec_lo, s31
	s_and_saveexec_b32 s30, s13
	s_cbranch_execz .LBB4_4925
.LBB4_4924:                             ;   in Loop: Header=BB4_4876 Depth=3
	v_bfe_u32 v13, v8, 24, 2
	s_delay_alu instid0(VALU_DEP_1) | instskip(NEXT) | instid1(VALU_DEP_1)
	v_clz_i32_u32_e32 v14, v13
	v_min_u32_e32 v14, 32, v14
	s_delay_alu instid0(VALU_DEP_1) | instskip(SKIP_1) | instid1(VALU_DEP_2)
	v_subrev_nc_u32_e32 v15, 29, v14
	v_sub_nc_u32_e32 v14, 30, v14
	v_lshlrev_b32_e32 v12, v15, v12
	v_bfe_u32 v15, v8, 26, 5
	v_and_b32_e32 v8, 0x80000000, v8
	s_delay_alu instid0(VALU_DEP_3) | instskip(NEXT) | instid1(VALU_DEP_3)
	v_and_b32_e32 v12, 3, v12
	v_cmp_eq_u32_e32 vcc_lo, 0, v15
	v_cndmask_b32_e32 v14, v15, v14, vcc_lo
	s_delay_alu instid0(VALU_DEP_3) | instskip(NEXT) | instid1(VALU_DEP_2)
	v_cndmask_b32_e32 v12, v13, v12, vcc_lo
	v_lshl_add_u32 v13, v14, 23, 0x37800000
	s_delay_alu instid0(VALU_DEP_2) | instskip(NEXT) | instid1(VALU_DEP_1)
	v_lshlrev_b32_e32 v12, 21, v12
	v_or3_b32 v13, v8, v13, v12
.LBB4_4925:                             ;   in Loop: Header=BB4_4876 Depth=3
	s_or_b32 exec_lo, exec_lo, s30
	s_delay_alu instid0(VALU_DEP_1) | instskip(SKIP_1) | instid1(VALU_DEP_1)
	v_dual_mul_f32 v8, s17, v13 :: v_dual_mov_b32 v179, 0x80
	s_mov_b32 s30, exec_lo
	v_and_b32_e32 v12, 0x7f800000, v8
	s_delay_alu instid0(VALU_DEP_1)
	v_cmpx_ne_u32_e32 0x7f800000, v12
	s_cbranch_execz .LBB4_4933
; %bb.4926:                             ;   in Loop: Header=BB4_4876 Depth=3
	v_mov_b32_e32 v179, 0
	s_mov_b32 s31, exec_lo
	v_cmpx_ne_u32_e32 0, v8
	s_cbranch_execz .LBB4_4932
; %bb.4927:                             ;   in Loop: Header=BB4_4876 Depth=3
	v_bfe_u32 v12, v8, 23, 8
	s_delay_alu instid0(VALU_DEP_1) | instskip(SKIP_1) | instid1(VALU_DEP_2)
	v_sub_nc_u32_e32 v14, 0x70, v12
	v_cmp_gt_u32_e32 vcc_lo, 0x71, v12
	v_dual_cndmask_b32 v14, 0, v14 :: v_dual_and_b32 v13, 0x7fffff, v8
	s_delay_alu instid0(VALU_DEP_1) | instskip(SKIP_2) | instid1(VALU_DEP_4)
	v_or_b32_e32 v15, 0x800000, v13
	v_cmp_eq_u32_e32 vcc_lo, 0, v12
	v_add_nc_u32_e32 v12, 0xffffff91, v12
	v_cndmask_b32_e64 v14, v14, 0x6f, vcc_lo
	s_delay_alu instid0(VALU_DEP_4) | instskip(NEXT) | instid1(VALU_DEP_3)
	v_cndmask_b32_e32 v13, v15, v13, vcc_lo
	v_cndmask_b32_e64 v12, v12, 0xffffff92, vcc_lo
	s_delay_alu instid0(VALU_DEP_3) | instskip(NEXT) | instid1(VALU_DEP_3)
	v_lshl_add_u32 v15, 0x200000, v14, -1
	v_lshrrev_b32_e32 v144, v14, v13
	v_lshlrev_b32_e64 v146, v14, 0x100000
	s_delay_alu instid0(VALU_DEP_4) | instskip(NEXT) | instid1(VALU_DEP_4)
	v_add_nc_u32_e32 v14, v14, v12
	v_and_b32_e32 v13, v15, v13
	s_delay_alu instid0(VALU_DEP_4) | instskip(NEXT) | instid1(VALU_DEP_2)
	v_bfe_u32 v145, v144, 21, 1
	v_cmp_eq_u32_e64 s13, v13, v146
	s_delay_alu instid0(VALU_DEP_2) | instskip(NEXT) | instid1(VALU_DEP_1)
	v_add_nc_u32_e32 v15, -1, v145
	v_cndmask_b32_e64 v13, 0, v15, s13
	v_lshrrev_b32_e32 v15, 23, v144
	s_mov_b32 s13, exec_lo
	s_delay_alu instid0(VALU_DEP_2) | instskip(NEXT) | instid1(VALU_DEP_2)
	v_add_nc_u32_e32 v13, v13, v144
	v_xor_b32_e32 v15, 1, v15
	s_delay_alu instid0(VALU_DEP_2) | instskip(NEXT) | instid1(VALU_DEP_1)
	v_and_b32_e32 v12, 0x1fffff, v13
	v_add_nc_u32_e32 v13, v12, v144
                                        ; implicit-def: $vgpr12
	s_delay_alu instid0(VALU_DEP_3)
	v_cmpx_ne_u32_e64 v14, v15
	s_xor_b32 s13, exec_lo, s13
; %bb.4928:                             ;   in Loop: Header=BB4_4876 Depth=3
	s_delay_alu instid0(VALU_DEP_2) | instskip(SKIP_2) | instid1(VALU_DEP_2)
	v_cmp_lt_u32_e32 vcc_lo, 0xffffff, v13
	v_sub_nc_u32_e32 v12, v14, v15
	v_cndmask_b32_e64 v14, 0, 1, vcc_lo
	v_add_co_ci_u32_e32 v12, vcc_lo, 0, v12, vcc_lo
	s_delay_alu instid0(VALU_DEP_2)
	v_lshrrev_b32_e32 v13, v14, v13
; %bb.4929:                             ;   in Loop: Header=BB4_4876 Depth=3
	s_and_not1_saveexec_b32 s13, s13
; %bb.4930:                             ;   in Loop: Header=BB4_4876 Depth=3
	s_delay_alu instid0(VALU_DEP_1)
	v_bfe_u32 v12, v13, 23, 1
; %bb.4931:                             ;   in Loop: Header=BB4_4876 Depth=3
	s_or_b32 exec_lo, exec_lo, s13
	v_lshrrev_b32_e32 v13, 21, v13
	s_delay_alu instid0(VALU_DEP_2) | instskip(SKIP_2) | instid1(VALU_DEP_2)
	v_cmp_gt_i32_e32 vcc_lo, 32, v12
	v_lshrrev_b32_e32 v8, 24, v8
	v_min_i32_e32 v14, 31, v12
	v_dual_cndmask_b32 v13, 3, v13 :: v_dual_and_b32 v8, 0x80, v8
	s_delay_alu instid0(VALU_DEP_1) | instskip(SKIP_1) | instid1(VALU_DEP_2)
	v_or_b32_e32 v12, v12, v13
	v_and_b32_e32 v15, 3, v13
	v_cmp_ne_u32_e32 vcc_lo, 0, v12
	v_lshlrev_b32_e32 v14, 2, v14
	s_delay_alu instid0(VALU_DEP_1) | instskip(NEXT) | instid1(VALU_DEP_1)
	v_or3_b32 v8, v14, v8, v15
	v_cndmask_b32_e32 v179, 0, v8, vcc_lo
.LBB4_4932:                             ;   in Loop: Header=BB4_4876 Depth=3
	s_or_b32 exec_lo, exec_lo, s31
.LBB4_4933:                             ;   in Loop: Header=BB4_4876 Depth=3
	s_delay_alu instid0(SALU_CYCLE_1) | instskip(SKIP_3) | instid1(VALU_DEP_1)
	s_or_b32 exec_lo, exec_lo, s30
	v_and_b32_e32 v12, 0xff, v9
	s_mov_b32 s13, 0
	s_mov_b32 s31, exec_lo
                                        ; implicit-def: $sgpr30
	v_cmpx_lt_i16_e32 0x7f, v12
	s_xor_b32 s31, exec_lo, s31
	s_cbranch_execnz .LBB4_5795
; %bb.4934:                             ;   in Loop: Header=BB4_4876 Depth=3
	s_or_saveexec_b32 s31, s31
	v_mov_b32_e32 v8, s30
	s_xor_b32 exec_lo, exec_lo, s31
	s_cbranch_execnz .LBB4_5798
.LBB4_4935:                             ;   in Loop: Header=BB4_4876 Depth=3
	s_or_b32 exec_lo, exec_lo, s31
	s_and_saveexec_b32 s30, s13
	s_cbranch_execz .LBB4_4937
.LBB4_4936:                             ;   in Loop: Header=BB4_4876 Depth=3
	v_and_b32_e32 v8, 3, v9
	v_bfe_u32 v14, v9, 2, 5
	v_lshlrev_b32_e32 v15, 24, v9
	s_delay_alu instid0(VALU_DEP_3) | instskip(NEXT) | instid1(VALU_DEP_3)
	v_clz_i32_u32_e32 v12, v8
	v_cmp_eq_u32_e32 vcc_lo, 0, v14
	s_delay_alu instid0(VALU_DEP_2) | instskip(NEXT) | instid1(VALU_DEP_1)
	v_min_u32_e32 v12, 32, v12
	v_subrev_nc_u32_e32 v13, 29, v12
	v_sub_nc_u32_e32 v12, 30, v12
	s_delay_alu instid0(VALU_DEP_1) | instskip(NEXT) | instid1(VALU_DEP_1)
	v_dual_cndmask_b32 v12, v14, v12 :: v_dual_lshlrev_b32 v13, v13, v9
	v_and_b32_e32 v13, 3, v13
	s_delay_alu instid0(VALU_DEP_2) | instskip(NEXT) | instid1(VALU_DEP_2)
	v_lshl_add_u32 v12, v12, 23, 0x37800000
	v_dual_cndmask_b32 v8, v8, v13 :: v_dual_and_b32 v13, 0x80000000, v15
	s_delay_alu instid0(VALU_DEP_1) | instskip(NEXT) | instid1(VALU_DEP_1)
	v_lshlrev_b32_e32 v8, 21, v8
	v_or3_b32 v8, v13, v12, v8
.LBB4_4937:                             ;   in Loop: Header=BB4_4876 Depth=3
	s_or_b32 exec_lo, exec_lo, s30
	s_delay_alu instid0(VALU_DEP_1) | instskip(SKIP_2) | instid1(VALU_DEP_2)
	v_mul_f32_e32 v8, s17, v8
	v_mov_b32_e32 v176, 0x80
	s_mov_b32 s30, exec_lo
	v_and_b32_e32 v12, 0x7f800000, v8
	s_delay_alu instid0(VALU_DEP_1)
	v_cmpx_ne_u32_e32 0x7f800000, v12
	s_cbranch_execz .LBB4_4945
; %bb.4938:                             ;   in Loop: Header=BB4_4876 Depth=3
	v_mov_b32_e32 v176, 0
	s_mov_b32 s31, exec_lo
	v_cmpx_ne_u32_e32 0, v8
	s_cbranch_execz .LBB4_4944
; %bb.4939:                             ;   in Loop: Header=BB4_4876 Depth=3
	v_bfe_u32 v12, v8, 23, 8
	s_delay_alu instid0(VALU_DEP_1) | instskip(SKIP_1) | instid1(VALU_DEP_2)
	v_sub_nc_u32_e32 v14, 0x70, v12
	v_cmp_gt_u32_e32 vcc_lo, 0x71, v12
	v_dual_cndmask_b32 v14, 0, v14 :: v_dual_and_b32 v13, 0x7fffff, v8
	s_delay_alu instid0(VALU_DEP_1) | instskip(SKIP_2) | instid1(VALU_DEP_4)
	v_or_b32_e32 v15, 0x800000, v13
	v_cmp_eq_u32_e32 vcc_lo, 0, v12
	v_add_nc_u32_e32 v12, 0xffffff91, v12
	v_cndmask_b32_e64 v14, v14, 0x6f, vcc_lo
	s_delay_alu instid0(VALU_DEP_4) | instskip(NEXT) | instid1(VALU_DEP_3)
	v_cndmask_b32_e32 v13, v15, v13, vcc_lo
	v_cndmask_b32_e64 v12, v12, 0xffffff92, vcc_lo
	s_delay_alu instid0(VALU_DEP_3) | instskip(NEXT) | instid1(VALU_DEP_3)
	v_lshl_add_u32 v15, 0x200000, v14, -1
	v_lshrrev_b32_e32 v144, v14, v13
	v_lshlrev_b32_e64 v146, v14, 0x100000
	s_delay_alu instid0(VALU_DEP_4) | instskip(NEXT) | instid1(VALU_DEP_4)
	v_add_nc_u32_e32 v14, v14, v12
	v_and_b32_e32 v13, v15, v13
	s_delay_alu instid0(VALU_DEP_4) | instskip(NEXT) | instid1(VALU_DEP_2)
	v_bfe_u32 v145, v144, 21, 1
	v_cmp_eq_u32_e64 s13, v13, v146
	s_delay_alu instid0(VALU_DEP_2) | instskip(NEXT) | instid1(VALU_DEP_1)
	v_add_nc_u32_e32 v15, -1, v145
	v_cndmask_b32_e64 v13, 0, v15, s13
	v_lshrrev_b32_e32 v15, 23, v144
	s_mov_b32 s13, exec_lo
	s_delay_alu instid0(VALU_DEP_2) | instskip(NEXT) | instid1(VALU_DEP_2)
	v_add_nc_u32_e32 v13, v13, v144
	v_xor_b32_e32 v15, 1, v15
	s_delay_alu instid0(VALU_DEP_2) | instskip(NEXT) | instid1(VALU_DEP_1)
	v_and_b32_e32 v12, 0x1fffff, v13
	v_add_nc_u32_e32 v13, v12, v144
                                        ; implicit-def: $vgpr12
	s_delay_alu instid0(VALU_DEP_3)
	v_cmpx_ne_u32_e64 v14, v15
	s_xor_b32 s13, exec_lo, s13
; %bb.4940:                             ;   in Loop: Header=BB4_4876 Depth=3
	s_delay_alu instid0(VALU_DEP_2) | instskip(SKIP_2) | instid1(VALU_DEP_2)
	v_cmp_lt_u32_e32 vcc_lo, 0xffffff, v13
	v_sub_nc_u32_e32 v12, v14, v15
	v_cndmask_b32_e64 v14, 0, 1, vcc_lo
	v_add_co_ci_u32_e32 v12, vcc_lo, 0, v12, vcc_lo
	s_delay_alu instid0(VALU_DEP_2)
	v_lshrrev_b32_e32 v13, v14, v13
; %bb.4941:                             ;   in Loop: Header=BB4_4876 Depth=3
	s_and_not1_saveexec_b32 s13, s13
; %bb.4942:                             ;   in Loop: Header=BB4_4876 Depth=3
	s_delay_alu instid0(VALU_DEP_1)
	v_bfe_u32 v12, v13, 23, 1
; %bb.4943:                             ;   in Loop: Header=BB4_4876 Depth=3
	s_or_b32 exec_lo, exec_lo, s13
	v_lshrrev_b32_e32 v13, 21, v13
	s_delay_alu instid0(VALU_DEP_2) | instskip(SKIP_2) | instid1(VALU_DEP_2)
	v_cmp_gt_i32_e32 vcc_lo, 32, v12
	v_min_i32_e32 v14, 31, v12
	v_lshrrev_b32_e32 v8, 24, v8
	v_dual_cndmask_b32 v13, 3, v13 :: v_dual_lshlrev_b32 v14, 2, v14
	s_delay_alu instid0(VALU_DEP_2) | instskip(NEXT) | instid1(VALU_DEP_2)
	v_and_b32_e32 v8, 0x80, v8
	v_or_b32_e32 v12, v12, v13
	s_delay_alu instid0(VALU_DEP_3) | instskip(NEXT) | instid1(VALU_DEP_2)
	v_and_b32_e32 v14, 0xfc, v14
	v_cmp_ne_u32_e32 vcc_lo, 0, v12
	v_and_b32_e32 v15, 3, v13
	s_delay_alu instid0(VALU_DEP_1) | instskip(NEXT) | instid1(VALU_DEP_1)
	v_or3_b32 v8, v14, v8, v15
	v_cndmask_b32_e32 v176, 0, v8, vcc_lo
.LBB4_4944:                             ;   in Loop: Header=BB4_4876 Depth=3
	s_or_b32 exec_lo, exec_lo, s31
.LBB4_4945:                             ;   in Loop: Header=BB4_4876 Depth=3
	s_delay_alu instid0(SALU_CYCLE_1) | instskip(SKIP_3) | instid1(VALU_DEP_1)
	s_or_b32 exec_lo, exec_lo, s30
	v_lshrrev_b16 v8, 8, v9
	s_mov_b32 s13, 0
	s_mov_b32 s31, exec_lo
                                        ; implicit-def: $sgpr30
	v_cmpx_lt_i16_e32 0x7f, v8
	s_xor_b32 s31, exec_lo, s31
	s_cbranch_execnz .LBB4_5799
; %bb.4946:                             ;   in Loop: Header=BB4_4876 Depth=3
	s_or_saveexec_b32 s31, s31
	v_mov_b32_e32 v12, s30
	s_xor_b32 exec_lo, exec_lo, s31
	s_cbranch_execnz .LBB4_5802
.LBB4_4947:                             ;   in Loop: Header=BB4_4876 Depth=3
	s_or_b32 exec_lo, exec_lo, s31
	s_and_saveexec_b32 s30, s13
	s_cbranch_execz .LBB4_4949
.LBB4_4948:                             ;   in Loop: Header=BB4_4876 Depth=3
	v_and_b32_e32 v12, 0xffff, v8
	v_lshlrev_b32_e32 v8, 24, v8
	s_delay_alu instid0(VALU_DEP_2) | instskip(NEXT) | instid1(VALU_DEP_2)
	v_and_b32_e32 v13, 3, v12
	v_and_b32_e32 v8, 0x80000000, v8
	s_delay_alu instid0(VALU_DEP_2) | instskip(NEXT) | instid1(VALU_DEP_1)
	v_clz_i32_u32_e32 v14, v13
	v_min_u32_e32 v14, 32, v14
	s_delay_alu instid0(VALU_DEP_1) | instskip(SKIP_1) | instid1(VALU_DEP_2)
	v_subrev_nc_u32_e32 v15, 29, v14
	v_sub_nc_u32_e32 v14, 30, v14
	v_lshlrev_b32_e32 v15, v15, v12
	v_bfe_u32 v12, v12, 2, 5
	s_delay_alu instid0(VALU_DEP_2) | instskip(NEXT) | instid1(VALU_DEP_2)
	v_and_b32_e32 v15, 3, v15
	v_cmp_eq_u32_e32 vcc_lo, 0, v12
	s_delay_alu instid0(VALU_DEP_2) | instskip(NEXT) | instid1(VALU_DEP_1)
	v_dual_cndmask_b32 v12, v12, v14 :: v_dual_cndmask_b32 v13, v13, v15
	v_lshl_add_u32 v12, v12, 23, 0x37800000
	s_delay_alu instid0(VALU_DEP_2) | instskip(NEXT) | instid1(VALU_DEP_1)
	v_lshlrev_b32_e32 v13, 21, v13
	v_or3_b32 v12, v8, v12, v13
.LBB4_4949:                             ;   in Loop: Header=BB4_4876 Depth=3
	s_or_b32 exec_lo, exec_lo, s30
	s_delay_alu instid0(VALU_DEP_1) | instskip(SKIP_2) | instid1(VALU_DEP_2)
	v_mul_f32_e32 v8, s17, v12
	v_mov_b32_e32 v46, 0x8000
	s_mov_b32 s30, exec_lo
	v_and_b32_e32 v12, 0x7f800000, v8
	s_delay_alu instid0(VALU_DEP_1)
	v_cmpx_ne_u32_e32 0x7f800000, v12
	s_cbranch_execz .LBB4_4957
; %bb.4950:                             ;   in Loop: Header=BB4_4876 Depth=3
	v_mov_b32_e32 v46, 0
	s_mov_b32 s31, exec_lo
	v_cmpx_ne_u32_e32 0, v8
	s_cbranch_execz .LBB4_4956
; %bb.4951:                             ;   in Loop: Header=BB4_4876 Depth=3
	v_bfe_u32 v12, v8, 23, 8
	s_delay_alu instid0(VALU_DEP_1) | instskip(SKIP_1) | instid1(VALU_DEP_2)
	v_sub_nc_u32_e32 v14, 0x70, v12
	v_cmp_gt_u32_e32 vcc_lo, 0x71, v12
	v_dual_cndmask_b32 v14, 0, v14 :: v_dual_and_b32 v13, 0x7fffff, v8
	s_delay_alu instid0(VALU_DEP_1) | instskip(SKIP_2) | instid1(VALU_DEP_4)
	v_or_b32_e32 v15, 0x800000, v13
	v_cmp_eq_u32_e32 vcc_lo, 0, v12
	v_add_nc_u32_e32 v12, 0xffffff91, v12
	v_cndmask_b32_e64 v14, v14, 0x6f, vcc_lo
	s_delay_alu instid0(VALU_DEP_4) | instskip(NEXT) | instid1(VALU_DEP_3)
	v_cndmask_b32_e32 v13, v15, v13, vcc_lo
	v_cndmask_b32_e64 v12, v12, 0xffffff92, vcc_lo
	s_delay_alu instid0(VALU_DEP_3) | instskip(NEXT) | instid1(VALU_DEP_3)
	v_lshl_add_u32 v15, 0x200000, v14, -1
	v_lshrrev_b32_e32 v144, v14, v13
	v_lshlrev_b32_e64 v146, v14, 0x100000
	s_delay_alu instid0(VALU_DEP_4) | instskip(NEXT) | instid1(VALU_DEP_4)
	v_add_nc_u32_e32 v14, v14, v12
	v_and_b32_e32 v13, v15, v13
	s_delay_alu instid0(VALU_DEP_4) | instskip(NEXT) | instid1(VALU_DEP_2)
	v_bfe_u32 v145, v144, 21, 1
	v_cmp_eq_u32_e64 s13, v13, v146
	s_delay_alu instid0(VALU_DEP_2) | instskip(NEXT) | instid1(VALU_DEP_1)
	v_add_nc_u32_e32 v15, -1, v145
	v_cndmask_b32_e64 v13, 0, v15, s13
	v_lshrrev_b32_e32 v15, 23, v144
	s_mov_b32 s13, exec_lo
	s_delay_alu instid0(VALU_DEP_2) | instskip(NEXT) | instid1(VALU_DEP_2)
	v_add_nc_u32_e32 v13, v13, v144
	v_xor_b32_e32 v15, 1, v15
	s_delay_alu instid0(VALU_DEP_2) | instskip(NEXT) | instid1(VALU_DEP_1)
	v_and_b32_e32 v12, 0x1fffff, v13
	v_add_nc_u32_e32 v13, v12, v144
                                        ; implicit-def: $vgpr12
	s_delay_alu instid0(VALU_DEP_3)
	v_cmpx_ne_u32_e64 v14, v15
	s_xor_b32 s13, exec_lo, s13
; %bb.4952:                             ;   in Loop: Header=BB4_4876 Depth=3
	s_delay_alu instid0(VALU_DEP_2) | instskip(SKIP_2) | instid1(VALU_DEP_2)
	v_cmp_lt_u32_e32 vcc_lo, 0xffffff, v13
	v_sub_nc_u32_e32 v12, v14, v15
	v_cndmask_b32_e64 v14, 0, 1, vcc_lo
	v_add_co_ci_u32_e32 v12, vcc_lo, 0, v12, vcc_lo
	s_delay_alu instid0(VALU_DEP_2)
	v_lshrrev_b32_e32 v13, v14, v13
; %bb.4953:                             ;   in Loop: Header=BB4_4876 Depth=3
	s_and_not1_saveexec_b32 s13, s13
; %bb.4954:                             ;   in Loop: Header=BB4_4876 Depth=3
	s_delay_alu instid0(VALU_DEP_1)
	v_bfe_u32 v12, v13, 23, 1
; %bb.4955:                             ;   in Loop: Header=BB4_4876 Depth=3
	s_or_b32 exec_lo, exec_lo, s13
	v_lshrrev_b32_e32 v13, 21, v13
	s_delay_alu instid0(VALU_DEP_2) | instskip(SKIP_2) | instid1(VALU_DEP_2)
	v_cmp_gt_i32_e32 vcc_lo, 32, v12
	v_min_i32_e32 v14, 31, v12
	v_lshrrev_b32_e32 v8, 24, v8
	v_dual_cndmask_b32 v13, 3, v13 :: v_dual_lshlrev_b32 v14, 2, v14
	s_delay_alu instid0(VALU_DEP_2) | instskip(NEXT) | instid1(VALU_DEP_2)
	v_and_b32_e32 v8, 0x80, v8
	v_or_b32_e32 v12, v12, v13
	s_delay_alu instid0(VALU_DEP_3) | instskip(NEXT) | instid1(VALU_DEP_2)
	v_and_b32_e32 v14, 0xfc, v14
	v_cmp_ne_u32_e32 vcc_lo, 0, v12
	v_and_b32_e32 v15, 3, v13
	s_delay_alu instid0(VALU_DEP_1) | instskip(NEXT) | instid1(VALU_DEP_1)
	v_or3_b32 v8, v8, v14, v15
	v_lshlrev_b32_e32 v8, 8, v8
	s_delay_alu instid0(VALU_DEP_1)
	v_cndmask_b32_e32 v46, 0, v8, vcc_lo
.LBB4_4956:                             ;   in Loop: Header=BB4_4876 Depth=3
	s_or_b32 exec_lo, exec_lo, s31
.LBB4_4957:                             ;   in Loop: Header=BB4_4876 Depth=3
	s_delay_alu instid0(SALU_CYCLE_1) | instskip(SKIP_3) | instid1(VALU_DEP_1)
	s_or_b32 exec_lo, exec_lo, s30
	v_lshrrev_b32_e32 v8, 16, v9
	s_mov_b32 s13, 0
	s_mov_b32 s31, exec_lo
                                        ; implicit-def: $sgpr30
	v_and_b32_e32 v13, 0xff, v8
	s_delay_alu instid0(VALU_DEP_1)
	v_cmpx_lt_i16_e32 0x7f, v13
	s_xor_b32 s31, exec_lo, s31
	s_cbranch_execnz .LBB4_5803
; %bb.4958:                             ;   in Loop: Header=BB4_4876 Depth=3
	s_or_saveexec_b32 s31, s31
	v_mov_b32_e32 v12, s30
	s_xor_b32 exec_lo, exec_lo, s31
	s_cbranch_execnz .LBB4_5806
.LBB4_4959:                             ;   in Loop: Header=BB4_4876 Depth=3
	s_or_b32 exec_lo, exec_lo, s31
	s_and_saveexec_b32 s30, s13
	s_cbranch_execz .LBB4_4961
.LBB4_4960:                             ;   in Loop: Header=BB4_4876 Depth=3
	v_bfe_u32 v12, v9, 16, 2
	s_delay_alu instid0(VALU_DEP_1) | instskip(NEXT) | instid1(VALU_DEP_1)
	v_clz_i32_u32_e32 v13, v12
	v_min_u32_e32 v13, 32, v13
	s_delay_alu instid0(VALU_DEP_1) | instskip(SKIP_1) | instid1(VALU_DEP_2)
	v_subrev_nc_u32_e32 v14, 29, v13
	v_sub_nc_u32_e32 v13, 30, v13
	v_lshlrev_b32_e32 v8, v14, v8
	v_bfe_u32 v14, v9, 18, 5
	s_delay_alu instid0(VALU_DEP_1) | instskip(NEXT) | instid1(VALU_DEP_3)
	v_cmp_eq_u32_e32 vcc_lo, 0, v14
	v_dual_cndmask_b32 v13, v14, v13 :: v_dual_and_b32 v8, 3, v8
	s_delay_alu instid0(VALU_DEP_1) | instskip(NEXT) | instid1(VALU_DEP_2)
	v_dual_cndmask_b32 v8, v12, v8 :: v_dual_lshlrev_b32 v15, 8, v9
	v_lshl_add_u32 v13, v13, 23, 0x37800000
	s_delay_alu instid0(VALU_DEP_2) | instskip(NEXT) | instid1(VALU_DEP_3)
	v_and_b32_e32 v12, 0x80000000, v15
	v_lshlrev_b32_e32 v8, 21, v8
	s_delay_alu instid0(VALU_DEP_1)
	v_or3_b32 v12, v12, v13, v8
.LBB4_4961:                             ;   in Loop: Header=BB4_4876 Depth=3
	s_or_b32 exec_lo, exec_lo, s30
	s_delay_alu instid0(VALU_DEP_1) | instskip(SKIP_2) | instid1(VALU_DEP_2)
	v_mul_f32_e32 v8, s17, v12
	v_mov_b32_e32 v40, 0x80
	s_mov_b32 s30, exec_lo
	v_and_b32_e32 v12, 0x7f800000, v8
	s_delay_alu instid0(VALU_DEP_1)
	v_cmpx_ne_u32_e32 0x7f800000, v12
	s_cbranch_execz .LBB4_4969
; %bb.4962:                             ;   in Loop: Header=BB4_4876 Depth=3
	v_mov_b32_e32 v40, 0
	s_mov_b32 s31, exec_lo
	v_cmpx_ne_u32_e32 0, v8
	s_cbranch_execz .LBB4_4968
; %bb.4963:                             ;   in Loop: Header=BB4_4876 Depth=3
	v_bfe_u32 v12, v8, 23, 8
	s_delay_alu instid0(VALU_DEP_1) | instskip(SKIP_1) | instid1(VALU_DEP_2)
	v_sub_nc_u32_e32 v14, 0x70, v12
	v_cmp_gt_u32_e32 vcc_lo, 0x71, v12
	v_dual_cndmask_b32 v14, 0, v14 :: v_dual_and_b32 v13, 0x7fffff, v8
	s_delay_alu instid0(VALU_DEP_1) | instskip(SKIP_2) | instid1(VALU_DEP_4)
	v_or_b32_e32 v15, 0x800000, v13
	v_cmp_eq_u32_e32 vcc_lo, 0, v12
	v_add_nc_u32_e32 v12, 0xffffff91, v12
	v_cndmask_b32_e64 v14, v14, 0x6f, vcc_lo
	s_delay_alu instid0(VALU_DEP_4) | instskip(NEXT) | instid1(VALU_DEP_3)
	v_cndmask_b32_e32 v13, v15, v13, vcc_lo
	v_cndmask_b32_e64 v12, v12, 0xffffff92, vcc_lo
	s_delay_alu instid0(VALU_DEP_3) | instskip(NEXT) | instid1(VALU_DEP_3)
	v_lshl_add_u32 v15, 0x200000, v14, -1
	v_lshrrev_b32_e32 v144, v14, v13
	v_lshlrev_b32_e64 v146, v14, 0x100000
	s_delay_alu instid0(VALU_DEP_4) | instskip(NEXT) | instid1(VALU_DEP_4)
	v_add_nc_u32_e32 v14, v14, v12
	v_and_b32_e32 v13, v15, v13
	s_delay_alu instid0(VALU_DEP_4) | instskip(NEXT) | instid1(VALU_DEP_2)
	v_bfe_u32 v145, v144, 21, 1
	v_cmp_eq_u32_e64 s13, v13, v146
	s_delay_alu instid0(VALU_DEP_2) | instskip(NEXT) | instid1(VALU_DEP_1)
	v_add_nc_u32_e32 v15, -1, v145
	v_cndmask_b32_e64 v13, 0, v15, s13
	v_lshrrev_b32_e32 v15, 23, v144
	s_mov_b32 s13, exec_lo
	s_delay_alu instid0(VALU_DEP_2) | instskip(NEXT) | instid1(VALU_DEP_2)
	v_add_nc_u32_e32 v13, v13, v144
	v_xor_b32_e32 v15, 1, v15
	s_delay_alu instid0(VALU_DEP_2) | instskip(NEXT) | instid1(VALU_DEP_1)
	v_and_b32_e32 v12, 0x1fffff, v13
	v_add_nc_u32_e32 v13, v12, v144
                                        ; implicit-def: $vgpr12
	s_delay_alu instid0(VALU_DEP_3)
	v_cmpx_ne_u32_e64 v14, v15
	s_xor_b32 s13, exec_lo, s13
; %bb.4964:                             ;   in Loop: Header=BB4_4876 Depth=3
	s_delay_alu instid0(VALU_DEP_2) | instskip(SKIP_2) | instid1(VALU_DEP_2)
	v_cmp_lt_u32_e32 vcc_lo, 0xffffff, v13
	v_sub_nc_u32_e32 v12, v14, v15
	v_cndmask_b32_e64 v14, 0, 1, vcc_lo
	v_add_co_ci_u32_e32 v12, vcc_lo, 0, v12, vcc_lo
	s_delay_alu instid0(VALU_DEP_2)
	v_lshrrev_b32_e32 v13, v14, v13
; %bb.4965:                             ;   in Loop: Header=BB4_4876 Depth=3
	s_and_not1_saveexec_b32 s13, s13
; %bb.4966:                             ;   in Loop: Header=BB4_4876 Depth=3
	s_delay_alu instid0(VALU_DEP_1)
	v_bfe_u32 v12, v13, 23, 1
; %bb.4967:                             ;   in Loop: Header=BB4_4876 Depth=3
	s_or_b32 exec_lo, exec_lo, s13
	v_lshrrev_b32_e32 v13, 21, v13
	s_delay_alu instid0(VALU_DEP_2) | instskip(SKIP_2) | instid1(VALU_DEP_2)
	v_cmp_gt_i32_e32 vcc_lo, 32, v12
	v_min_i32_e32 v14, 31, v12
	v_lshrrev_b32_e32 v8, 24, v8
	v_dual_cndmask_b32 v13, 3, v13 :: v_dual_lshlrev_b32 v14, 2, v14
	s_delay_alu instid0(VALU_DEP_2) | instskip(NEXT) | instid1(VALU_DEP_2)
	v_and_b32_e32 v8, 0x80, v8
	v_or_b32_e32 v12, v12, v13
	s_delay_alu instid0(VALU_DEP_3) | instskip(NEXT) | instid1(VALU_DEP_2)
	v_and_b32_e32 v14, 0xfc, v14
	v_cmp_ne_u32_e32 vcc_lo, 0, v12
	v_and_b32_e32 v15, 3, v13
	s_delay_alu instid0(VALU_DEP_1) | instskip(NEXT) | instid1(VALU_DEP_1)
	v_or3_b32 v8, v14, v8, v15
	v_cndmask_b32_e32 v40, 0, v8, vcc_lo
.LBB4_4968:                             ;   in Loop: Header=BB4_4876 Depth=3
	s_or_b32 exec_lo, exec_lo, s31
.LBB4_4969:                             ;   in Loop: Header=BB4_4876 Depth=3
	s_delay_alu instid0(SALU_CYCLE_1) | instskip(SKIP_3) | instid1(VALU_DEP_1)
	s_or_b32 exec_lo, exec_lo, s30
	v_lshrrev_b32_e32 v8, 24, v9
	s_mov_b32 s13, 0
	s_mov_b32 s31, exec_lo
                                        ; implicit-def: $sgpr30
	v_cmpx_lt_i16_e32 0x7f, v8
	s_xor_b32 s31, exec_lo, s31
	s_cbranch_execnz .LBB4_5807
; %bb.4970:                             ;   in Loop: Header=BB4_4876 Depth=3
	s_or_saveexec_b32 s31, s31
	v_mov_b32_e32 v12, s30
	s_xor_b32 exec_lo, exec_lo, s31
	s_cbranch_execnz .LBB4_5810
.LBB4_4971:                             ;   in Loop: Header=BB4_4876 Depth=3
	s_or_b32 exec_lo, exec_lo, s31
	s_and_saveexec_b32 s30, s13
	s_cbranch_execz .LBB4_4973
.LBB4_4972:                             ;   in Loop: Header=BB4_4876 Depth=3
	v_bfe_u32 v12, v9, 24, 2
	s_delay_alu instid0(VALU_DEP_1) | instskip(NEXT) | instid1(VALU_DEP_1)
	v_clz_i32_u32_e32 v13, v12
	v_min_u32_e32 v13, 32, v13
	s_delay_alu instid0(VALU_DEP_1) | instskip(SKIP_1) | instid1(VALU_DEP_2)
	v_subrev_nc_u32_e32 v14, 29, v13
	v_sub_nc_u32_e32 v13, 30, v13
	v_lshlrev_b32_e32 v8, v14, v8
	v_bfe_u32 v14, v9, 26, 5
	v_and_b32_e32 v9, 0x80000000, v9
	s_delay_alu instid0(VALU_DEP_2) | instskip(NEXT) | instid1(VALU_DEP_4)
	v_cmp_eq_u32_e32 vcc_lo, 0, v14
	v_dual_cndmask_b32 v13, v14, v13 :: v_dual_and_b32 v8, 3, v8
	s_delay_alu instid0(VALU_DEP_1) | instskip(NEXT) | instid1(VALU_DEP_2)
	v_cndmask_b32_e32 v8, v12, v8, vcc_lo
	v_lshl_add_u32 v12, v13, 23, 0x37800000
	s_delay_alu instid0(VALU_DEP_2) | instskip(NEXT) | instid1(VALU_DEP_1)
	v_lshlrev_b32_e32 v8, 21, v8
	v_or3_b32 v12, v9, v12, v8
.LBB4_4973:                             ;   in Loop: Header=BB4_4876 Depth=3
	s_or_b32 exec_lo, exec_lo, s30
	s_delay_alu instid0(VALU_DEP_1) | instskip(SKIP_1) | instid1(VALU_DEP_1)
	v_dual_mul_f32 v8, s17, v12 :: v_dual_mov_b32 v45, 0x8000
	s_mov_b32 s30, exec_lo
	v_and_b32_e32 v9, 0x7f800000, v8
	s_delay_alu instid0(VALU_DEP_1)
	v_cmpx_ne_u32_e32 0x7f800000, v9
	s_cbranch_execz .LBB4_4981
; %bb.4974:                             ;   in Loop: Header=BB4_4876 Depth=3
	v_mov_b32_e32 v45, 0
	s_mov_b32 s31, exec_lo
	v_cmpx_ne_u32_e32 0, v8
	s_cbranch_execz .LBB4_4980
; %bb.4975:                             ;   in Loop: Header=BB4_4876 Depth=3
	v_bfe_u32 v9, v8, 23, 8
	s_delay_alu instid0(VALU_DEP_1) | instskip(SKIP_1) | instid1(VALU_DEP_2)
	v_sub_nc_u32_e32 v13, 0x70, v9
	v_cmp_gt_u32_e32 vcc_lo, 0x71, v9
	v_dual_cndmask_b32 v13, 0, v13 :: v_dual_and_b32 v12, 0x7fffff, v8
	s_delay_alu instid0(VALU_DEP_1) | instskip(SKIP_2) | instid1(VALU_DEP_4)
	v_or_b32_e32 v14, 0x800000, v12
	v_cmp_eq_u32_e32 vcc_lo, 0, v9
	v_add_nc_u32_e32 v9, 0xffffff91, v9
	v_cndmask_b32_e64 v13, v13, 0x6f, vcc_lo
	s_delay_alu instid0(VALU_DEP_4) | instskip(NEXT) | instid1(VALU_DEP_3)
	v_cndmask_b32_e32 v12, v14, v12, vcc_lo
	v_cndmask_b32_e64 v9, v9, 0xffffff92, vcc_lo
	s_delay_alu instid0(VALU_DEP_3) | instskip(NEXT) | instid1(VALU_DEP_3)
	v_lshl_add_u32 v14, 0x200000, v13, -1
	v_lshrrev_b32_e32 v15, v13, v12
	v_lshlrev_b32_e64 v145, v13, 0x100000
	s_delay_alu instid0(VALU_DEP_4) | instskip(NEXT) | instid1(VALU_DEP_4)
	v_add_nc_u32_e32 v13, v13, v9
	v_and_b32_e32 v12, v14, v12
	s_delay_alu instid0(VALU_DEP_4) | instskip(NEXT) | instid1(VALU_DEP_2)
	v_bfe_u32 v144, v15, 21, 1
	v_cmp_eq_u32_e64 s13, v12, v145
	s_delay_alu instid0(VALU_DEP_2) | instskip(NEXT) | instid1(VALU_DEP_1)
	v_add_nc_u32_e32 v14, -1, v144
	v_cndmask_b32_e64 v12, 0, v14, s13
	v_lshrrev_b32_e32 v14, 23, v15
	s_mov_b32 s13, exec_lo
	s_delay_alu instid0(VALU_DEP_2) | instskip(NEXT) | instid1(VALU_DEP_2)
	v_add_nc_u32_e32 v12, v12, v15
	v_xor_b32_e32 v14, 1, v14
	s_delay_alu instid0(VALU_DEP_2) | instskip(NEXT) | instid1(VALU_DEP_1)
	v_and_b32_e32 v9, 0x1fffff, v12
	v_add_nc_u32_e32 v12, v9, v15
                                        ; implicit-def: $vgpr9
	s_delay_alu instid0(VALU_DEP_3)
	v_cmpx_ne_u32_e64 v13, v14
	s_xor_b32 s13, exec_lo, s13
; %bb.4976:                             ;   in Loop: Header=BB4_4876 Depth=3
	s_delay_alu instid0(VALU_DEP_2) | instskip(SKIP_2) | instid1(VALU_DEP_2)
	v_cmp_lt_u32_e32 vcc_lo, 0xffffff, v12
	v_sub_nc_u32_e32 v9, v13, v14
	v_cndmask_b32_e64 v13, 0, 1, vcc_lo
	v_add_co_ci_u32_e32 v9, vcc_lo, 0, v9, vcc_lo
	s_delay_alu instid0(VALU_DEP_2)
	v_lshrrev_b32_e32 v12, v13, v12
; %bb.4977:                             ;   in Loop: Header=BB4_4876 Depth=3
	s_and_not1_saveexec_b32 s13, s13
; %bb.4978:                             ;   in Loop: Header=BB4_4876 Depth=3
	s_delay_alu instid0(VALU_DEP_1)
	v_bfe_u32 v9, v12, 23, 1
; %bb.4979:                             ;   in Loop: Header=BB4_4876 Depth=3
	s_or_b32 exec_lo, exec_lo, s13
	v_lshrrev_b32_e32 v12, 21, v12
	s_delay_alu instid0(VALU_DEP_2) | instskip(SKIP_2) | instid1(VALU_DEP_3)
	v_min_i32_e32 v13, 31, v9
	v_cmp_gt_i32_e32 vcc_lo, 32, v9
	v_lshrrev_b32_e32 v8, 24, v8
	v_dual_cndmask_b32 v12, 3, v12 :: v_dual_lshlrev_b32 v13, 2, v13
	s_delay_alu instid0(VALU_DEP_2) | instskip(NEXT) | instid1(VALU_DEP_2)
	v_and_b32_e32 v8, 0x80, v8
	v_and_b32_e32 v13, 0xfc, v13
	s_delay_alu instid0(VALU_DEP_3) | instskip(SKIP_1) | instid1(VALU_DEP_2)
	v_and_b32_e32 v14, 3, v12
	v_or_b32_e32 v9, v9, v12
	v_or3_b32 v8, v8, v13, v14
	s_delay_alu instid0(VALU_DEP_2) | instskip(NEXT) | instid1(VALU_DEP_2)
	v_cmp_ne_u32_e32 vcc_lo, 0, v9
	v_lshlrev_b32_e32 v8, 8, v8
	s_delay_alu instid0(VALU_DEP_1)
	v_cndmask_b32_e32 v45, 0, v8, vcc_lo
.LBB4_4980:                             ;   in Loop: Header=BB4_4876 Depth=3
	s_or_b32 exec_lo, exec_lo, s31
.LBB4_4981:                             ;   in Loop: Header=BB4_4876 Depth=3
	s_delay_alu instid0(SALU_CYCLE_1) | instskip(SKIP_3) | instid1(VALU_DEP_1)
	s_or_b32 exec_lo, exec_lo, s30
	v_and_b32_e32 v9, 0xff, v10
	s_mov_b32 s13, 0
	s_mov_b32 s31, exec_lo
                                        ; implicit-def: $sgpr30
	v_cmpx_lt_i16_e32 0x7f, v9
	s_xor_b32 s31, exec_lo, s31
	s_cbranch_execnz .LBB4_5811
; %bb.4982:                             ;   in Loop: Header=BB4_4876 Depth=3
	s_or_saveexec_b32 s31, s31
	v_mov_b32_e32 v8, s30
	s_xor_b32 exec_lo, exec_lo, s31
	s_cbranch_execnz .LBB4_5814
.LBB4_4983:                             ;   in Loop: Header=BB4_4876 Depth=3
	s_or_b32 exec_lo, exec_lo, s31
	s_and_saveexec_b32 s30, s13
	s_cbranch_execz .LBB4_4985
.LBB4_4984:                             ;   in Loop: Header=BB4_4876 Depth=3
	v_bfe_u32 v13, v10, 2, 5
	v_lshlrev_b32_e32 v14, 24, v10
	s_delay_alu instid0(VALU_DEP_2) | instskip(SKIP_1) | instid1(VALU_DEP_1)
	v_cmp_eq_u32_e32 vcc_lo, 0, v13
	v_and_b32_e32 v8, 3, v10
	v_clz_i32_u32_e32 v9, v8
	s_delay_alu instid0(VALU_DEP_1) | instskip(NEXT) | instid1(VALU_DEP_1)
	v_min_u32_e32 v9, 32, v9
	v_subrev_nc_u32_e32 v12, 29, v9
	v_sub_nc_u32_e32 v9, 30, v9
	s_delay_alu instid0(VALU_DEP_1) | instskip(NEXT) | instid1(VALU_DEP_1)
	v_dual_cndmask_b32 v9, v13, v9 :: v_dual_lshlrev_b32 v12, v12, v10
	v_and_b32_e32 v12, 3, v12
	s_delay_alu instid0(VALU_DEP_2) | instskip(NEXT) | instid1(VALU_DEP_2)
	v_lshl_add_u32 v9, v9, 23, 0x37800000
	v_cndmask_b32_e32 v8, v8, v12, vcc_lo
	v_and_b32_e32 v12, 0x80000000, v14
	s_delay_alu instid0(VALU_DEP_2) | instskip(NEXT) | instid1(VALU_DEP_1)
	v_lshlrev_b32_e32 v8, 21, v8
	v_or3_b32 v8, v12, v9, v8
.LBB4_4985:                             ;   in Loop: Header=BB4_4876 Depth=3
	s_or_b32 exec_lo, exec_lo, s30
	s_delay_alu instid0(VALU_DEP_1) | instskip(SKIP_2) | instid1(VALU_DEP_2)
	v_mul_f32_e32 v8, s17, v8
	v_mov_b32_e32 v44, 0x80
	s_mov_b32 s30, exec_lo
	v_and_b32_e32 v9, 0x7f800000, v8
	s_delay_alu instid0(VALU_DEP_1)
	v_cmpx_ne_u32_e32 0x7f800000, v9
	s_cbranch_execz .LBB4_4993
; %bb.4986:                             ;   in Loop: Header=BB4_4876 Depth=3
	v_mov_b32_e32 v44, 0
	s_mov_b32 s31, exec_lo
	v_cmpx_ne_u32_e32 0, v8
	s_cbranch_execz .LBB4_4992
; %bb.4987:                             ;   in Loop: Header=BB4_4876 Depth=3
	v_bfe_u32 v9, v8, 23, 8
	s_delay_alu instid0(VALU_DEP_1) | instskip(SKIP_1) | instid1(VALU_DEP_2)
	v_sub_nc_u32_e32 v13, 0x70, v9
	v_cmp_gt_u32_e32 vcc_lo, 0x71, v9
	v_dual_cndmask_b32 v13, 0, v13 :: v_dual_and_b32 v12, 0x7fffff, v8
	s_delay_alu instid0(VALU_DEP_1) | instskip(SKIP_2) | instid1(VALU_DEP_4)
	v_or_b32_e32 v14, 0x800000, v12
	v_cmp_eq_u32_e32 vcc_lo, 0, v9
	v_add_nc_u32_e32 v9, 0xffffff91, v9
	v_cndmask_b32_e64 v13, v13, 0x6f, vcc_lo
	s_delay_alu instid0(VALU_DEP_4) | instskip(NEXT) | instid1(VALU_DEP_3)
	v_cndmask_b32_e32 v12, v14, v12, vcc_lo
	v_cndmask_b32_e64 v9, v9, 0xffffff92, vcc_lo
	s_delay_alu instid0(VALU_DEP_3) | instskip(NEXT) | instid1(VALU_DEP_3)
	v_lshl_add_u32 v14, 0x200000, v13, -1
	v_lshrrev_b32_e32 v15, v13, v12
	v_lshlrev_b32_e64 v145, v13, 0x100000
	s_delay_alu instid0(VALU_DEP_4) | instskip(NEXT) | instid1(VALU_DEP_4)
	v_add_nc_u32_e32 v13, v13, v9
	v_and_b32_e32 v12, v14, v12
	s_delay_alu instid0(VALU_DEP_4) | instskip(NEXT) | instid1(VALU_DEP_2)
	v_bfe_u32 v144, v15, 21, 1
	v_cmp_eq_u32_e64 s13, v12, v145
	s_delay_alu instid0(VALU_DEP_2) | instskip(NEXT) | instid1(VALU_DEP_1)
	v_add_nc_u32_e32 v14, -1, v144
	v_cndmask_b32_e64 v12, 0, v14, s13
	v_lshrrev_b32_e32 v14, 23, v15
	s_mov_b32 s13, exec_lo
	s_delay_alu instid0(VALU_DEP_2) | instskip(NEXT) | instid1(VALU_DEP_2)
	v_add_nc_u32_e32 v12, v12, v15
	v_xor_b32_e32 v14, 1, v14
	s_delay_alu instid0(VALU_DEP_2) | instskip(NEXT) | instid1(VALU_DEP_1)
	v_and_b32_e32 v9, 0x1fffff, v12
	v_add_nc_u32_e32 v12, v9, v15
                                        ; implicit-def: $vgpr9
	s_delay_alu instid0(VALU_DEP_3)
	v_cmpx_ne_u32_e64 v13, v14
	s_xor_b32 s13, exec_lo, s13
; %bb.4988:                             ;   in Loop: Header=BB4_4876 Depth=3
	s_delay_alu instid0(VALU_DEP_2) | instskip(SKIP_2) | instid1(VALU_DEP_2)
	v_cmp_lt_u32_e32 vcc_lo, 0xffffff, v12
	v_sub_nc_u32_e32 v9, v13, v14
	v_cndmask_b32_e64 v13, 0, 1, vcc_lo
	v_add_co_ci_u32_e32 v9, vcc_lo, 0, v9, vcc_lo
	s_delay_alu instid0(VALU_DEP_2)
	v_lshrrev_b32_e32 v12, v13, v12
; %bb.4989:                             ;   in Loop: Header=BB4_4876 Depth=3
	s_and_not1_saveexec_b32 s13, s13
; %bb.4990:                             ;   in Loop: Header=BB4_4876 Depth=3
	s_delay_alu instid0(VALU_DEP_1)
	v_bfe_u32 v9, v12, 23, 1
; %bb.4991:                             ;   in Loop: Header=BB4_4876 Depth=3
	s_or_b32 exec_lo, exec_lo, s13
	v_lshrrev_b32_e32 v12, 21, v12
	s_delay_alu instid0(VALU_DEP_2) | instskip(SKIP_2) | instid1(VALU_DEP_4)
	v_cmp_gt_i32_e32 vcc_lo, 32, v9
	v_lshrrev_b32_e32 v8, 24, v8
	v_min_i32_e32 v13, 31, v9
	v_cndmask_b32_e32 v12, 3, v12, vcc_lo
	s_delay_alu instid0(VALU_DEP_3) | instskip(NEXT) | instid1(VALU_DEP_3)
	v_and_b32_e32 v8, 0x80, v8
	v_lshlrev_b32_e32 v13, 2, v13
	s_delay_alu instid0(VALU_DEP_3) | instskip(SKIP_1) | instid1(VALU_DEP_2)
	v_and_b32_e32 v14, 3, v12
	v_or_b32_e32 v9, v9, v12
	v_or3_b32 v8, v13, v8, v14
	s_delay_alu instid0(VALU_DEP_2) | instskip(NEXT) | instid1(VALU_DEP_2)
	v_cmp_ne_u32_e32 vcc_lo, 0, v9
	v_cndmask_b32_e32 v44, 0, v8, vcc_lo
.LBB4_4992:                             ;   in Loop: Header=BB4_4876 Depth=3
	s_or_b32 exec_lo, exec_lo, s31
.LBB4_4993:                             ;   in Loop: Header=BB4_4876 Depth=3
	s_delay_alu instid0(SALU_CYCLE_1) | instskip(SKIP_3) | instid1(VALU_DEP_1)
	s_or_b32 exec_lo, exec_lo, s30
	v_lshrrev_b16 v8, 8, v10
	s_mov_b32 s13, 0
	s_mov_b32 s31, exec_lo
                                        ; implicit-def: $sgpr30
	v_cmpx_lt_i16_e32 0x7f, v8
	s_xor_b32 s31, exec_lo, s31
	s_cbranch_execnz .LBB4_5815
; %bb.4994:                             ;   in Loop: Header=BB4_4876 Depth=3
	s_or_saveexec_b32 s31, s31
	v_mov_b32_e32 v9, s30
	s_xor_b32 exec_lo, exec_lo, s31
	s_cbranch_execnz .LBB4_5818
.LBB4_4995:                             ;   in Loop: Header=BB4_4876 Depth=3
	s_or_b32 exec_lo, exec_lo, s31
	s_and_saveexec_b32 s30, s13
	s_cbranch_execz .LBB4_4997
.LBB4_4996:                             ;   in Loop: Header=BB4_4876 Depth=3
	v_and_b32_e32 v9, 0xffff, v8
	v_lshlrev_b32_e32 v8, 24, v8
	s_delay_alu instid0(VALU_DEP_2) | instskip(NEXT) | instid1(VALU_DEP_2)
	v_and_b32_e32 v12, 3, v9
	v_and_b32_e32 v8, 0x80000000, v8
	s_delay_alu instid0(VALU_DEP_2) | instskip(NEXT) | instid1(VALU_DEP_1)
	v_clz_i32_u32_e32 v13, v12
	v_min_u32_e32 v13, 32, v13
	s_delay_alu instid0(VALU_DEP_1) | instskip(SKIP_1) | instid1(VALU_DEP_2)
	v_subrev_nc_u32_e32 v14, 29, v13
	v_sub_nc_u32_e32 v13, 30, v13
	v_lshlrev_b32_e32 v14, v14, v9
	v_bfe_u32 v9, v9, 2, 5
	s_delay_alu instid0(VALU_DEP_1) | instskip(NEXT) | instid1(VALU_DEP_3)
	v_cmp_eq_u32_e32 vcc_lo, 0, v9
	v_dual_cndmask_b32 v9, v9, v13 :: v_dual_and_b32 v14, 3, v14
	s_delay_alu instid0(VALU_DEP_1) | instskip(NEXT) | instid1(VALU_DEP_2)
	v_cndmask_b32_e32 v12, v12, v14, vcc_lo
	v_lshl_add_u32 v9, v9, 23, 0x37800000
	s_delay_alu instid0(VALU_DEP_2) | instskip(NEXT) | instid1(VALU_DEP_1)
	v_lshlrev_b32_e32 v12, 21, v12
	v_or3_b32 v9, v8, v9, v12
.LBB4_4997:                             ;   in Loop: Header=BB4_4876 Depth=3
	s_or_b32 exec_lo, exec_lo, s30
	s_delay_alu instid0(VALU_DEP_1) | instskip(SKIP_2) | instid1(VALU_DEP_2)
	v_mul_f32_e32 v8, s17, v9
	v_mov_b32_e32 v42, 0x80
	s_mov_b32 s30, exec_lo
	v_and_b32_e32 v9, 0x7f800000, v8
	s_delay_alu instid0(VALU_DEP_1)
	v_cmpx_ne_u32_e32 0x7f800000, v9
	s_cbranch_execz .LBB4_5005
; %bb.4998:                             ;   in Loop: Header=BB4_4876 Depth=3
	v_mov_b32_e32 v42, 0
	s_mov_b32 s31, exec_lo
	v_cmpx_ne_u32_e32 0, v8
	s_cbranch_execz .LBB4_5004
; %bb.4999:                             ;   in Loop: Header=BB4_4876 Depth=3
	v_bfe_u32 v9, v8, 23, 8
	s_delay_alu instid0(VALU_DEP_1) | instskip(SKIP_1) | instid1(VALU_DEP_2)
	v_sub_nc_u32_e32 v13, 0x70, v9
	v_cmp_gt_u32_e32 vcc_lo, 0x71, v9
	v_dual_cndmask_b32 v13, 0, v13 :: v_dual_and_b32 v12, 0x7fffff, v8
	s_delay_alu instid0(VALU_DEP_1) | instskip(SKIP_2) | instid1(VALU_DEP_4)
	v_or_b32_e32 v14, 0x800000, v12
	v_cmp_eq_u32_e32 vcc_lo, 0, v9
	v_add_nc_u32_e32 v9, 0xffffff91, v9
	v_cndmask_b32_e64 v13, v13, 0x6f, vcc_lo
	s_delay_alu instid0(VALU_DEP_4) | instskip(NEXT) | instid1(VALU_DEP_3)
	v_cndmask_b32_e32 v12, v14, v12, vcc_lo
	v_cndmask_b32_e64 v9, v9, 0xffffff92, vcc_lo
	s_delay_alu instid0(VALU_DEP_3) | instskip(NEXT) | instid1(VALU_DEP_3)
	v_lshl_add_u32 v14, 0x200000, v13, -1
	v_lshrrev_b32_e32 v15, v13, v12
	v_lshlrev_b32_e64 v145, v13, 0x100000
	s_delay_alu instid0(VALU_DEP_4) | instskip(NEXT) | instid1(VALU_DEP_4)
	v_add_nc_u32_e32 v13, v13, v9
	v_and_b32_e32 v12, v14, v12
	s_delay_alu instid0(VALU_DEP_4) | instskip(NEXT) | instid1(VALU_DEP_2)
	v_bfe_u32 v144, v15, 21, 1
	v_cmp_eq_u32_e64 s13, v12, v145
	s_delay_alu instid0(VALU_DEP_2) | instskip(NEXT) | instid1(VALU_DEP_1)
	v_add_nc_u32_e32 v14, -1, v144
	v_cndmask_b32_e64 v12, 0, v14, s13
	v_lshrrev_b32_e32 v14, 23, v15
	s_mov_b32 s13, exec_lo
	s_delay_alu instid0(VALU_DEP_2) | instskip(NEXT) | instid1(VALU_DEP_2)
	v_add_nc_u32_e32 v12, v12, v15
	v_xor_b32_e32 v14, 1, v14
	s_delay_alu instid0(VALU_DEP_2) | instskip(NEXT) | instid1(VALU_DEP_1)
	v_and_b32_e32 v9, 0x1fffff, v12
	v_add_nc_u32_e32 v12, v9, v15
                                        ; implicit-def: $vgpr9
	s_delay_alu instid0(VALU_DEP_3)
	v_cmpx_ne_u32_e64 v13, v14
	s_xor_b32 s13, exec_lo, s13
; %bb.5000:                             ;   in Loop: Header=BB4_4876 Depth=3
	s_delay_alu instid0(VALU_DEP_2) | instskip(SKIP_2) | instid1(VALU_DEP_2)
	v_cmp_lt_u32_e32 vcc_lo, 0xffffff, v12
	v_sub_nc_u32_e32 v9, v13, v14
	v_cndmask_b32_e64 v13, 0, 1, vcc_lo
	v_add_co_ci_u32_e32 v9, vcc_lo, 0, v9, vcc_lo
	s_delay_alu instid0(VALU_DEP_2)
	v_lshrrev_b32_e32 v12, v13, v12
; %bb.5001:                             ;   in Loop: Header=BB4_4876 Depth=3
	s_and_not1_saveexec_b32 s13, s13
; %bb.5002:                             ;   in Loop: Header=BB4_4876 Depth=3
	s_delay_alu instid0(VALU_DEP_1)
	v_bfe_u32 v9, v12, 23, 1
; %bb.5003:                             ;   in Loop: Header=BB4_4876 Depth=3
	s_or_b32 exec_lo, exec_lo, s13
	v_lshrrev_b32_e32 v12, 21, v12
	s_delay_alu instid0(VALU_DEP_2) | instskip(SKIP_2) | instid1(VALU_DEP_4)
	v_cmp_gt_i32_e32 vcc_lo, 32, v9
	v_lshrrev_b32_e32 v8, 24, v8
	v_min_i32_e32 v13, 31, v9
	v_cndmask_b32_e32 v12, 3, v12, vcc_lo
	s_delay_alu instid0(VALU_DEP_3) | instskip(NEXT) | instid1(VALU_DEP_3)
	v_and_b32_e32 v8, 0x80, v8
	v_lshlrev_b32_e32 v13, 2, v13
	s_delay_alu instid0(VALU_DEP_3) | instskip(SKIP_1) | instid1(VALU_DEP_2)
	v_and_b32_e32 v14, 3, v12
	v_or_b32_e32 v9, v9, v12
	v_or3_b32 v8, v13, v8, v14
	s_delay_alu instid0(VALU_DEP_2) | instskip(NEXT) | instid1(VALU_DEP_2)
	v_cmp_ne_u32_e32 vcc_lo, 0, v9
	v_cndmask_b32_e32 v42, 0, v8, vcc_lo
.LBB4_5004:                             ;   in Loop: Header=BB4_4876 Depth=3
	s_or_b32 exec_lo, exec_lo, s31
.LBB4_5005:                             ;   in Loop: Header=BB4_4876 Depth=3
	s_delay_alu instid0(SALU_CYCLE_1) | instskip(SKIP_3) | instid1(VALU_DEP_1)
	s_or_b32 exec_lo, exec_lo, s30
	v_lshrrev_b32_e32 v8, 16, v10
	s_mov_b32 s13, 0
	s_mov_b32 s31, exec_lo
                                        ; implicit-def: $sgpr30
	v_and_b32_e32 v12, 0xff, v8
	s_delay_alu instid0(VALU_DEP_1)
	v_cmpx_lt_i16_e32 0x7f, v12
	s_xor_b32 s31, exec_lo, s31
	s_cbranch_execnz .LBB4_5819
; %bb.5006:                             ;   in Loop: Header=BB4_4876 Depth=3
	s_or_saveexec_b32 s31, s31
	v_mov_b32_e32 v9, s30
	s_xor_b32 exec_lo, exec_lo, s31
	s_cbranch_execnz .LBB4_5822
.LBB4_5007:                             ;   in Loop: Header=BB4_4876 Depth=3
	s_or_b32 exec_lo, exec_lo, s31
	s_and_saveexec_b32 s30, s13
	s_cbranch_execz .LBB4_5009
.LBB4_5008:                             ;   in Loop: Header=BB4_4876 Depth=3
	v_bfe_u32 v9, v10, 16, 2
	v_lshlrev_b32_e32 v14, 8, v10
	s_delay_alu instid0(VALU_DEP_2) | instskip(NEXT) | instid1(VALU_DEP_1)
	v_clz_i32_u32_e32 v12, v9
	v_min_u32_e32 v12, 32, v12
	s_delay_alu instid0(VALU_DEP_1) | instskip(SKIP_1) | instid1(VALU_DEP_2)
	v_subrev_nc_u32_e32 v13, 29, v12
	v_sub_nc_u32_e32 v12, 30, v12
	v_lshlrev_b32_e32 v8, v13, v8
	v_bfe_u32 v13, v10, 18, 5
	s_delay_alu instid0(VALU_DEP_2) | instskip(NEXT) | instid1(VALU_DEP_2)
	v_and_b32_e32 v8, 3, v8
	v_cmp_eq_u32_e32 vcc_lo, 0, v13
	v_cndmask_b32_e32 v12, v13, v12, vcc_lo
	s_delay_alu instid0(VALU_DEP_3) | instskip(NEXT) | instid1(VALU_DEP_2)
	v_dual_cndmask_b32 v8, v9, v8 :: v_dual_and_b32 v9, 0x80000000, v14
	v_lshl_add_u32 v12, v12, 23, 0x37800000
	s_delay_alu instid0(VALU_DEP_2) | instskip(NEXT) | instid1(VALU_DEP_1)
	v_lshlrev_b32_e32 v8, 21, v8
	v_or3_b32 v9, v9, v12, v8
.LBB4_5009:                             ;   in Loop: Header=BB4_4876 Depth=3
	s_or_b32 exec_lo, exec_lo, s30
	s_delay_alu instid0(VALU_DEP_1) | instskip(SKIP_1) | instid1(VALU_DEP_1)
	v_dual_mul_f32 v8, s17, v9 :: v_dual_mov_b32 v41, 0x80
	s_mov_b32 s30, exec_lo
	v_and_b32_e32 v9, 0x7f800000, v8
	s_delay_alu instid0(VALU_DEP_1)
	v_cmpx_ne_u32_e32 0x7f800000, v9
	s_cbranch_execz .LBB4_5017
; %bb.5010:                             ;   in Loop: Header=BB4_4876 Depth=3
	v_mov_b32_e32 v41, 0
	s_mov_b32 s31, exec_lo
	v_cmpx_ne_u32_e32 0, v8
	s_cbranch_execz .LBB4_5016
; %bb.5011:                             ;   in Loop: Header=BB4_4876 Depth=3
	v_bfe_u32 v9, v8, 23, 8
	s_delay_alu instid0(VALU_DEP_1) | instskip(SKIP_1) | instid1(VALU_DEP_2)
	v_sub_nc_u32_e32 v13, 0x70, v9
	v_cmp_gt_u32_e32 vcc_lo, 0x71, v9
	v_dual_cndmask_b32 v13, 0, v13 :: v_dual_and_b32 v12, 0x7fffff, v8
	s_delay_alu instid0(VALU_DEP_1) | instskip(SKIP_2) | instid1(VALU_DEP_4)
	v_or_b32_e32 v14, 0x800000, v12
	v_cmp_eq_u32_e32 vcc_lo, 0, v9
	v_add_nc_u32_e32 v9, 0xffffff91, v9
	v_cndmask_b32_e64 v13, v13, 0x6f, vcc_lo
	s_delay_alu instid0(VALU_DEP_4) | instskip(NEXT) | instid1(VALU_DEP_3)
	v_cndmask_b32_e32 v12, v14, v12, vcc_lo
	v_cndmask_b32_e64 v9, v9, 0xffffff92, vcc_lo
	s_delay_alu instid0(VALU_DEP_3) | instskip(NEXT) | instid1(VALU_DEP_3)
	v_lshl_add_u32 v14, 0x200000, v13, -1
	v_lshrrev_b32_e32 v15, v13, v12
	v_lshlrev_b32_e64 v145, v13, 0x100000
	s_delay_alu instid0(VALU_DEP_4) | instskip(NEXT) | instid1(VALU_DEP_4)
	v_add_nc_u32_e32 v13, v13, v9
	v_and_b32_e32 v12, v14, v12
	s_delay_alu instid0(VALU_DEP_4) | instskip(NEXT) | instid1(VALU_DEP_2)
	v_bfe_u32 v144, v15, 21, 1
	v_cmp_eq_u32_e64 s13, v12, v145
	s_delay_alu instid0(VALU_DEP_2) | instskip(NEXT) | instid1(VALU_DEP_1)
	v_add_nc_u32_e32 v14, -1, v144
	v_cndmask_b32_e64 v12, 0, v14, s13
	v_lshrrev_b32_e32 v14, 23, v15
	s_mov_b32 s13, exec_lo
	s_delay_alu instid0(VALU_DEP_2) | instskip(NEXT) | instid1(VALU_DEP_2)
	v_add_nc_u32_e32 v12, v12, v15
	v_xor_b32_e32 v14, 1, v14
	s_delay_alu instid0(VALU_DEP_2) | instskip(NEXT) | instid1(VALU_DEP_1)
	v_and_b32_e32 v9, 0x1fffff, v12
	v_add_nc_u32_e32 v12, v9, v15
                                        ; implicit-def: $vgpr9
	s_delay_alu instid0(VALU_DEP_3)
	v_cmpx_ne_u32_e64 v13, v14
	s_xor_b32 s13, exec_lo, s13
; %bb.5012:                             ;   in Loop: Header=BB4_4876 Depth=3
	s_delay_alu instid0(VALU_DEP_2) | instskip(SKIP_2) | instid1(VALU_DEP_2)
	v_cmp_lt_u32_e32 vcc_lo, 0xffffff, v12
	v_sub_nc_u32_e32 v9, v13, v14
	v_cndmask_b32_e64 v13, 0, 1, vcc_lo
	v_add_co_ci_u32_e32 v9, vcc_lo, 0, v9, vcc_lo
	s_delay_alu instid0(VALU_DEP_2)
	v_lshrrev_b32_e32 v12, v13, v12
; %bb.5013:                             ;   in Loop: Header=BB4_4876 Depth=3
	s_and_not1_saveexec_b32 s13, s13
; %bb.5014:                             ;   in Loop: Header=BB4_4876 Depth=3
	s_delay_alu instid0(VALU_DEP_1)
	v_bfe_u32 v9, v12, 23, 1
; %bb.5015:                             ;   in Loop: Header=BB4_4876 Depth=3
	s_or_b32 exec_lo, exec_lo, s13
	v_lshrrev_b32_e32 v12, 21, v12
	s_delay_alu instid0(VALU_DEP_2) | instskip(SKIP_2) | instid1(VALU_DEP_4)
	v_cmp_gt_i32_e32 vcc_lo, 32, v9
	v_lshrrev_b32_e32 v8, 24, v8
	v_min_i32_e32 v13, 31, v9
	v_cndmask_b32_e32 v12, 3, v12, vcc_lo
	s_delay_alu instid0(VALU_DEP_3) | instskip(NEXT) | instid1(VALU_DEP_3)
	v_and_b32_e32 v8, 0x80, v8
	v_lshlrev_b32_e32 v13, 2, v13
	s_delay_alu instid0(VALU_DEP_3) | instskip(SKIP_1) | instid1(VALU_DEP_2)
	v_and_b32_e32 v14, 3, v12
	v_or_b32_e32 v9, v9, v12
	v_or3_b32 v8, v13, v8, v14
	s_delay_alu instid0(VALU_DEP_2) | instskip(NEXT) | instid1(VALU_DEP_2)
	v_cmp_ne_u32_e32 vcc_lo, 0, v9
	v_cndmask_b32_e32 v41, 0, v8, vcc_lo
.LBB4_5016:                             ;   in Loop: Header=BB4_4876 Depth=3
	s_or_b32 exec_lo, exec_lo, s31
.LBB4_5017:                             ;   in Loop: Header=BB4_4876 Depth=3
	s_delay_alu instid0(SALU_CYCLE_1) | instskip(SKIP_3) | instid1(VALU_DEP_1)
	s_or_b32 exec_lo, exec_lo, s30
	v_lshrrev_b32_e32 v8, 24, v10
	s_mov_b32 s13, 0
	s_mov_b32 s31, exec_lo
                                        ; implicit-def: $sgpr30
	v_cmpx_lt_i16_e32 0x7f, v8
	s_xor_b32 s31, exec_lo, s31
	s_cbranch_execnz .LBB4_5823
; %bb.5018:                             ;   in Loop: Header=BB4_4876 Depth=3
	s_or_saveexec_b32 s31, s31
	v_mov_b32_e32 v9, s30
	s_xor_b32 exec_lo, exec_lo, s31
	s_cbranch_execnz .LBB4_5826
.LBB4_5019:                             ;   in Loop: Header=BB4_4876 Depth=3
	s_or_b32 exec_lo, exec_lo, s31
	s_and_saveexec_b32 s30, s13
	s_cbranch_execz .LBB4_5021
.LBB4_5020:                             ;   in Loop: Header=BB4_4876 Depth=3
	v_bfe_u32 v9, v10, 24, 2
	s_delay_alu instid0(VALU_DEP_1) | instskip(NEXT) | instid1(VALU_DEP_1)
	v_clz_i32_u32_e32 v12, v9
	v_min_u32_e32 v12, 32, v12
	s_delay_alu instid0(VALU_DEP_1) | instskip(SKIP_1) | instid1(VALU_DEP_2)
	v_subrev_nc_u32_e32 v13, 29, v12
	v_sub_nc_u32_e32 v12, 30, v12
	v_lshlrev_b32_e32 v8, v13, v8
	v_bfe_u32 v13, v10, 26, 5
	s_delay_alu instid0(VALU_DEP_2) | instskip(NEXT) | instid1(VALU_DEP_2)
	v_and_b32_e32 v8, 3, v8
	v_cmp_eq_u32_e32 vcc_lo, 0, v13
	v_cndmask_b32_e32 v12, v13, v12, vcc_lo
	s_delay_alu instid0(VALU_DEP_3) | instskip(NEXT) | instid1(VALU_DEP_2)
	v_dual_cndmask_b32 v8, v9, v8 :: v_dual_and_b32 v9, 0x80000000, v10
	v_lshl_add_u32 v10, v12, 23, 0x37800000
	s_delay_alu instid0(VALU_DEP_2) | instskip(NEXT) | instid1(VALU_DEP_1)
	v_lshlrev_b32_e32 v8, 21, v8
	v_or3_b32 v9, v9, v10, v8
.LBB4_5021:                             ;   in Loop: Header=BB4_4876 Depth=3
	s_or_b32 exec_lo, exec_lo, s30
	s_delay_alu instid0(VALU_DEP_1) | instskip(SKIP_2) | instid1(VALU_DEP_2)
	v_mul_f32_e32 v8, s17, v9
	v_mov_b32_e32 v182, 0x80
	s_mov_b32 s30, exec_lo
	v_and_b32_e32 v9, 0x7f800000, v8
	s_delay_alu instid0(VALU_DEP_1)
	v_cmpx_ne_u32_e32 0x7f800000, v9
	s_cbranch_execz .LBB4_5029
; %bb.5022:                             ;   in Loop: Header=BB4_4876 Depth=3
	v_mov_b32_e32 v182, 0
	s_mov_b32 s31, exec_lo
	v_cmpx_ne_u32_e32 0, v8
	s_cbranch_execz .LBB4_5028
; %bb.5023:                             ;   in Loop: Header=BB4_4876 Depth=3
	v_bfe_u32 v9, v8, 23, 8
	v_and_b32_e32 v10, 0x7fffff, v8
	s_delay_alu instid0(VALU_DEP_2) | instskip(SKIP_1) | instid1(VALU_DEP_3)
	v_sub_nc_u32_e32 v12, 0x70, v9
	v_cmp_gt_u32_e32 vcc_lo, 0x71, v9
	v_or_b32_e32 v13, 0x800000, v10
	s_delay_alu instid0(VALU_DEP_3) | instskip(SKIP_2) | instid1(VALU_DEP_3)
	v_cndmask_b32_e32 v12, 0, v12, vcc_lo
	v_cmp_eq_u32_e32 vcc_lo, 0, v9
	v_add_nc_u32_e32 v9, 0xffffff91, v9
	v_cndmask_b32_e64 v12, v12, 0x6f, vcc_lo
	v_cndmask_b32_e32 v10, v13, v10, vcc_lo
	s_delay_alu instid0(VALU_DEP_3) | instskip(NEXT) | instid1(VALU_DEP_3)
	v_cndmask_b32_e64 v9, v9, 0xffffff92, vcc_lo
	v_lshl_add_u32 v13, 0x200000, v12, -1
	s_delay_alu instid0(VALU_DEP_3) | instskip(SKIP_1) | instid1(VALU_DEP_4)
	v_lshrrev_b32_e32 v14, v12, v10
	v_lshlrev_b32_e64 v144, v12, 0x100000
	v_add_nc_u32_e32 v12, v12, v9
	s_delay_alu instid0(VALU_DEP_4) | instskip(NEXT) | instid1(VALU_DEP_4)
	v_and_b32_e32 v10, v13, v10
	v_bfe_u32 v15, v14, 21, 1
	s_delay_alu instid0(VALU_DEP_2) | instskip(NEXT) | instid1(VALU_DEP_2)
	v_cmp_eq_u32_e64 s13, v10, v144
	v_add_nc_u32_e32 v13, -1, v15
	s_delay_alu instid0(VALU_DEP_1) | instskip(SKIP_2) | instid1(VALU_DEP_2)
	v_cndmask_b32_e64 v10, 0, v13, s13
	v_lshrrev_b32_e32 v13, 23, v14
	s_mov_b32 s13, exec_lo
	v_add_nc_u32_e32 v10, v10, v14
	s_delay_alu instid0(VALU_DEP_2) | instskip(NEXT) | instid1(VALU_DEP_2)
	v_xor_b32_e32 v13, 1, v13
	v_and_b32_e32 v9, 0x1fffff, v10
	s_delay_alu instid0(VALU_DEP_1) | instskip(NEXT) | instid1(VALU_DEP_3)
	v_add_nc_u32_e32 v10, v9, v14
                                        ; implicit-def: $vgpr9
	v_cmpx_ne_u32_e64 v12, v13
	s_xor_b32 s13, exec_lo, s13
; %bb.5024:                             ;   in Loop: Header=BB4_4876 Depth=3
	s_delay_alu instid0(VALU_DEP_2) | instskip(SKIP_2) | instid1(VALU_DEP_2)
	v_cmp_lt_u32_e32 vcc_lo, 0xffffff, v10
	v_sub_nc_u32_e32 v9, v12, v13
	v_cndmask_b32_e64 v12, 0, 1, vcc_lo
	v_add_co_ci_u32_e32 v9, vcc_lo, 0, v9, vcc_lo
	s_delay_alu instid0(VALU_DEP_2)
	v_lshrrev_b32_e32 v10, v12, v10
; %bb.5025:                             ;   in Loop: Header=BB4_4876 Depth=3
	s_and_not1_saveexec_b32 s13, s13
; %bb.5026:                             ;   in Loop: Header=BB4_4876 Depth=3
	s_delay_alu instid0(VALU_DEP_1)
	v_bfe_u32 v9, v10, 23, 1
; %bb.5027:                             ;   in Loop: Header=BB4_4876 Depth=3
	s_or_b32 exec_lo, exec_lo, s13
	v_lshrrev_b32_e32 v10, 21, v10
	s_delay_alu instid0(VALU_DEP_2) | instskip(SKIP_2) | instid1(VALU_DEP_4)
	v_cmp_gt_i32_e32 vcc_lo, 32, v9
	v_lshrrev_b32_e32 v8, 24, v8
	v_min_i32_e32 v12, 31, v9
	v_cndmask_b32_e32 v10, 3, v10, vcc_lo
	s_delay_alu instid0(VALU_DEP_3) | instskip(NEXT) | instid1(VALU_DEP_3)
	v_and_b32_e32 v8, 0x80, v8
	v_lshlrev_b32_e32 v12, 2, v12
	s_delay_alu instid0(VALU_DEP_3) | instskip(NEXT) | instid1(VALU_DEP_1)
	v_or_b32_e32 v9, v9, v10
	v_cmp_ne_u32_e32 vcc_lo, 0, v9
	v_and_b32_e32 v13, 3, v10
	s_delay_alu instid0(VALU_DEP_1) | instskip(NEXT) | instid1(VALU_DEP_1)
	v_or3_b32 v8, v12, v8, v13
	v_cndmask_b32_e32 v182, 0, v8, vcc_lo
.LBB4_5028:                             ;   in Loop: Header=BB4_4876 Depth=3
	s_or_b32 exec_lo, exec_lo, s31
.LBB4_5029:                             ;   in Loop: Header=BB4_4876 Depth=3
	s_delay_alu instid0(SALU_CYCLE_1) | instskip(SKIP_3) | instid1(VALU_DEP_1)
	s_or_b32 exec_lo, exec_lo, s30
	v_and_b32_e32 v9, 0xff, v11
	s_mov_b32 s13, 0
	s_mov_b32 s31, exec_lo
                                        ; implicit-def: $sgpr30
	v_cmpx_lt_i16_e32 0x7f, v9
	s_xor_b32 s31, exec_lo, s31
	s_cbranch_execnz .LBB4_5827
; %bb.5030:                             ;   in Loop: Header=BB4_4876 Depth=3
	s_or_saveexec_b32 s31, s31
	v_mov_b32_e32 v8, s30
	s_xor_b32 exec_lo, exec_lo, s31
	s_cbranch_execnz .LBB4_5830
.LBB4_5031:                             ;   in Loop: Header=BB4_4876 Depth=3
	s_or_b32 exec_lo, exec_lo, s31
	s_and_saveexec_b32 s30, s13
	s_cbranch_execz .LBB4_5033
.LBB4_5032:                             ;   in Loop: Header=BB4_4876 Depth=3
	v_bfe_u32 v12, v11, 2, 5
	s_delay_alu instid0(VALU_DEP_1) | instskip(SKIP_1) | instid1(VALU_DEP_1)
	v_cmp_eq_u32_e32 vcc_lo, 0, v12
	v_and_b32_e32 v8, 3, v11
	v_clz_i32_u32_e32 v9, v8
	s_delay_alu instid0(VALU_DEP_1) | instskip(NEXT) | instid1(VALU_DEP_1)
	v_min_u32_e32 v9, 32, v9
	v_subrev_nc_u32_e32 v10, 29, v9
	v_sub_nc_u32_e32 v9, 30, v9
	s_delay_alu instid0(VALU_DEP_1) | instskip(NEXT) | instid1(VALU_DEP_1)
	v_dual_cndmask_b32 v9, v12, v9 :: v_dual_lshlrev_b32 v10, v10, v11
	v_and_b32_e32 v10, 3, v10
	v_lshlrev_b32_e32 v13, 24, v11
	s_delay_alu instid0(VALU_DEP_3) | instskip(NEXT) | instid1(VALU_DEP_3)
	v_lshl_add_u32 v9, v9, 23, 0x37800000
	v_cndmask_b32_e32 v8, v8, v10, vcc_lo
	s_delay_alu instid0(VALU_DEP_3) | instskip(NEXT) | instid1(VALU_DEP_2)
	v_and_b32_e32 v10, 0x80000000, v13
	v_lshlrev_b32_e32 v8, 21, v8
	s_delay_alu instid0(VALU_DEP_1)
	v_or3_b32 v8, v10, v9, v8
.LBB4_5033:                             ;   in Loop: Header=BB4_4876 Depth=3
	s_or_b32 exec_lo, exec_lo, s30
	s_delay_alu instid0(VALU_DEP_1) | instskip(SKIP_1) | instid1(VALU_DEP_1)
	v_dual_mul_f32 v8, s17, v8 :: v_dual_mov_b32 v181, 0x80
	s_mov_b32 s30, exec_lo
	v_and_b32_e32 v9, 0x7f800000, v8
	s_delay_alu instid0(VALU_DEP_1)
	v_cmpx_ne_u32_e32 0x7f800000, v9
	s_cbranch_execz .LBB4_5041
; %bb.5034:                             ;   in Loop: Header=BB4_4876 Depth=3
	v_mov_b32_e32 v181, 0
	s_mov_b32 s31, exec_lo
	v_cmpx_ne_u32_e32 0, v8
	s_cbranch_execz .LBB4_5040
; %bb.5035:                             ;   in Loop: Header=BB4_4876 Depth=3
	v_bfe_u32 v9, v8, 23, 8
	v_and_b32_e32 v10, 0x7fffff, v8
	s_delay_alu instid0(VALU_DEP_2) | instskip(SKIP_1) | instid1(VALU_DEP_3)
	v_sub_nc_u32_e32 v12, 0x70, v9
	v_cmp_gt_u32_e32 vcc_lo, 0x71, v9
	v_or_b32_e32 v13, 0x800000, v10
	s_delay_alu instid0(VALU_DEP_3) | instskip(SKIP_2) | instid1(VALU_DEP_3)
	v_cndmask_b32_e32 v12, 0, v12, vcc_lo
	v_cmp_eq_u32_e32 vcc_lo, 0, v9
	v_add_nc_u32_e32 v9, 0xffffff91, v9
	v_cndmask_b32_e64 v12, v12, 0x6f, vcc_lo
	v_cndmask_b32_e32 v10, v13, v10, vcc_lo
	s_delay_alu instid0(VALU_DEP_3) | instskip(NEXT) | instid1(VALU_DEP_3)
	v_cndmask_b32_e64 v9, v9, 0xffffff92, vcc_lo
	v_lshl_add_u32 v13, 0x200000, v12, -1
	s_delay_alu instid0(VALU_DEP_3) | instskip(SKIP_1) | instid1(VALU_DEP_4)
	v_lshrrev_b32_e32 v14, v12, v10
	v_lshlrev_b32_e64 v144, v12, 0x100000
	v_add_nc_u32_e32 v12, v12, v9
	s_delay_alu instid0(VALU_DEP_4) | instskip(NEXT) | instid1(VALU_DEP_4)
	v_and_b32_e32 v10, v13, v10
	v_bfe_u32 v15, v14, 21, 1
	s_delay_alu instid0(VALU_DEP_2) | instskip(NEXT) | instid1(VALU_DEP_2)
	v_cmp_eq_u32_e64 s13, v10, v144
	v_add_nc_u32_e32 v13, -1, v15
	s_delay_alu instid0(VALU_DEP_1) | instskip(SKIP_2) | instid1(VALU_DEP_2)
	v_cndmask_b32_e64 v10, 0, v13, s13
	v_lshrrev_b32_e32 v13, 23, v14
	s_mov_b32 s13, exec_lo
	v_add_nc_u32_e32 v10, v10, v14
	s_delay_alu instid0(VALU_DEP_2) | instskip(NEXT) | instid1(VALU_DEP_2)
	v_xor_b32_e32 v13, 1, v13
	v_and_b32_e32 v9, 0x1fffff, v10
	s_delay_alu instid0(VALU_DEP_1) | instskip(NEXT) | instid1(VALU_DEP_3)
	v_add_nc_u32_e32 v10, v9, v14
                                        ; implicit-def: $vgpr9
	v_cmpx_ne_u32_e64 v12, v13
	s_xor_b32 s13, exec_lo, s13
; %bb.5036:                             ;   in Loop: Header=BB4_4876 Depth=3
	s_delay_alu instid0(VALU_DEP_2) | instskip(SKIP_2) | instid1(VALU_DEP_2)
	v_cmp_lt_u32_e32 vcc_lo, 0xffffff, v10
	v_sub_nc_u32_e32 v9, v12, v13
	v_cndmask_b32_e64 v12, 0, 1, vcc_lo
	v_add_co_ci_u32_e32 v9, vcc_lo, 0, v9, vcc_lo
	s_delay_alu instid0(VALU_DEP_2)
	v_lshrrev_b32_e32 v10, v12, v10
; %bb.5037:                             ;   in Loop: Header=BB4_4876 Depth=3
	s_and_not1_saveexec_b32 s13, s13
; %bb.5038:                             ;   in Loop: Header=BB4_4876 Depth=3
	s_delay_alu instid0(VALU_DEP_1)
	v_bfe_u32 v9, v10, 23, 1
; %bb.5039:                             ;   in Loop: Header=BB4_4876 Depth=3
	s_or_b32 exec_lo, exec_lo, s13
	v_lshrrev_b32_e32 v10, 21, v10
	s_delay_alu instid0(VALU_DEP_2) | instskip(SKIP_2) | instid1(VALU_DEP_3)
	v_min_i32_e32 v12, 31, v9
	v_cmp_gt_i32_e32 vcc_lo, 32, v9
	v_lshrrev_b32_e32 v8, 24, v8
	v_lshlrev_b32_e32 v12, 2, v12
	v_cndmask_b32_e32 v10, 3, v10, vcc_lo
	s_delay_alu instid0(VALU_DEP_3) | instskip(NEXT) | instid1(VALU_DEP_3)
	v_and_b32_e32 v8, 0x80, v8
	v_and_b32_e32 v12, 0xfc, v12
	s_delay_alu instid0(VALU_DEP_3) | instskip(SKIP_1) | instid1(VALU_DEP_2)
	v_and_b32_e32 v13, 3, v10
	v_or_b32_e32 v9, v9, v10
	v_or3_b32 v8, v12, v8, v13
	s_delay_alu instid0(VALU_DEP_2) | instskip(NEXT) | instid1(VALU_DEP_2)
	v_cmp_ne_u32_e32 vcc_lo, 0, v9
	v_cndmask_b32_e32 v181, 0, v8, vcc_lo
.LBB4_5040:                             ;   in Loop: Header=BB4_4876 Depth=3
	s_or_b32 exec_lo, exec_lo, s31
.LBB4_5041:                             ;   in Loop: Header=BB4_4876 Depth=3
	s_delay_alu instid0(SALU_CYCLE_1) | instskip(SKIP_3) | instid1(VALU_DEP_1)
	s_or_b32 exec_lo, exec_lo, s30
	v_lshrrev_b16 v8, 8, v11
	s_mov_b32 s13, 0
	s_mov_b32 s31, exec_lo
                                        ; implicit-def: $sgpr30
	v_cmpx_lt_i16_e32 0x7f, v8
	s_xor_b32 s31, exec_lo, s31
	s_cbranch_execnz .LBB4_5831
; %bb.5042:                             ;   in Loop: Header=BB4_4876 Depth=3
	s_or_saveexec_b32 s31, s31
	v_mov_b32_e32 v9, s30
	s_xor_b32 exec_lo, exec_lo, s31
	s_cbranch_execnz .LBB4_5834
.LBB4_5043:                             ;   in Loop: Header=BB4_4876 Depth=3
	s_or_b32 exec_lo, exec_lo, s31
	s_and_saveexec_b32 s30, s13
	s_cbranch_execz .LBB4_5045
.LBB4_5044:                             ;   in Loop: Header=BB4_4876 Depth=3
	v_and_b32_e32 v9, 0xffff, v8
	v_lshlrev_b32_e32 v8, 24, v8
	s_delay_alu instid0(VALU_DEP_2) | instskip(NEXT) | instid1(VALU_DEP_2)
	v_and_b32_e32 v10, 3, v9
	v_and_b32_e32 v8, 0x80000000, v8
	s_delay_alu instid0(VALU_DEP_2) | instskip(NEXT) | instid1(VALU_DEP_1)
	v_clz_i32_u32_e32 v12, v10
	v_min_u32_e32 v12, 32, v12
	s_delay_alu instid0(VALU_DEP_1) | instskip(SKIP_1) | instid1(VALU_DEP_2)
	v_subrev_nc_u32_e32 v13, 29, v12
	v_sub_nc_u32_e32 v12, 30, v12
	v_lshlrev_b32_e32 v13, v13, v9
	v_bfe_u32 v9, v9, 2, 5
	s_delay_alu instid0(VALU_DEP_2) | instskip(NEXT) | instid1(VALU_DEP_2)
	v_and_b32_e32 v13, 3, v13
	v_cmp_eq_u32_e32 vcc_lo, 0, v9
	s_delay_alu instid0(VALU_DEP_2) | instskip(NEXT) | instid1(VALU_DEP_1)
	v_dual_cndmask_b32 v9, v9, v12 :: v_dual_cndmask_b32 v10, v10, v13
	v_lshl_add_u32 v9, v9, 23, 0x37800000
	s_delay_alu instid0(VALU_DEP_2) | instskip(NEXT) | instid1(VALU_DEP_1)
	v_lshlrev_b32_e32 v10, 21, v10
	v_or3_b32 v9, v8, v9, v10
.LBB4_5045:                             ;   in Loop: Header=BB4_4876 Depth=3
	s_or_b32 exec_lo, exec_lo, s30
	s_delay_alu instid0(VALU_DEP_1) | instskip(SKIP_1) | instid1(VALU_DEP_1)
	v_dual_mul_f32 v8, s17, v9 :: v_dual_mov_b32 v43, 0x8000
	s_mov_b32 s30, exec_lo
	v_and_b32_e32 v9, 0x7f800000, v8
	s_delay_alu instid0(VALU_DEP_1)
	v_cmpx_ne_u32_e32 0x7f800000, v9
	s_cbranch_execz .LBB4_5053
; %bb.5046:                             ;   in Loop: Header=BB4_4876 Depth=3
	v_mov_b32_e32 v43, 0
	s_mov_b32 s31, exec_lo
	v_cmpx_ne_u32_e32 0, v8
	s_cbranch_execz .LBB4_5052
; %bb.5047:                             ;   in Loop: Header=BB4_4876 Depth=3
	v_bfe_u32 v9, v8, 23, 8
	v_and_b32_e32 v10, 0x7fffff, v8
	s_delay_alu instid0(VALU_DEP_2) | instskip(SKIP_1) | instid1(VALU_DEP_3)
	v_sub_nc_u32_e32 v12, 0x70, v9
	v_cmp_gt_u32_e32 vcc_lo, 0x71, v9
	v_or_b32_e32 v13, 0x800000, v10
	s_delay_alu instid0(VALU_DEP_3) | instskip(SKIP_2) | instid1(VALU_DEP_3)
	v_cndmask_b32_e32 v12, 0, v12, vcc_lo
	v_cmp_eq_u32_e32 vcc_lo, 0, v9
	v_add_nc_u32_e32 v9, 0xffffff91, v9
	v_cndmask_b32_e64 v12, v12, 0x6f, vcc_lo
	v_cndmask_b32_e32 v10, v13, v10, vcc_lo
	s_delay_alu instid0(VALU_DEP_3) | instskip(NEXT) | instid1(VALU_DEP_3)
	v_cndmask_b32_e64 v9, v9, 0xffffff92, vcc_lo
	v_lshl_add_u32 v13, 0x200000, v12, -1
	s_delay_alu instid0(VALU_DEP_3) | instskip(SKIP_1) | instid1(VALU_DEP_4)
	v_lshrrev_b32_e32 v14, v12, v10
	v_lshlrev_b32_e64 v144, v12, 0x100000
	v_add_nc_u32_e32 v12, v12, v9
	s_delay_alu instid0(VALU_DEP_4) | instskip(NEXT) | instid1(VALU_DEP_4)
	v_and_b32_e32 v10, v13, v10
	v_bfe_u32 v15, v14, 21, 1
	s_delay_alu instid0(VALU_DEP_2) | instskip(NEXT) | instid1(VALU_DEP_2)
	v_cmp_eq_u32_e64 s13, v10, v144
	v_add_nc_u32_e32 v13, -1, v15
	s_delay_alu instid0(VALU_DEP_1) | instskip(SKIP_2) | instid1(VALU_DEP_2)
	v_cndmask_b32_e64 v10, 0, v13, s13
	v_lshrrev_b32_e32 v13, 23, v14
	s_mov_b32 s13, exec_lo
	v_add_nc_u32_e32 v10, v10, v14
	s_delay_alu instid0(VALU_DEP_2) | instskip(NEXT) | instid1(VALU_DEP_2)
	v_xor_b32_e32 v13, 1, v13
	v_and_b32_e32 v9, 0x1fffff, v10
	s_delay_alu instid0(VALU_DEP_1) | instskip(NEXT) | instid1(VALU_DEP_3)
	v_add_nc_u32_e32 v10, v9, v14
                                        ; implicit-def: $vgpr9
	v_cmpx_ne_u32_e64 v12, v13
	s_xor_b32 s13, exec_lo, s13
; %bb.5048:                             ;   in Loop: Header=BB4_4876 Depth=3
	s_delay_alu instid0(VALU_DEP_2) | instskip(SKIP_2) | instid1(VALU_DEP_2)
	v_cmp_lt_u32_e32 vcc_lo, 0xffffff, v10
	v_sub_nc_u32_e32 v9, v12, v13
	v_cndmask_b32_e64 v12, 0, 1, vcc_lo
	v_add_co_ci_u32_e32 v9, vcc_lo, 0, v9, vcc_lo
	s_delay_alu instid0(VALU_DEP_2)
	v_lshrrev_b32_e32 v10, v12, v10
; %bb.5049:                             ;   in Loop: Header=BB4_4876 Depth=3
	s_and_not1_saveexec_b32 s13, s13
; %bb.5050:                             ;   in Loop: Header=BB4_4876 Depth=3
	s_delay_alu instid0(VALU_DEP_1)
	v_bfe_u32 v9, v10, 23, 1
; %bb.5051:                             ;   in Loop: Header=BB4_4876 Depth=3
	s_or_b32 exec_lo, exec_lo, s13
	v_lshrrev_b32_e32 v10, 21, v10
	s_delay_alu instid0(VALU_DEP_2) | instskip(SKIP_2) | instid1(VALU_DEP_3)
	v_min_i32_e32 v12, 31, v9
	v_cmp_gt_i32_e32 vcc_lo, 32, v9
	v_lshrrev_b32_e32 v8, 24, v8
	v_lshlrev_b32_e32 v12, 2, v12
	v_cndmask_b32_e32 v10, 3, v10, vcc_lo
	s_delay_alu instid0(VALU_DEP_3) | instskip(NEXT) | instid1(VALU_DEP_3)
	v_and_b32_e32 v8, 0x80, v8
	v_and_b32_e32 v12, 0xfc, v12
	s_delay_alu instid0(VALU_DEP_3) | instskip(SKIP_1) | instid1(VALU_DEP_2)
	v_and_b32_e32 v13, 3, v10
	v_or_b32_e32 v9, v9, v10
	v_or3_b32 v8, v8, v12, v13
	s_delay_alu instid0(VALU_DEP_2) | instskip(NEXT) | instid1(VALU_DEP_2)
	v_cmp_ne_u32_e32 vcc_lo, 0, v9
	v_lshlrev_b32_e32 v8, 8, v8
	s_delay_alu instid0(VALU_DEP_1)
	v_cndmask_b32_e32 v43, 0, v8, vcc_lo
.LBB4_5052:                             ;   in Loop: Header=BB4_4876 Depth=3
	s_or_b32 exec_lo, exec_lo, s31
.LBB4_5053:                             ;   in Loop: Header=BB4_4876 Depth=3
	s_delay_alu instid0(SALU_CYCLE_1) | instskip(SKIP_3) | instid1(VALU_DEP_1)
	s_or_b32 exec_lo, exec_lo, s30
	v_lshrrev_b32_e32 v8, 16, v11
	s_mov_b32 s13, 0
	s_mov_b32 s31, exec_lo
                                        ; implicit-def: $sgpr30
	v_and_b32_e32 v10, 0xff, v8
	s_delay_alu instid0(VALU_DEP_1)
	v_cmpx_lt_i16_e32 0x7f, v10
	s_xor_b32 s31, exec_lo, s31
	s_cbranch_execnz .LBB4_5835
; %bb.5054:                             ;   in Loop: Header=BB4_4876 Depth=3
	s_or_saveexec_b32 s31, s31
	v_mov_b32_e32 v9, s30
	s_xor_b32 exec_lo, exec_lo, s31
	s_cbranch_execnz .LBB4_5838
.LBB4_5055:                             ;   in Loop: Header=BB4_4876 Depth=3
	s_or_b32 exec_lo, exec_lo, s31
	s_and_saveexec_b32 s30, s13
	s_cbranch_execz .LBB4_5057
.LBB4_5056:                             ;   in Loop: Header=BB4_4876 Depth=3
	v_bfe_u32 v9, v11, 16, 2
	s_delay_alu instid0(VALU_DEP_1) | instskip(NEXT) | instid1(VALU_DEP_1)
	v_clz_i32_u32_e32 v10, v9
	v_min_u32_e32 v10, 32, v10
	s_delay_alu instid0(VALU_DEP_1) | instskip(SKIP_1) | instid1(VALU_DEP_2)
	v_subrev_nc_u32_e32 v12, 29, v10
	v_sub_nc_u32_e32 v10, 30, v10
	v_lshlrev_b32_e32 v8, v12, v8
	v_bfe_u32 v12, v11, 18, 5
	s_delay_alu instid0(VALU_DEP_2) | instskip(NEXT) | instid1(VALU_DEP_2)
	v_and_b32_e32 v8, 3, v8
	v_cmp_eq_u32_e32 vcc_lo, 0, v12
	v_dual_cndmask_b32 v10, v12, v10 :: v_dual_lshlrev_b32 v13, 8, v11
	s_delay_alu instid0(VALU_DEP_1) | instskip(NEXT) | instid1(VALU_DEP_2)
	v_dual_cndmask_b32 v8, v9, v8 :: v_dual_and_b32 v9, 0x80000000, v13
	v_lshl_add_u32 v10, v10, 23, 0x37800000
	s_delay_alu instid0(VALU_DEP_2) | instskip(NEXT) | instid1(VALU_DEP_1)
	v_lshlrev_b32_e32 v8, 21, v8
	v_or3_b32 v9, v9, v10, v8
.LBB4_5057:                             ;   in Loop: Header=BB4_4876 Depth=3
	s_or_b32 exec_lo, exec_lo, s30
	s_delay_alu instid0(VALU_DEP_1) | instskip(SKIP_2) | instid1(VALU_DEP_2)
	v_mul_f32_e32 v8, s17, v9
	v_mov_b32_e32 v180, 0x80
	s_mov_b32 s30, exec_lo
	v_and_b32_e32 v9, 0x7f800000, v8
	s_delay_alu instid0(VALU_DEP_1)
	v_cmpx_ne_u32_e32 0x7f800000, v9
	s_cbranch_execz .LBB4_5065
; %bb.5058:                             ;   in Loop: Header=BB4_4876 Depth=3
	v_mov_b32_e32 v180, 0
	s_mov_b32 s31, exec_lo
	v_cmpx_ne_u32_e32 0, v8
	s_cbranch_execz .LBB4_5064
; %bb.5059:                             ;   in Loop: Header=BB4_4876 Depth=3
	v_bfe_u32 v9, v8, 23, 8
	v_and_b32_e32 v10, 0x7fffff, v8
	s_delay_alu instid0(VALU_DEP_2) | instskip(SKIP_1) | instid1(VALU_DEP_3)
	v_sub_nc_u32_e32 v12, 0x70, v9
	v_cmp_gt_u32_e32 vcc_lo, 0x71, v9
	v_or_b32_e32 v13, 0x800000, v10
	s_delay_alu instid0(VALU_DEP_3) | instskip(SKIP_2) | instid1(VALU_DEP_3)
	v_cndmask_b32_e32 v12, 0, v12, vcc_lo
	v_cmp_eq_u32_e32 vcc_lo, 0, v9
	v_add_nc_u32_e32 v9, 0xffffff91, v9
	v_cndmask_b32_e64 v12, v12, 0x6f, vcc_lo
	v_cndmask_b32_e32 v10, v13, v10, vcc_lo
	s_delay_alu instid0(VALU_DEP_3) | instskip(NEXT) | instid1(VALU_DEP_3)
	v_cndmask_b32_e64 v9, v9, 0xffffff92, vcc_lo
	v_lshl_add_u32 v13, 0x200000, v12, -1
	s_delay_alu instid0(VALU_DEP_3) | instskip(SKIP_1) | instid1(VALU_DEP_4)
	v_lshrrev_b32_e32 v14, v12, v10
	v_lshlrev_b32_e64 v144, v12, 0x100000
	v_add_nc_u32_e32 v12, v12, v9
	s_delay_alu instid0(VALU_DEP_4) | instskip(NEXT) | instid1(VALU_DEP_4)
	v_and_b32_e32 v10, v13, v10
	v_bfe_u32 v15, v14, 21, 1
	s_delay_alu instid0(VALU_DEP_2) | instskip(NEXT) | instid1(VALU_DEP_2)
	v_cmp_eq_u32_e64 s13, v10, v144
	v_add_nc_u32_e32 v13, -1, v15
	s_delay_alu instid0(VALU_DEP_1) | instskip(SKIP_2) | instid1(VALU_DEP_2)
	v_cndmask_b32_e64 v10, 0, v13, s13
	v_lshrrev_b32_e32 v13, 23, v14
	s_mov_b32 s13, exec_lo
	v_add_nc_u32_e32 v10, v10, v14
	s_delay_alu instid0(VALU_DEP_2) | instskip(NEXT) | instid1(VALU_DEP_2)
	v_xor_b32_e32 v13, 1, v13
	v_and_b32_e32 v9, 0x1fffff, v10
	s_delay_alu instid0(VALU_DEP_1) | instskip(NEXT) | instid1(VALU_DEP_3)
	v_add_nc_u32_e32 v10, v9, v14
                                        ; implicit-def: $vgpr9
	v_cmpx_ne_u32_e64 v12, v13
	s_xor_b32 s13, exec_lo, s13
; %bb.5060:                             ;   in Loop: Header=BB4_4876 Depth=3
	s_delay_alu instid0(VALU_DEP_2) | instskip(SKIP_2) | instid1(VALU_DEP_2)
	v_cmp_lt_u32_e32 vcc_lo, 0xffffff, v10
	v_sub_nc_u32_e32 v9, v12, v13
	v_cndmask_b32_e64 v12, 0, 1, vcc_lo
	v_add_co_ci_u32_e32 v9, vcc_lo, 0, v9, vcc_lo
	s_delay_alu instid0(VALU_DEP_2)
	v_lshrrev_b32_e32 v10, v12, v10
; %bb.5061:                             ;   in Loop: Header=BB4_4876 Depth=3
	s_and_not1_saveexec_b32 s13, s13
; %bb.5062:                             ;   in Loop: Header=BB4_4876 Depth=3
	s_delay_alu instid0(VALU_DEP_1)
	v_bfe_u32 v9, v10, 23, 1
; %bb.5063:                             ;   in Loop: Header=BB4_4876 Depth=3
	s_or_b32 exec_lo, exec_lo, s13
	v_lshrrev_b32_e32 v10, 21, v10
	s_delay_alu instid0(VALU_DEP_2) | instskip(SKIP_2) | instid1(VALU_DEP_4)
	v_cmp_gt_i32_e32 vcc_lo, 32, v9
	v_min_i32_e32 v12, 31, v9
	v_lshrrev_b32_e32 v8, 24, v8
	v_cndmask_b32_e32 v10, 3, v10, vcc_lo
	s_delay_alu instid0(VALU_DEP_3) | instskip(NEXT) | instid1(VALU_DEP_3)
	v_lshlrev_b32_e32 v12, 2, v12
	v_and_b32_e32 v8, 0x80, v8
	s_delay_alu instid0(VALU_DEP_3) | instskip(NEXT) | instid1(VALU_DEP_3)
	v_or_b32_e32 v9, v9, v10
	v_and_b32_e32 v12, 0xfc, v12
	s_delay_alu instid0(VALU_DEP_2) | instskip(SKIP_1) | instid1(VALU_DEP_1)
	v_cmp_ne_u32_e32 vcc_lo, 0, v9
	v_and_b32_e32 v13, 3, v10
	v_or3_b32 v8, v12, v8, v13
	s_delay_alu instid0(VALU_DEP_1)
	v_cndmask_b32_e32 v180, 0, v8, vcc_lo
.LBB4_5064:                             ;   in Loop: Header=BB4_4876 Depth=3
	s_or_b32 exec_lo, exec_lo, s31
.LBB4_5065:                             ;   in Loop: Header=BB4_4876 Depth=3
	s_delay_alu instid0(SALU_CYCLE_1) | instskip(SKIP_3) | instid1(VALU_DEP_1)
	s_or_b32 exec_lo, exec_lo, s30
	v_lshrrev_b32_e32 v8, 24, v11
	s_mov_b32 s13, 0
	s_mov_b32 s31, exec_lo
                                        ; implicit-def: $sgpr30
	v_cmpx_lt_i16_e32 0x7f, v8
	s_xor_b32 s31, exec_lo, s31
	s_cbranch_execnz .LBB4_5839
; %bb.5066:                             ;   in Loop: Header=BB4_4876 Depth=3
	s_or_saveexec_b32 s31, s31
	v_mov_b32_e32 v9, s30
	s_xor_b32 exec_lo, exec_lo, s31
	s_cbranch_execnz .LBB4_5842
.LBB4_5067:                             ;   in Loop: Header=BB4_4876 Depth=3
	s_or_b32 exec_lo, exec_lo, s31
	s_and_saveexec_b32 s30, s13
	s_cbranch_execz .LBB4_5069
.LBB4_5068:                             ;   in Loop: Header=BB4_4876 Depth=3
	v_bfe_u32 v9, v11, 24, 2
	s_delay_alu instid0(VALU_DEP_1) | instskip(NEXT) | instid1(VALU_DEP_1)
	v_clz_i32_u32_e32 v10, v9
	v_min_u32_e32 v10, 32, v10
	s_delay_alu instid0(VALU_DEP_1) | instskip(SKIP_1) | instid1(VALU_DEP_2)
	v_subrev_nc_u32_e32 v12, 29, v10
	v_sub_nc_u32_e32 v10, 30, v10
	v_lshlrev_b32_e32 v8, v12, v8
	v_bfe_u32 v12, v11, 26, 5
	s_delay_alu instid0(VALU_DEP_2) | instskip(NEXT) | instid1(VALU_DEP_2)
	v_and_b32_e32 v8, 3, v8
	v_cmp_eq_u32_e32 vcc_lo, 0, v12
	v_cndmask_b32_e32 v10, v12, v10, vcc_lo
	s_delay_alu instid0(VALU_DEP_3) | instskip(NEXT) | instid1(VALU_DEP_2)
	v_dual_cndmask_b32 v8, v9, v8 :: v_dual_and_b32 v9, 0x80000000, v11
	v_lshl_add_u32 v10, v10, 23, 0x37800000
	s_delay_alu instid0(VALU_DEP_2) | instskip(NEXT) | instid1(VALU_DEP_1)
	v_lshlrev_b32_e32 v8, 21, v8
	v_or3_b32 v9, v9, v10, v8
.LBB4_5069:                             ;   in Loop: Header=BB4_4876 Depth=3
	s_or_b32 exec_lo, exec_lo, s30
	s_delay_alu instid0(VALU_DEP_1) | instskip(SKIP_1) | instid1(VALU_DEP_1)
	v_dual_mul_f32 v8, s17, v9 :: v_dual_mov_b32 v183, 0x8000
	s_mov_b32 s30, exec_lo
	v_and_b32_e32 v9, 0x7f800000, v8
	s_delay_alu instid0(VALU_DEP_1)
	v_cmpx_ne_u32_e32 0x7f800000, v9
	s_cbranch_execz .LBB4_5077
; %bb.5070:                             ;   in Loop: Header=BB4_4876 Depth=3
	v_mov_b32_e32 v183, 0
	s_mov_b32 s31, exec_lo
	v_cmpx_ne_u32_e32 0, v8
	s_cbranch_execz .LBB4_5076
; %bb.5071:                             ;   in Loop: Header=BB4_4876 Depth=3
	v_bfe_u32 v9, v8, 23, 8
	s_delay_alu instid0(VALU_DEP_1) | instskip(SKIP_1) | instid1(VALU_DEP_2)
	v_sub_nc_u32_e32 v11, 0x70, v9
	v_cmp_gt_u32_e32 vcc_lo, 0x71, v9
	v_dual_cndmask_b32 v11, 0, v11 :: v_dual_and_b32 v10, 0x7fffff, v8
	s_delay_alu instid0(VALU_DEP_1) | instskip(SKIP_2) | instid1(VALU_DEP_4)
	v_or_b32_e32 v12, 0x800000, v10
	v_cmp_eq_u32_e32 vcc_lo, 0, v9
	v_add_nc_u32_e32 v9, 0xffffff91, v9
	v_cndmask_b32_e64 v11, v11, 0x6f, vcc_lo
	s_delay_alu instid0(VALU_DEP_4) | instskip(NEXT) | instid1(VALU_DEP_3)
	v_cndmask_b32_e32 v10, v12, v10, vcc_lo
	v_cndmask_b32_e64 v9, v9, 0xffffff92, vcc_lo
	s_delay_alu instid0(VALU_DEP_3) | instskip(NEXT) | instid1(VALU_DEP_3)
	v_lshl_add_u32 v12, 0x200000, v11, -1
	v_lshrrev_b32_e32 v13, v11, v10
	v_lshlrev_b32_e64 v15, v11, 0x100000
	s_delay_alu instid0(VALU_DEP_4) | instskip(NEXT) | instid1(VALU_DEP_4)
	v_add_nc_u32_e32 v11, v11, v9
	v_and_b32_e32 v10, v12, v10
	s_delay_alu instid0(VALU_DEP_4) | instskip(NEXT) | instid1(VALU_DEP_2)
	v_bfe_u32 v14, v13, 21, 1
	v_cmp_eq_u32_e64 s13, v10, v15
	s_delay_alu instid0(VALU_DEP_2) | instskip(NEXT) | instid1(VALU_DEP_1)
	v_add_nc_u32_e32 v12, -1, v14
	v_cndmask_b32_e64 v10, 0, v12, s13
	v_lshrrev_b32_e32 v12, 23, v13
	s_mov_b32 s13, exec_lo
	s_delay_alu instid0(VALU_DEP_2) | instskip(NEXT) | instid1(VALU_DEP_2)
	v_add_nc_u32_e32 v10, v10, v13
	v_xor_b32_e32 v12, 1, v12
	s_delay_alu instid0(VALU_DEP_2) | instskip(NEXT) | instid1(VALU_DEP_1)
	v_and_b32_e32 v9, 0x1fffff, v10
	v_add_nc_u32_e32 v10, v9, v13
                                        ; implicit-def: $vgpr9
	s_delay_alu instid0(VALU_DEP_3)
	v_cmpx_ne_u32_e64 v11, v12
	s_xor_b32 s13, exec_lo, s13
; %bb.5072:                             ;   in Loop: Header=BB4_4876 Depth=3
	s_delay_alu instid0(VALU_DEP_2) | instskip(SKIP_2) | instid1(VALU_DEP_2)
	v_cmp_lt_u32_e32 vcc_lo, 0xffffff, v10
	v_sub_nc_u32_e32 v9, v11, v12
	v_cndmask_b32_e64 v11, 0, 1, vcc_lo
	v_add_co_ci_u32_e32 v9, vcc_lo, 0, v9, vcc_lo
	s_delay_alu instid0(VALU_DEP_2)
	v_lshrrev_b32_e32 v10, v11, v10
; %bb.5073:                             ;   in Loop: Header=BB4_4876 Depth=3
	s_and_not1_saveexec_b32 s13, s13
; %bb.5074:                             ;   in Loop: Header=BB4_4876 Depth=3
	s_delay_alu instid0(VALU_DEP_1)
	v_bfe_u32 v9, v10, 23, 1
; %bb.5075:                             ;   in Loop: Header=BB4_4876 Depth=3
	s_or_b32 exec_lo, exec_lo, s13
	v_lshrrev_b32_e32 v10, 21, v10
	s_delay_alu instid0(VALU_DEP_2) | instskip(SKIP_2) | instid1(VALU_DEP_2)
	v_cmp_gt_i32_e32 vcc_lo, 32, v9
	v_min_i32_e32 v11, 31, v9
	v_lshrrev_b32_e32 v8, 24, v8
	v_dual_cndmask_b32 v10, 3, v10 :: v_dual_lshlrev_b32 v11, 2, v11
	s_delay_alu instid0(VALU_DEP_2) | instskip(NEXT) | instid1(VALU_DEP_2)
	v_and_b32_e32 v8, 0x80, v8
	v_or_b32_e32 v9, v9, v10
	s_delay_alu instid0(VALU_DEP_3) | instskip(NEXT) | instid1(VALU_DEP_2)
	v_and_b32_e32 v11, 0xfc, v11
	v_cmp_ne_u32_e32 vcc_lo, 0, v9
	v_and_b32_e32 v12, 3, v10
	s_delay_alu instid0(VALU_DEP_1) | instskip(NEXT) | instid1(VALU_DEP_1)
	v_or3_b32 v8, v8, v11, v12
	v_lshlrev_b32_e32 v8, 8, v8
	s_delay_alu instid0(VALU_DEP_1)
	v_cndmask_b32_e32 v183, 0, v8, vcc_lo
.LBB4_5076:                             ;   in Loop: Header=BB4_4876 Depth=3
	s_or_b32 exec_lo, exec_lo, s31
.LBB4_5077:                             ;   in Loop: Header=BB4_4876 Depth=3
	s_delay_alu instid0(SALU_CYCLE_1)
	s_or_b32 exec_lo, exec_lo, s30
	global_load_b128 v[8:11], v[53:54], off offset:512 slc dlc
	s_mov_b32 s13, 0
	s_mov_b32 s31, exec_lo
                                        ; implicit-def: $sgpr30
	s_waitcnt vmcnt(0)
	v_and_b32_e32 v13, 0xff, v8
	s_delay_alu instid0(VALU_DEP_1)
	v_cmpx_lt_i16_e32 0x7f, v13
	s_xor_b32 s31, exec_lo, s31
	s_cbranch_execnz .LBB4_5843
; %bb.5078:                             ;   in Loop: Header=BB4_4876 Depth=3
	s_or_saveexec_b32 s31, s31
	v_mov_b32_e32 v12, s30
	s_xor_b32 exec_lo, exec_lo, s31
	s_cbranch_execnz .LBB4_5846
.LBB4_5079:                             ;   in Loop: Header=BB4_4876 Depth=3
	s_or_b32 exec_lo, exec_lo, s31
	s_and_saveexec_b32 s30, s13
	s_cbranch_execz .LBB4_5081
.LBB4_5080:                             ;   in Loop: Header=BB4_4876 Depth=3
	v_bfe_u32 v15, v8, 2, 5
	v_lshlrev_b32_e32 v144, 24, v8
	s_delay_alu instid0(VALU_DEP_2) | instskip(SKIP_1) | instid1(VALU_DEP_1)
	v_cmp_eq_u32_e32 vcc_lo, 0, v15
	v_and_b32_e32 v12, 3, v8
	v_clz_i32_u32_e32 v13, v12
	s_delay_alu instid0(VALU_DEP_1) | instskip(NEXT) | instid1(VALU_DEP_1)
	v_min_u32_e32 v13, 32, v13
	v_subrev_nc_u32_e32 v14, 29, v13
	v_sub_nc_u32_e32 v13, 30, v13
	s_delay_alu instid0(VALU_DEP_1) | instskip(NEXT) | instid1(VALU_DEP_1)
	v_dual_cndmask_b32 v13, v15, v13 :: v_dual_lshlrev_b32 v14, v14, v8
	v_and_b32_e32 v14, 3, v14
	s_delay_alu instid0(VALU_DEP_2) | instskip(NEXT) | instid1(VALU_DEP_2)
	v_lshl_add_u32 v13, v13, 23, 0x37800000
	v_cndmask_b32_e32 v12, v12, v14, vcc_lo
	v_and_b32_e32 v14, 0x80000000, v144
	s_delay_alu instid0(VALU_DEP_2) | instskip(NEXT) | instid1(VALU_DEP_1)
	v_lshlrev_b32_e32 v12, 21, v12
	v_or3_b32 v12, v14, v13, v12
.LBB4_5081:                             ;   in Loop: Header=BB4_4876 Depth=3
	s_or_b32 exec_lo, exec_lo, s30
	s_delay_alu instid0(VALU_DEP_1) | instskip(SKIP_2) | instid1(VALU_DEP_2)
	v_mul_f32_e32 v12, s17, v12
	v_mov_b32_e32 v178, 0x80
	s_mov_b32 s30, exec_lo
	v_and_b32_e32 v13, 0x7f800000, v12
	s_delay_alu instid0(VALU_DEP_1)
	v_cmpx_ne_u32_e32 0x7f800000, v13
	s_cbranch_execz .LBB4_5089
; %bb.5082:                             ;   in Loop: Header=BB4_4876 Depth=3
	v_mov_b32_e32 v178, 0
	s_mov_b32 s31, exec_lo
	v_cmpx_ne_u32_e32 0, v12
	s_cbranch_execz .LBB4_5088
; %bb.5083:                             ;   in Loop: Header=BB4_4876 Depth=3
	v_bfe_u32 v13, v12, 23, 8
	s_delay_alu instid0(VALU_DEP_1) | instskip(SKIP_1) | instid1(VALU_DEP_2)
	v_sub_nc_u32_e32 v15, 0x70, v13
	v_cmp_gt_u32_e32 vcc_lo, 0x71, v13
	v_dual_cndmask_b32 v15, 0, v15 :: v_dual_and_b32 v14, 0x7fffff, v12
	s_delay_alu instid0(VALU_DEP_1) | instskip(SKIP_2) | instid1(VALU_DEP_4)
	v_or_b32_e32 v144, 0x800000, v14
	v_cmp_eq_u32_e32 vcc_lo, 0, v13
	v_add_nc_u32_e32 v13, 0xffffff91, v13
	v_cndmask_b32_e64 v15, v15, 0x6f, vcc_lo
	s_delay_alu instid0(VALU_DEP_4) | instskip(NEXT) | instid1(VALU_DEP_3)
	v_cndmask_b32_e32 v14, v144, v14, vcc_lo
	v_cndmask_b32_e64 v13, v13, 0xffffff92, vcc_lo
	s_delay_alu instid0(VALU_DEP_3) | instskip(NEXT) | instid1(VALU_DEP_3)
	v_lshl_add_u32 v144, 0x200000, v15, -1
	v_lshrrev_b32_e32 v145, v15, v14
	v_lshlrev_b32_e64 v148, v15, 0x100000
	s_delay_alu instid0(VALU_DEP_4) | instskip(NEXT) | instid1(VALU_DEP_4)
	v_add_nc_u32_e32 v15, v15, v13
	v_and_b32_e32 v14, v144, v14
	s_delay_alu instid0(VALU_DEP_4) | instskip(NEXT) | instid1(VALU_DEP_2)
	v_bfe_u32 v146, v145, 21, 1
	v_cmp_eq_u32_e64 s13, v14, v148
	s_delay_alu instid0(VALU_DEP_2) | instskip(NEXT) | instid1(VALU_DEP_1)
	v_add_nc_u32_e32 v144, -1, v146
	v_cndmask_b32_e64 v14, 0, v144, s13
	v_lshrrev_b32_e32 v144, 23, v145
	s_mov_b32 s13, exec_lo
	s_delay_alu instid0(VALU_DEP_2) | instskip(NEXT) | instid1(VALU_DEP_2)
	v_add_nc_u32_e32 v14, v14, v145
	v_xor_b32_e32 v144, 1, v144
	s_delay_alu instid0(VALU_DEP_2) | instskip(NEXT) | instid1(VALU_DEP_1)
	v_and_b32_e32 v13, 0x1fffff, v14
	v_add_nc_u32_e32 v14, v13, v145
                                        ; implicit-def: $vgpr13
	s_delay_alu instid0(VALU_DEP_3)
	v_cmpx_ne_u32_e64 v15, v144
	s_xor_b32 s13, exec_lo, s13
; %bb.5084:                             ;   in Loop: Header=BB4_4876 Depth=3
	s_delay_alu instid0(VALU_DEP_2) | instskip(SKIP_2) | instid1(VALU_DEP_2)
	v_cmp_lt_u32_e32 vcc_lo, 0xffffff, v14
	v_sub_nc_u32_e32 v13, v15, v144
	v_cndmask_b32_e64 v15, 0, 1, vcc_lo
	v_add_co_ci_u32_e32 v13, vcc_lo, 0, v13, vcc_lo
	s_delay_alu instid0(VALU_DEP_2)
	v_lshrrev_b32_e32 v14, v15, v14
; %bb.5085:                             ;   in Loop: Header=BB4_4876 Depth=3
	s_and_not1_saveexec_b32 s13, s13
; %bb.5086:                             ;   in Loop: Header=BB4_4876 Depth=3
	s_delay_alu instid0(VALU_DEP_1)
	v_bfe_u32 v13, v14, 23, 1
; %bb.5087:                             ;   in Loop: Header=BB4_4876 Depth=3
	s_or_b32 exec_lo, exec_lo, s13
	v_lshrrev_b32_e32 v14, 21, v14
	s_delay_alu instid0(VALU_DEP_2) | instskip(SKIP_2) | instid1(VALU_DEP_4)
	v_cmp_gt_i32_e32 vcc_lo, 32, v13
	v_lshrrev_b32_e32 v12, 24, v12
	v_min_i32_e32 v15, 31, v13
	v_cndmask_b32_e32 v14, 3, v14, vcc_lo
	s_delay_alu instid0(VALU_DEP_3) | instskip(NEXT) | instid1(VALU_DEP_3)
	v_and_b32_e32 v12, 0x80, v12
	v_lshlrev_b32_e32 v15, 2, v15
	s_delay_alu instid0(VALU_DEP_3) | instskip(SKIP_1) | instid1(VALU_DEP_2)
	v_and_b32_e32 v144, 3, v14
	v_or_b32_e32 v13, v13, v14
	v_or3_b32 v12, v15, v12, v144
	s_delay_alu instid0(VALU_DEP_2) | instskip(NEXT) | instid1(VALU_DEP_2)
	v_cmp_ne_u32_e32 vcc_lo, 0, v13
	v_cndmask_b32_e32 v178, 0, v12, vcc_lo
.LBB4_5088:                             ;   in Loop: Header=BB4_4876 Depth=3
	s_or_b32 exec_lo, exec_lo, s31
.LBB4_5089:                             ;   in Loop: Header=BB4_4876 Depth=3
	s_delay_alu instid0(SALU_CYCLE_1) | instskip(SKIP_3) | instid1(VALU_DEP_1)
	s_or_b32 exec_lo, exec_lo, s30
	v_lshrrev_b16 v12, 8, v8
	s_mov_b32 s13, 0
	s_mov_b32 s31, exec_lo
                                        ; implicit-def: $sgpr30
	v_cmpx_lt_i16_e32 0x7f, v12
	s_xor_b32 s31, exec_lo, s31
	s_cbranch_execnz .LBB4_5847
; %bb.5090:                             ;   in Loop: Header=BB4_4876 Depth=3
	s_or_saveexec_b32 s31, s31
	v_mov_b32_e32 v13, s30
	s_xor_b32 exec_lo, exec_lo, s31
	s_cbranch_execnz .LBB4_5850
.LBB4_5091:                             ;   in Loop: Header=BB4_4876 Depth=3
	s_or_b32 exec_lo, exec_lo, s31
	s_and_saveexec_b32 s30, s13
	s_cbranch_execz .LBB4_5093
.LBB4_5092:                             ;   in Loop: Header=BB4_4876 Depth=3
	v_and_b32_e32 v13, 0xffff, v12
	v_lshlrev_b32_e32 v12, 24, v12
	s_delay_alu instid0(VALU_DEP_2) | instskip(NEXT) | instid1(VALU_DEP_2)
	v_and_b32_e32 v14, 3, v13
	v_and_b32_e32 v12, 0x80000000, v12
	s_delay_alu instid0(VALU_DEP_2) | instskip(NEXT) | instid1(VALU_DEP_1)
	v_clz_i32_u32_e32 v15, v14
	v_min_u32_e32 v15, 32, v15
	s_delay_alu instid0(VALU_DEP_1) | instskip(SKIP_1) | instid1(VALU_DEP_2)
	v_subrev_nc_u32_e32 v144, 29, v15
	v_sub_nc_u32_e32 v15, 30, v15
	v_lshlrev_b32_e32 v144, v144, v13
	v_bfe_u32 v13, v13, 2, 5
	s_delay_alu instid0(VALU_DEP_2) | instskip(NEXT) | instid1(VALU_DEP_2)
	v_and_b32_e32 v144, 3, v144
	v_cmp_eq_u32_e32 vcc_lo, 0, v13
	s_delay_alu instid0(VALU_DEP_2) | instskip(NEXT) | instid1(VALU_DEP_1)
	v_dual_cndmask_b32 v13, v13, v15 :: v_dual_cndmask_b32 v14, v14, v144
	v_lshl_add_u32 v13, v13, 23, 0x37800000
	s_delay_alu instid0(VALU_DEP_2) | instskip(NEXT) | instid1(VALU_DEP_1)
	v_lshlrev_b32_e32 v14, 21, v14
	v_or3_b32 v13, v12, v13, v14
.LBB4_5093:                             ;   in Loop: Header=BB4_4876 Depth=3
	s_or_b32 exec_lo, exec_lo, s30
	s_delay_alu instid0(VALU_DEP_1) | instskip(SKIP_1) | instid1(VALU_DEP_1)
	v_dual_mul_f32 v12, s17, v13 :: v_dual_mov_b32 v167, 0x80
	s_mov_b32 s30, exec_lo
	v_and_b32_e32 v13, 0x7f800000, v12
	s_delay_alu instid0(VALU_DEP_1)
	v_cmpx_ne_u32_e32 0x7f800000, v13
	s_cbranch_execz .LBB4_5101
; %bb.5094:                             ;   in Loop: Header=BB4_4876 Depth=3
	v_mov_b32_e32 v167, 0
	s_mov_b32 s31, exec_lo
	v_cmpx_ne_u32_e32 0, v12
	s_cbranch_execz .LBB4_5100
; %bb.5095:                             ;   in Loop: Header=BB4_4876 Depth=3
	v_bfe_u32 v13, v12, 23, 8
	s_delay_alu instid0(VALU_DEP_1) | instskip(SKIP_1) | instid1(VALU_DEP_2)
	v_sub_nc_u32_e32 v15, 0x70, v13
	v_cmp_gt_u32_e32 vcc_lo, 0x71, v13
	v_dual_cndmask_b32 v15, 0, v15 :: v_dual_and_b32 v14, 0x7fffff, v12
	s_delay_alu instid0(VALU_DEP_1) | instskip(SKIP_2) | instid1(VALU_DEP_4)
	v_or_b32_e32 v144, 0x800000, v14
	v_cmp_eq_u32_e32 vcc_lo, 0, v13
	v_add_nc_u32_e32 v13, 0xffffff91, v13
	v_cndmask_b32_e64 v15, v15, 0x6f, vcc_lo
	s_delay_alu instid0(VALU_DEP_4) | instskip(NEXT) | instid1(VALU_DEP_3)
	v_cndmask_b32_e32 v14, v144, v14, vcc_lo
	v_cndmask_b32_e64 v13, v13, 0xffffff92, vcc_lo
	s_delay_alu instid0(VALU_DEP_3) | instskip(NEXT) | instid1(VALU_DEP_3)
	v_lshl_add_u32 v144, 0x200000, v15, -1
	v_lshrrev_b32_e32 v145, v15, v14
	v_lshlrev_b32_e64 v148, v15, 0x100000
	s_delay_alu instid0(VALU_DEP_4) | instskip(NEXT) | instid1(VALU_DEP_4)
	v_add_nc_u32_e32 v15, v15, v13
	v_and_b32_e32 v14, v144, v14
	s_delay_alu instid0(VALU_DEP_4) | instskip(NEXT) | instid1(VALU_DEP_2)
	v_bfe_u32 v146, v145, 21, 1
	v_cmp_eq_u32_e64 s13, v14, v148
	s_delay_alu instid0(VALU_DEP_2) | instskip(NEXT) | instid1(VALU_DEP_1)
	v_add_nc_u32_e32 v144, -1, v146
	v_cndmask_b32_e64 v14, 0, v144, s13
	v_lshrrev_b32_e32 v144, 23, v145
	s_mov_b32 s13, exec_lo
	s_delay_alu instid0(VALU_DEP_2) | instskip(NEXT) | instid1(VALU_DEP_2)
	v_add_nc_u32_e32 v14, v14, v145
	v_xor_b32_e32 v144, 1, v144
	s_delay_alu instid0(VALU_DEP_2) | instskip(NEXT) | instid1(VALU_DEP_1)
	v_and_b32_e32 v13, 0x1fffff, v14
	v_add_nc_u32_e32 v14, v13, v145
                                        ; implicit-def: $vgpr13
	s_delay_alu instid0(VALU_DEP_3)
	v_cmpx_ne_u32_e64 v15, v144
	s_xor_b32 s13, exec_lo, s13
; %bb.5096:                             ;   in Loop: Header=BB4_4876 Depth=3
	s_delay_alu instid0(VALU_DEP_2) | instskip(SKIP_2) | instid1(VALU_DEP_2)
	v_cmp_lt_u32_e32 vcc_lo, 0xffffff, v14
	v_sub_nc_u32_e32 v13, v15, v144
	v_cndmask_b32_e64 v15, 0, 1, vcc_lo
	v_add_co_ci_u32_e32 v13, vcc_lo, 0, v13, vcc_lo
	s_delay_alu instid0(VALU_DEP_2)
	v_lshrrev_b32_e32 v14, v15, v14
; %bb.5097:                             ;   in Loop: Header=BB4_4876 Depth=3
	s_and_not1_saveexec_b32 s13, s13
; %bb.5098:                             ;   in Loop: Header=BB4_4876 Depth=3
	s_delay_alu instid0(VALU_DEP_1)
	v_bfe_u32 v13, v14, 23, 1
; %bb.5099:                             ;   in Loop: Header=BB4_4876 Depth=3
	s_or_b32 exec_lo, exec_lo, s13
	v_lshrrev_b32_e32 v14, 21, v14
	s_delay_alu instid0(VALU_DEP_2) | instskip(SKIP_2) | instid1(VALU_DEP_2)
	v_cmp_gt_i32_e32 vcc_lo, 32, v13
	v_min_i32_e32 v15, 31, v13
	v_lshrrev_b32_e32 v12, 24, v12
	v_dual_cndmask_b32 v14, 3, v14 :: v_dual_lshlrev_b32 v15, 2, v15
	s_delay_alu instid0(VALU_DEP_2) | instskip(NEXT) | instid1(VALU_DEP_2)
	v_and_b32_e32 v12, 0x80, v12
	v_or_b32_e32 v13, v13, v14
	s_delay_alu instid0(VALU_DEP_1) | instskip(SKIP_1) | instid1(VALU_DEP_1)
	v_cmp_ne_u32_e32 vcc_lo, 0, v13
	v_and_b32_e32 v144, 3, v14
	v_or3_b32 v12, v15, v12, v144
	s_delay_alu instid0(VALU_DEP_1)
	v_cndmask_b32_e32 v167, 0, v12, vcc_lo
.LBB4_5100:                             ;   in Loop: Header=BB4_4876 Depth=3
	s_or_b32 exec_lo, exec_lo, s31
.LBB4_5101:                             ;   in Loop: Header=BB4_4876 Depth=3
	s_delay_alu instid0(SALU_CYCLE_1) | instskip(SKIP_3) | instid1(VALU_DEP_1)
	s_or_b32 exec_lo, exec_lo, s30
	v_lshrrev_b32_e32 v12, 16, v8
	s_mov_b32 s13, 0
	s_mov_b32 s31, exec_lo
                                        ; implicit-def: $sgpr30
	v_and_b32_e32 v14, 0xff, v12
	s_delay_alu instid0(VALU_DEP_1)
	v_cmpx_lt_i16_e32 0x7f, v14
	s_xor_b32 s31, exec_lo, s31
	s_cbranch_execnz .LBB4_5851
; %bb.5102:                             ;   in Loop: Header=BB4_4876 Depth=3
	s_or_saveexec_b32 s31, s31
	v_mov_b32_e32 v13, s30
	s_xor_b32 exec_lo, exec_lo, s31
	s_cbranch_execnz .LBB4_5854
.LBB4_5103:                             ;   in Loop: Header=BB4_4876 Depth=3
	s_or_b32 exec_lo, exec_lo, s31
	s_and_saveexec_b32 s30, s13
	s_cbranch_execz .LBB4_5105
.LBB4_5104:                             ;   in Loop: Header=BB4_4876 Depth=3
	v_bfe_u32 v13, v8, 16, 2
	v_lshlrev_b32_e32 v144, 8, v8
	s_delay_alu instid0(VALU_DEP_2) | instskip(NEXT) | instid1(VALU_DEP_1)
	v_clz_i32_u32_e32 v14, v13
	v_min_u32_e32 v14, 32, v14
	s_delay_alu instid0(VALU_DEP_1) | instskip(SKIP_1) | instid1(VALU_DEP_2)
	v_subrev_nc_u32_e32 v15, 29, v14
	v_sub_nc_u32_e32 v14, 30, v14
	v_lshlrev_b32_e32 v12, v15, v12
	v_bfe_u32 v15, v8, 18, 5
	s_delay_alu instid0(VALU_DEP_2) | instskip(NEXT) | instid1(VALU_DEP_2)
	v_and_b32_e32 v12, 3, v12
	v_cmp_eq_u32_e32 vcc_lo, 0, v15
	v_cndmask_b32_e32 v14, v15, v14, vcc_lo
	s_delay_alu instid0(VALU_DEP_3) | instskip(SKIP_1) | instid1(VALU_DEP_3)
	v_cndmask_b32_e32 v12, v13, v12, vcc_lo
	v_and_b32_e32 v13, 0x80000000, v144
	v_lshl_add_u32 v14, v14, 23, 0x37800000
	s_delay_alu instid0(VALU_DEP_3) | instskip(NEXT) | instid1(VALU_DEP_1)
	v_lshlrev_b32_e32 v12, 21, v12
	v_or3_b32 v13, v13, v14, v12
.LBB4_5105:                             ;   in Loop: Header=BB4_4876 Depth=3
	s_or_b32 exec_lo, exec_lo, s30
	s_delay_alu instid0(VALU_DEP_1) | instskip(SKIP_2) | instid1(VALU_DEP_2)
	v_mul_f32_e32 v12, s17, v13
	v_mov_b32_e32 v166, 0x80
	s_mov_b32 s30, exec_lo
	v_and_b32_e32 v13, 0x7f800000, v12
	s_delay_alu instid0(VALU_DEP_1)
	v_cmpx_ne_u32_e32 0x7f800000, v13
	s_cbranch_execz .LBB4_5113
; %bb.5106:                             ;   in Loop: Header=BB4_4876 Depth=3
	v_mov_b32_e32 v166, 0
	s_mov_b32 s31, exec_lo
	v_cmpx_ne_u32_e32 0, v12
	s_cbranch_execz .LBB4_5112
; %bb.5107:                             ;   in Loop: Header=BB4_4876 Depth=3
	v_bfe_u32 v13, v12, 23, 8
	s_delay_alu instid0(VALU_DEP_1) | instskip(SKIP_1) | instid1(VALU_DEP_2)
	v_sub_nc_u32_e32 v15, 0x70, v13
	v_cmp_gt_u32_e32 vcc_lo, 0x71, v13
	v_dual_cndmask_b32 v15, 0, v15 :: v_dual_and_b32 v14, 0x7fffff, v12
	s_delay_alu instid0(VALU_DEP_1) | instskip(SKIP_2) | instid1(VALU_DEP_4)
	v_or_b32_e32 v144, 0x800000, v14
	v_cmp_eq_u32_e32 vcc_lo, 0, v13
	v_add_nc_u32_e32 v13, 0xffffff91, v13
	v_cndmask_b32_e64 v15, v15, 0x6f, vcc_lo
	s_delay_alu instid0(VALU_DEP_4) | instskip(NEXT) | instid1(VALU_DEP_3)
	v_cndmask_b32_e32 v14, v144, v14, vcc_lo
	v_cndmask_b32_e64 v13, v13, 0xffffff92, vcc_lo
	s_delay_alu instid0(VALU_DEP_3) | instskip(NEXT) | instid1(VALU_DEP_3)
	v_lshl_add_u32 v144, 0x200000, v15, -1
	v_lshrrev_b32_e32 v145, v15, v14
	v_lshlrev_b32_e64 v148, v15, 0x100000
	s_delay_alu instid0(VALU_DEP_4) | instskip(NEXT) | instid1(VALU_DEP_4)
	v_add_nc_u32_e32 v15, v15, v13
	v_and_b32_e32 v14, v144, v14
	s_delay_alu instid0(VALU_DEP_4) | instskip(NEXT) | instid1(VALU_DEP_2)
	v_bfe_u32 v146, v145, 21, 1
	v_cmp_eq_u32_e64 s13, v14, v148
	s_delay_alu instid0(VALU_DEP_2) | instskip(NEXT) | instid1(VALU_DEP_1)
	v_add_nc_u32_e32 v144, -1, v146
	v_cndmask_b32_e64 v14, 0, v144, s13
	v_lshrrev_b32_e32 v144, 23, v145
	s_mov_b32 s13, exec_lo
	s_delay_alu instid0(VALU_DEP_2) | instskip(NEXT) | instid1(VALU_DEP_2)
	v_add_nc_u32_e32 v14, v14, v145
	v_xor_b32_e32 v144, 1, v144
	s_delay_alu instid0(VALU_DEP_2) | instskip(NEXT) | instid1(VALU_DEP_1)
	v_and_b32_e32 v13, 0x1fffff, v14
	v_add_nc_u32_e32 v14, v13, v145
                                        ; implicit-def: $vgpr13
	s_delay_alu instid0(VALU_DEP_3)
	v_cmpx_ne_u32_e64 v15, v144
	s_xor_b32 s13, exec_lo, s13
; %bb.5108:                             ;   in Loop: Header=BB4_4876 Depth=3
	s_delay_alu instid0(VALU_DEP_2) | instskip(SKIP_2) | instid1(VALU_DEP_2)
	v_cmp_lt_u32_e32 vcc_lo, 0xffffff, v14
	v_sub_nc_u32_e32 v13, v15, v144
	v_cndmask_b32_e64 v15, 0, 1, vcc_lo
	v_add_co_ci_u32_e32 v13, vcc_lo, 0, v13, vcc_lo
	s_delay_alu instid0(VALU_DEP_2)
	v_lshrrev_b32_e32 v14, v15, v14
; %bb.5109:                             ;   in Loop: Header=BB4_4876 Depth=3
	s_and_not1_saveexec_b32 s13, s13
; %bb.5110:                             ;   in Loop: Header=BB4_4876 Depth=3
	s_delay_alu instid0(VALU_DEP_1)
	v_bfe_u32 v13, v14, 23, 1
; %bb.5111:                             ;   in Loop: Header=BB4_4876 Depth=3
	s_or_b32 exec_lo, exec_lo, s13
	v_lshrrev_b32_e32 v14, 21, v14
	s_delay_alu instid0(VALU_DEP_2) | instskip(SKIP_2) | instid1(VALU_DEP_4)
	v_cmp_gt_i32_e32 vcc_lo, 32, v13
	v_lshrrev_b32_e32 v12, 24, v12
	v_min_i32_e32 v15, 31, v13
	v_cndmask_b32_e32 v14, 3, v14, vcc_lo
	s_delay_alu instid0(VALU_DEP_3) | instskip(NEXT) | instid1(VALU_DEP_3)
	v_and_b32_e32 v12, 0x80, v12
	v_lshlrev_b32_e32 v15, 2, v15
	s_delay_alu instid0(VALU_DEP_3) | instskip(SKIP_1) | instid1(VALU_DEP_2)
	v_and_b32_e32 v144, 3, v14
	v_or_b32_e32 v13, v13, v14
	v_or3_b32 v12, v15, v12, v144
	s_delay_alu instid0(VALU_DEP_2) | instskip(NEXT) | instid1(VALU_DEP_2)
	v_cmp_ne_u32_e32 vcc_lo, 0, v13
	v_cndmask_b32_e32 v166, 0, v12, vcc_lo
.LBB4_5112:                             ;   in Loop: Header=BB4_4876 Depth=3
	s_or_b32 exec_lo, exec_lo, s31
.LBB4_5113:                             ;   in Loop: Header=BB4_4876 Depth=3
	s_delay_alu instid0(SALU_CYCLE_1) | instskip(SKIP_3) | instid1(VALU_DEP_1)
	s_or_b32 exec_lo, exec_lo, s30
	v_lshrrev_b32_e32 v12, 24, v8
	s_mov_b32 s13, 0
	s_mov_b32 s31, exec_lo
                                        ; implicit-def: $sgpr30
	v_cmpx_lt_i16_e32 0x7f, v12
	s_xor_b32 s31, exec_lo, s31
	s_cbranch_execnz .LBB4_5855
; %bb.5114:                             ;   in Loop: Header=BB4_4876 Depth=3
	s_or_saveexec_b32 s31, s31
	v_mov_b32_e32 v13, s30
	s_xor_b32 exec_lo, exec_lo, s31
	s_cbranch_execnz .LBB4_5858
.LBB4_5115:                             ;   in Loop: Header=BB4_4876 Depth=3
	s_or_b32 exec_lo, exec_lo, s31
	s_and_saveexec_b32 s30, s13
	s_cbranch_execz .LBB4_5117
.LBB4_5116:                             ;   in Loop: Header=BB4_4876 Depth=3
	v_bfe_u32 v13, v8, 24, 2
	s_delay_alu instid0(VALU_DEP_1) | instskip(NEXT) | instid1(VALU_DEP_1)
	v_clz_i32_u32_e32 v14, v13
	v_min_u32_e32 v14, 32, v14
	s_delay_alu instid0(VALU_DEP_1) | instskip(SKIP_1) | instid1(VALU_DEP_2)
	v_subrev_nc_u32_e32 v15, 29, v14
	v_sub_nc_u32_e32 v14, 30, v14
	v_lshlrev_b32_e32 v12, v15, v12
	v_bfe_u32 v15, v8, 26, 5
	v_and_b32_e32 v8, 0x80000000, v8
	s_delay_alu instid0(VALU_DEP_3) | instskip(NEXT) | instid1(VALU_DEP_3)
	v_and_b32_e32 v12, 3, v12
	v_cmp_eq_u32_e32 vcc_lo, 0, v15
	v_cndmask_b32_e32 v14, v15, v14, vcc_lo
	s_delay_alu instid0(VALU_DEP_3) | instskip(NEXT) | instid1(VALU_DEP_2)
	v_cndmask_b32_e32 v12, v13, v12, vcc_lo
	v_lshl_add_u32 v13, v14, 23, 0x37800000
	s_delay_alu instid0(VALU_DEP_2) | instskip(NEXT) | instid1(VALU_DEP_1)
	v_lshlrev_b32_e32 v12, 21, v12
	v_or3_b32 v13, v8, v13, v12
.LBB4_5117:                             ;   in Loop: Header=BB4_4876 Depth=3
	s_or_b32 exec_lo, exec_lo, s30
	s_delay_alu instid0(VALU_DEP_1) | instskip(SKIP_2) | instid1(VALU_DEP_2)
	v_mul_f32_e32 v8, s17, v13
	v_mov_b32_e32 v164, 0x80
	s_mov_b32 s30, exec_lo
	v_and_b32_e32 v12, 0x7f800000, v8
	s_delay_alu instid0(VALU_DEP_1)
	v_cmpx_ne_u32_e32 0x7f800000, v12
	s_cbranch_execz .LBB4_5125
; %bb.5118:                             ;   in Loop: Header=BB4_4876 Depth=3
	v_mov_b32_e32 v164, 0
	s_mov_b32 s31, exec_lo
	v_cmpx_ne_u32_e32 0, v8
	s_cbranch_execz .LBB4_5124
; %bb.5119:                             ;   in Loop: Header=BB4_4876 Depth=3
	v_bfe_u32 v12, v8, 23, 8
	s_delay_alu instid0(VALU_DEP_1) | instskip(SKIP_1) | instid1(VALU_DEP_2)
	v_sub_nc_u32_e32 v14, 0x70, v12
	v_cmp_gt_u32_e32 vcc_lo, 0x71, v12
	v_dual_cndmask_b32 v14, 0, v14 :: v_dual_and_b32 v13, 0x7fffff, v8
	s_delay_alu instid0(VALU_DEP_1) | instskip(SKIP_2) | instid1(VALU_DEP_4)
	v_or_b32_e32 v15, 0x800000, v13
	v_cmp_eq_u32_e32 vcc_lo, 0, v12
	v_add_nc_u32_e32 v12, 0xffffff91, v12
	v_cndmask_b32_e64 v14, v14, 0x6f, vcc_lo
	s_delay_alu instid0(VALU_DEP_4) | instskip(NEXT) | instid1(VALU_DEP_3)
	v_cndmask_b32_e32 v13, v15, v13, vcc_lo
	v_cndmask_b32_e64 v12, v12, 0xffffff92, vcc_lo
	s_delay_alu instid0(VALU_DEP_3) | instskip(NEXT) | instid1(VALU_DEP_3)
	v_lshl_add_u32 v15, 0x200000, v14, -1
	v_lshrrev_b32_e32 v144, v14, v13
	v_lshlrev_b32_e64 v146, v14, 0x100000
	s_delay_alu instid0(VALU_DEP_4) | instskip(NEXT) | instid1(VALU_DEP_4)
	v_add_nc_u32_e32 v14, v14, v12
	v_and_b32_e32 v13, v15, v13
	s_delay_alu instid0(VALU_DEP_4) | instskip(NEXT) | instid1(VALU_DEP_2)
	v_bfe_u32 v145, v144, 21, 1
	v_cmp_eq_u32_e64 s13, v13, v146
	s_delay_alu instid0(VALU_DEP_2) | instskip(NEXT) | instid1(VALU_DEP_1)
	v_add_nc_u32_e32 v15, -1, v145
	v_cndmask_b32_e64 v13, 0, v15, s13
	v_lshrrev_b32_e32 v15, 23, v144
	s_mov_b32 s13, exec_lo
	s_delay_alu instid0(VALU_DEP_2) | instskip(NEXT) | instid1(VALU_DEP_2)
	v_add_nc_u32_e32 v13, v13, v144
	v_xor_b32_e32 v15, 1, v15
	s_delay_alu instid0(VALU_DEP_2) | instskip(NEXT) | instid1(VALU_DEP_1)
	v_and_b32_e32 v12, 0x1fffff, v13
	v_add_nc_u32_e32 v13, v12, v144
                                        ; implicit-def: $vgpr12
	s_delay_alu instid0(VALU_DEP_3)
	v_cmpx_ne_u32_e64 v14, v15
	s_xor_b32 s13, exec_lo, s13
; %bb.5120:                             ;   in Loop: Header=BB4_4876 Depth=3
	s_delay_alu instid0(VALU_DEP_2) | instskip(SKIP_2) | instid1(VALU_DEP_2)
	v_cmp_lt_u32_e32 vcc_lo, 0xffffff, v13
	v_sub_nc_u32_e32 v12, v14, v15
	v_cndmask_b32_e64 v14, 0, 1, vcc_lo
	v_add_co_ci_u32_e32 v12, vcc_lo, 0, v12, vcc_lo
	s_delay_alu instid0(VALU_DEP_2)
	v_lshrrev_b32_e32 v13, v14, v13
; %bb.5121:                             ;   in Loop: Header=BB4_4876 Depth=3
	s_and_not1_saveexec_b32 s13, s13
; %bb.5122:                             ;   in Loop: Header=BB4_4876 Depth=3
	s_delay_alu instid0(VALU_DEP_1)
	v_bfe_u32 v12, v13, 23, 1
; %bb.5123:                             ;   in Loop: Header=BB4_4876 Depth=3
	s_or_b32 exec_lo, exec_lo, s13
	v_lshrrev_b32_e32 v13, 21, v13
	s_delay_alu instid0(VALU_DEP_2) | instskip(SKIP_2) | instid1(VALU_DEP_2)
	v_cmp_gt_i32_e32 vcc_lo, 32, v12
	v_lshrrev_b32_e32 v8, 24, v8
	v_min_i32_e32 v14, 31, v12
	v_dual_cndmask_b32 v13, 3, v13 :: v_dual_and_b32 v8, 0x80, v8
	s_delay_alu instid0(VALU_DEP_2) | instskip(NEXT) | instid1(VALU_DEP_2)
	v_lshlrev_b32_e32 v14, 2, v14
	v_or_b32_e32 v12, v12, v13
	s_delay_alu instid0(VALU_DEP_1) | instskip(SKIP_1) | instid1(VALU_DEP_1)
	v_cmp_ne_u32_e32 vcc_lo, 0, v12
	v_and_b32_e32 v15, 3, v13
	v_or3_b32 v8, v14, v8, v15
	s_delay_alu instid0(VALU_DEP_1)
	v_cndmask_b32_e32 v164, 0, v8, vcc_lo
.LBB4_5124:                             ;   in Loop: Header=BB4_4876 Depth=3
	s_or_b32 exec_lo, exec_lo, s31
.LBB4_5125:                             ;   in Loop: Header=BB4_4876 Depth=3
	s_delay_alu instid0(SALU_CYCLE_1) | instskip(SKIP_3) | instid1(VALU_DEP_1)
	s_or_b32 exec_lo, exec_lo, s30
	v_and_b32_e32 v12, 0xff, v9
	s_mov_b32 s13, 0
	s_mov_b32 s31, exec_lo
                                        ; implicit-def: $sgpr30
	v_cmpx_lt_i16_e32 0x7f, v12
	s_xor_b32 s31, exec_lo, s31
	s_cbranch_execnz .LBB4_5859
; %bb.5126:                             ;   in Loop: Header=BB4_4876 Depth=3
	s_or_saveexec_b32 s31, s31
	v_mov_b32_e32 v8, s30
	s_xor_b32 exec_lo, exec_lo, s31
	s_cbranch_execnz .LBB4_5862
.LBB4_5127:                             ;   in Loop: Header=BB4_4876 Depth=3
	s_or_b32 exec_lo, exec_lo, s31
	s_and_saveexec_b32 s30, s13
	s_cbranch_execz .LBB4_5129
.LBB4_5128:                             ;   in Loop: Header=BB4_4876 Depth=3
	v_and_b32_e32 v8, 3, v9
	v_bfe_u32 v14, v9, 2, 5
	v_lshlrev_b32_e32 v15, 24, v9
	s_delay_alu instid0(VALU_DEP_3) | instskip(NEXT) | instid1(VALU_DEP_3)
	v_clz_i32_u32_e32 v12, v8
	v_cmp_eq_u32_e32 vcc_lo, 0, v14
	s_delay_alu instid0(VALU_DEP_2) | instskip(NEXT) | instid1(VALU_DEP_1)
	v_min_u32_e32 v12, 32, v12
	v_subrev_nc_u32_e32 v13, 29, v12
	v_sub_nc_u32_e32 v12, 30, v12
	s_delay_alu instid0(VALU_DEP_1) | instskip(NEXT) | instid1(VALU_DEP_1)
	v_dual_cndmask_b32 v12, v14, v12 :: v_dual_lshlrev_b32 v13, v13, v9
	v_and_b32_e32 v13, 3, v13
	s_delay_alu instid0(VALU_DEP_2) | instskip(NEXT) | instid1(VALU_DEP_2)
	v_lshl_add_u32 v12, v12, 23, 0x37800000
	v_dual_cndmask_b32 v8, v8, v13 :: v_dual_and_b32 v13, 0x80000000, v15
	s_delay_alu instid0(VALU_DEP_1) | instskip(NEXT) | instid1(VALU_DEP_1)
	v_lshlrev_b32_e32 v8, 21, v8
	v_or3_b32 v8, v13, v12, v8
.LBB4_5129:                             ;   in Loop: Header=BB4_4876 Depth=3
	s_or_b32 exec_lo, exec_lo, s30
	s_delay_alu instid0(VALU_DEP_1) | instskip(SKIP_1) | instid1(VALU_DEP_1)
	v_dual_mul_f32 v8, s17, v8 :: v_dual_mov_b32 v163, 0x80
	s_mov_b32 s30, exec_lo
	v_and_b32_e32 v12, 0x7f800000, v8
	s_delay_alu instid0(VALU_DEP_1)
	v_cmpx_ne_u32_e32 0x7f800000, v12
	s_cbranch_execz .LBB4_5137
; %bb.5130:                             ;   in Loop: Header=BB4_4876 Depth=3
	v_mov_b32_e32 v163, 0
	s_mov_b32 s31, exec_lo
	v_cmpx_ne_u32_e32 0, v8
	s_cbranch_execz .LBB4_5136
; %bb.5131:                             ;   in Loop: Header=BB4_4876 Depth=3
	v_bfe_u32 v12, v8, 23, 8
	s_delay_alu instid0(VALU_DEP_1) | instskip(SKIP_1) | instid1(VALU_DEP_2)
	v_sub_nc_u32_e32 v14, 0x70, v12
	v_cmp_gt_u32_e32 vcc_lo, 0x71, v12
	v_dual_cndmask_b32 v14, 0, v14 :: v_dual_and_b32 v13, 0x7fffff, v8
	s_delay_alu instid0(VALU_DEP_1) | instskip(SKIP_2) | instid1(VALU_DEP_4)
	v_or_b32_e32 v15, 0x800000, v13
	v_cmp_eq_u32_e32 vcc_lo, 0, v12
	v_add_nc_u32_e32 v12, 0xffffff91, v12
	v_cndmask_b32_e64 v14, v14, 0x6f, vcc_lo
	s_delay_alu instid0(VALU_DEP_4) | instskip(NEXT) | instid1(VALU_DEP_3)
	v_cndmask_b32_e32 v13, v15, v13, vcc_lo
	v_cndmask_b32_e64 v12, v12, 0xffffff92, vcc_lo
	s_delay_alu instid0(VALU_DEP_3) | instskip(NEXT) | instid1(VALU_DEP_3)
	v_lshl_add_u32 v15, 0x200000, v14, -1
	v_lshrrev_b32_e32 v144, v14, v13
	v_lshlrev_b32_e64 v146, v14, 0x100000
	s_delay_alu instid0(VALU_DEP_4) | instskip(NEXT) | instid1(VALU_DEP_4)
	v_add_nc_u32_e32 v14, v14, v12
	v_and_b32_e32 v13, v15, v13
	s_delay_alu instid0(VALU_DEP_4) | instskip(NEXT) | instid1(VALU_DEP_2)
	v_bfe_u32 v145, v144, 21, 1
	v_cmp_eq_u32_e64 s13, v13, v146
	s_delay_alu instid0(VALU_DEP_2) | instskip(NEXT) | instid1(VALU_DEP_1)
	v_add_nc_u32_e32 v15, -1, v145
	v_cndmask_b32_e64 v13, 0, v15, s13
	v_lshrrev_b32_e32 v15, 23, v144
	s_mov_b32 s13, exec_lo
	s_delay_alu instid0(VALU_DEP_2) | instskip(NEXT) | instid1(VALU_DEP_2)
	v_add_nc_u32_e32 v13, v13, v144
	v_xor_b32_e32 v15, 1, v15
	s_delay_alu instid0(VALU_DEP_2) | instskip(NEXT) | instid1(VALU_DEP_1)
	v_and_b32_e32 v12, 0x1fffff, v13
	v_add_nc_u32_e32 v13, v12, v144
                                        ; implicit-def: $vgpr12
	s_delay_alu instid0(VALU_DEP_3)
	v_cmpx_ne_u32_e64 v14, v15
	s_xor_b32 s13, exec_lo, s13
; %bb.5132:                             ;   in Loop: Header=BB4_4876 Depth=3
	s_delay_alu instid0(VALU_DEP_2) | instskip(SKIP_2) | instid1(VALU_DEP_2)
	v_cmp_lt_u32_e32 vcc_lo, 0xffffff, v13
	v_sub_nc_u32_e32 v12, v14, v15
	v_cndmask_b32_e64 v14, 0, 1, vcc_lo
	v_add_co_ci_u32_e32 v12, vcc_lo, 0, v12, vcc_lo
	s_delay_alu instid0(VALU_DEP_2)
	v_lshrrev_b32_e32 v13, v14, v13
; %bb.5133:                             ;   in Loop: Header=BB4_4876 Depth=3
	s_and_not1_saveexec_b32 s13, s13
; %bb.5134:                             ;   in Loop: Header=BB4_4876 Depth=3
	s_delay_alu instid0(VALU_DEP_1)
	v_bfe_u32 v12, v13, 23, 1
; %bb.5135:                             ;   in Loop: Header=BB4_4876 Depth=3
	s_or_b32 exec_lo, exec_lo, s13
	v_lshrrev_b32_e32 v13, 21, v13
	s_delay_alu instid0(VALU_DEP_2) | instskip(SKIP_2) | instid1(VALU_DEP_2)
	v_cmp_gt_i32_e32 vcc_lo, 32, v12
	v_min_i32_e32 v14, 31, v12
	v_lshrrev_b32_e32 v8, 24, v8
	v_dual_cndmask_b32 v13, 3, v13 :: v_dual_lshlrev_b32 v14, 2, v14
	s_delay_alu instid0(VALU_DEP_2) | instskip(NEXT) | instid1(VALU_DEP_2)
	v_and_b32_e32 v8, 0x80, v8
	v_or_b32_e32 v12, v12, v13
	v_and_b32_e32 v15, 3, v13
	s_delay_alu instid0(VALU_DEP_2) | instskip(SKIP_1) | instid1(VALU_DEP_1)
	v_cmp_ne_u32_e32 vcc_lo, 0, v12
	v_and_b32_e32 v14, 0xfc, v14
	v_or3_b32 v8, v14, v8, v15
	s_delay_alu instid0(VALU_DEP_1)
	v_cndmask_b32_e32 v163, 0, v8, vcc_lo
.LBB4_5136:                             ;   in Loop: Header=BB4_4876 Depth=3
	s_or_b32 exec_lo, exec_lo, s31
.LBB4_5137:                             ;   in Loop: Header=BB4_4876 Depth=3
	s_delay_alu instid0(SALU_CYCLE_1) | instskip(SKIP_3) | instid1(VALU_DEP_1)
	s_or_b32 exec_lo, exec_lo, s30
	v_lshrrev_b16 v8, 8, v9
	s_mov_b32 s13, 0
	s_mov_b32 s31, exec_lo
                                        ; implicit-def: $sgpr30
	v_cmpx_lt_i16_e32 0x7f, v8
	s_xor_b32 s31, exec_lo, s31
	s_cbranch_execnz .LBB4_5863
; %bb.5138:                             ;   in Loop: Header=BB4_4876 Depth=3
	s_or_saveexec_b32 s31, s31
	v_mov_b32_e32 v12, s30
	s_xor_b32 exec_lo, exec_lo, s31
	s_cbranch_execnz .LBB4_5866
.LBB4_5139:                             ;   in Loop: Header=BB4_4876 Depth=3
	s_or_b32 exec_lo, exec_lo, s31
	s_and_saveexec_b32 s30, s13
	s_cbranch_execz .LBB4_5141
.LBB4_5140:                             ;   in Loop: Header=BB4_4876 Depth=3
	v_and_b32_e32 v12, 0xffff, v8
	v_lshlrev_b32_e32 v8, 24, v8
	s_delay_alu instid0(VALU_DEP_2) | instskip(NEXT) | instid1(VALU_DEP_2)
	v_and_b32_e32 v13, 3, v12
	v_and_b32_e32 v8, 0x80000000, v8
	s_delay_alu instid0(VALU_DEP_2) | instskip(NEXT) | instid1(VALU_DEP_1)
	v_clz_i32_u32_e32 v14, v13
	v_min_u32_e32 v14, 32, v14
	s_delay_alu instid0(VALU_DEP_1) | instskip(SKIP_1) | instid1(VALU_DEP_2)
	v_subrev_nc_u32_e32 v15, 29, v14
	v_sub_nc_u32_e32 v14, 30, v14
	v_lshlrev_b32_e32 v15, v15, v12
	v_bfe_u32 v12, v12, 2, 5
	s_delay_alu instid0(VALU_DEP_2) | instskip(NEXT) | instid1(VALU_DEP_2)
	v_and_b32_e32 v15, 3, v15
	v_cmp_eq_u32_e32 vcc_lo, 0, v12
	s_delay_alu instid0(VALU_DEP_2) | instskip(NEXT) | instid1(VALU_DEP_1)
	v_dual_cndmask_b32 v12, v12, v14 :: v_dual_cndmask_b32 v13, v13, v15
	v_lshl_add_u32 v12, v12, 23, 0x37800000
	s_delay_alu instid0(VALU_DEP_2) | instskip(NEXT) | instid1(VALU_DEP_1)
	v_lshlrev_b32_e32 v13, 21, v13
	v_or3_b32 v12, v8, v12, v13
.LBB4_5141:                             ;   in Loop: Header=BB4_4876 Depth=3
	s_or_b32 exec_lo, exec_lo, s30
	s_delay_alu instid0(VALU_DEP_1) | instskip(SKIP_1) | instid1(VALU_DEP_1)
	v_dual_mul_f32 v8, s17, v12 :: v_dual_mov_b32 v177, 0x8000
	s_mov_b32 s30, exec_lo
	v_and_b32_e32 v12, 0x7f800000, v8
	s_delay_alu instid0(VALU_DEP_1)
	v_cmpx_ne_u32_e32 0x7f800000, v12
	s_cbranch_execz .LBB4_5149
; %bb.5142:                             ;   in Loop: Header=BB4_4876 Depth=3
	v_mov_b32_e32 v177, 0
	s_mov_b32 s31, exec_lo
	v_cmpx_ne_u32_e32 0, v8
	s_cbranch_execz .LBB4_5148
; %bb.5143:                             ;   in Loop: Header=BB4_4876 Depth=3
	v_bfe_u32 v12, v8, 23, 8
	s_delay_alu instid0(VALU_DEP_1) | instskip(SKIP_1) | instid1(VALU_DEP_2)
	v_sub_nc_u32_e32 v14, 0x70, v12
	v_cmp_gt_u32_e32 vcc_lo, 0x71, v12
	v_dual_cndmask_b32 v14, 0, v14 :: v_dual_and_b32 v13, 0x7fffff, v8
	s_delay_alu instid0(VALU_DEP_1) | instskip(SKIP_2) | instid1(VALU_DEP_4)
	v_or_b32_e32 v15, 0x800000, v13
	v_cmp_eq_u32_e32 vcc_lo, 0, v12
	v_add_nc_u32_e32 v12, 0xffffff91, v12
	v_cndmask_b32_e64 v14, v14, 0x6f, vcc_lo
	s_delay_alu instid0(VALU_DEP_4) | instskip(NEXT) | instid1(VALU_DEP_3)
	v_cndmask_b32_e32 v13, v15, v13, vcc_lo
	v_cndmask_b32_e64 v12, v12, 0xffffff92, vcc_lo
	s_delay_alu instid0(VALU_DEP_3) | instskip(NEXT) | instid1(VALU_DEP_3)
	v_lshl_add_u32 v15, 0x200000, v14, -1
	v_lshrrev_b32_e32 v144, v14, v13
	v_lshlrev_b32_e64 v146, v14, 0x100000
	s_delay_alu instid0(VALU_DEP_4) | instskip(NEXT) | instid1(VALU_DEP_4)
	v_add_nc_u32_e32 v14, v14, v12
	v_and_b32_e32 v13, v15, v13
	s_delay_alu instid0(VALU_DEP_4) | instskip(NEXT) | instid1(VALU_DEP_2)
	v_bfe_u32 v145, v144, 21, 1
	v_cmp_eq_u32_e64 s13, v13, v146
	s_delay_alu instid0(VALU_DEP_2) | instskip(NEXT) | instid1(VALU_DEP_1)
	v_add_nc_u32_e32 v15, -1, v145
	v_cndmask_b32_e64 v13, 0, v15, s13
	v_lshrrev_b32_e32 v15, 23, v144
	s_mov_b32 s13, exec_lo
	s_delay_alu instid0(VALU_DEP_2) | instskip(NEXT) | instid1(VALU_DEP_2)
	v_add_nc_u32_e32 v13, v13, v144
	v_xor_b32_e32 v15, 1, v15
	s_delay_alu instid0(VALU_DEP_2) | instskip(NEXT) | instid1(VALU_DEP_1)
	v_and_b32_e32 v12, 0x1fffff, v13
	v_add_nc_u32_e32 v13, v12, v144
                                        ; implicit-def: $vgpr12
	s_delay_alu instid0(VALU_DEP_3)
	v_cmpx_ne_u32_e64 v14, v15
	s_xor_b32 s13, exec_lo, s13
; %bb.5144:                             ;   in Loop: Header=BB4_4876 Depth=3
	s_delay_alu instid0(VALU_DEP_2) | instskip(SKIP_2) | instid1(VALU_DEP_2)
	v_cmp_lt_u32_e32 vcc_lo, 0xffffff, v13
	v_sub_nc_u32_e32 v12, v14, v15
	v_cndmask_b32_e64 v14, 0, 1, vcc_lo
	v_add_co_ci_u32_e32 v12, vcc_lo, 0, v12, vcc_lo
	s_delay_alu instid0(VALU_DEP_2)
	v_lshrrev_b32_e32 v13, v14, v13
; %bb.5145:                             ;   in Loop: Header=BB4_4876 Depth=3
	s_and_not1_saveexec_b32 s13, s13
; %bb.5146:                             ;   in Loop: Header=BB4_4876 Depth=3
	s_delay_alu instid0(VALU_DEP_1)
	v_bfe_u32 v12, v13, 23, 1
; %bb.5147:                             ;   in Loop: Header=BB4_4876 Depth=3
	s_or_b32 exec_lo, exec_lo, s13
	v_lshrrev_b32_e32 v13, 21, v13
	s_delay_alu instid0(VALU_DEP_2) | instskip(SKIP_2) | instid1(VALU_DEP_2)
	v_cmp_gt_i32_e32 vcc_lo, 32, v12
	v_min_i32_e32 v14, 31, v12
	v_lshrrev_b32_e32 v8, 24, v8
	v_dual_cndmask_b32 v13, 3, v13 :: v_dual_lshlrev_b32 v14, 2, v14
	s_delay_alu instid0(VALU_DEP_2) | instskip(NEXT) | instid1(VALU_DEP_2)
	v_and_b32_e32 v8, 0x80, v8
	v_or_b32_e32 v12, v12, v13
	v_and_b32_e32 v15, 3, v13
	s_delay_alu instid0(VALU_DEP_2) | instskip(SKIP_1) | instid1(VALU_DEP_1)
	v_cmp_ne_u32_e32 vcc_lo, 0, v12
	v_and_b32_e32 v14, 0xfc, v14
	v_or3_b32 v8, v8, v14, v15
	s_delay_alu instid0(VALU_DEP_1) | instskip(NEXT) | instid1(VALU_DEP_1)
	v_lshlrev_b32_e32 v8, 8, v8
	v_cndmask_b32_e32 v177, 0, v8, vcc_lo
.LBB4_5148:                             ;   in Loop: Header=BB4_4876 Depth=3
	s_or_b32 exec_lo, exec_lo, s31
.LBB4_5149:                             ;   in Loop: Header=BB4_4876 Depth=3
	s_delay_alu instid0(SALU_CYCLE_1) | instskip(SKIP_3) | instid1(VALU_DEP_1)
	s_or_b32 exec_lo, exec_lo, s30
	v_lshrrev_b32_e32 v8, 16, v9
	s_mov_b32 s13, 0
	s_mov_b32 s31, exec_lo
                                        ; implicit-def: $sgpr30
	v_and_b32_e32 v13, 0xff, v8
	s_delay_alu instid0(VALU_DEP_1)
	v_cmpx_lt_i16_e32 0x7f, v13
	s_xor_b32 s31, exec_lo, s31
	s_cbranch_execnz .LBB4_5867
; %bb.5150:                             ;   in Loop: Header=BB4_4876 Depth=3
	s_or_saveexec_b32 s31, s31
	v_mov_b32_e32 v12, s30
	s_xor_b32 exec_lo, exec_lo, s31
	s_cbranch_execnz .LBB4_5870
.LBB4_5151:                             ;   in Loop: Header=BB4_4876 Depth=3
	s_or_b32 exec_lo, exec_lo, s31
	s_and_saveexec_b32 s30, s13
	s_cbranch_execz .LBB4_5153
.LBB4_5152:                             ;   in Loop: Header=BB4_4876 Depth=3
	v_bfe_u32 v12, v9, 16, 2
	s_delay_alu instid0(VALU_DEP_1) | instskip(NEXT) | instid1(VALU_DEP_1)
	v_clz_i32_u32_e32 v13, v12
	v_min_u32_e32 v13, 32, v13
	s_delay_alu instid0(VALU_DEP_1) | instskip(SKIP_1) | instid1(VALU_DEP_2)
	v_subrev_nc_u32_e32 v14, 29, v13
	v_sub_nc_u32_e32 v13, 30, v13
	v_lshlrev_b32_e32 v8, v14, v8
	v_bfe_u32 v14, v9, 18, 5
	s_delay_alu instid0(VALU_DEP_1) | instskip(NEXT) | instid1(VALU_DEP_3)
	v_cmp_eq_u32_e32 vcc_lo, 0, v14
	v_dual_cndmask_b32 v13, v14, v13 :: v_dual_and_b32 v8, 3, v8
	s_delay_alu instid0(VALU_DEP_1) | instskip(NEXT) | instid1(VALU_DEP_2)
	v_dual_cndmask_b32 v8, v12, v8 :: v_dual_lshlrev_b32 v15, 8, v9
	v_lshl_add_u32 v13, v13, 23, 0x37800000
	s_delay_alu instid0(VALU_DEP_2) | instskip(NEXT) | instid1(VALU_DEP_3)
	v_and_b32_e32 v12, 0x80000000, v15
	v_lshlrev_b32_e32 v8, 21, v8
	s_delay_alu instid0(VALU_DEP_1)
	v_or3_b32 v12, v12, v13, v8
.LBB4_5153:                             ;   in Loop: Header=BB4_4876 Depth=3
	s_or_b32 exec_lo, exec_lo, s30
	s_delay_alu instid0(VALU_DEP_1) | instskip(SKIP_2) | instid1(VALU_DEP_2)
	v_mul_f32_e32 v8, s17, v12
	v_mov_b32_e32 v162, 0x80
	s_mov_b32 s30, exec_lo
	v_and_b32_e32 v12, 0x7f800000, v8
	s_delay_alu instid0(VALU_DEP_1)
	v_cmpx_ne_u32_e32 0x7f800000, v12
	s_cbranch_execz .LBB4_5161
; %bb.5154:                             ;   in Loop: Header=BB4_4876 Depth=3
	v_mov_b32_e32 v162, 0
	s_mov_b32 s31, exec_lo
	v_cmpx_ne_u32_e32 0, v8
	s_cbranch_execz .LBB4_5160
; %bb.5155:                             ;   in Loop: Header=BB4_4876 Depth=3
	v_bfe_u32 v12, v8, 23, 8
	s_delay_alu instid0(VALU_DEP_1) | instskip(SKIP_1) | instid1(VALU_DEP_2)
	v_sub_nc_u32_e32 v14, 0x70, v12
	v_cmp_gt_u32_e32 vcc_lo, 0x71, v12
	v_dual_cndmask_b32 v14, 0, v14 :: v_dual_and_b32 v13, 0x7fffff, v8
	s_delay_alu instid0(VALU_DEP_1) | instskip(SKIP_2) | instid1(VALU_DEP_4)
	v_or_b32_e32 v15, 0x800000, v13
	v_cmp_eq_u32_e32 vcc_lo, 0, v12
	v_add_nc_u32_e32 v12, 0xffffff91, v12
	v_cndmask_b32_e64 v14, v14, 0x6f, vcc_lo
	s_delay_alu instid0(VALU_DEP_4) | instskip(NEXT) | instid1(VALU_DEP_3)
	v_cndmask_b32_e32 v13, v15, v13, vcc_lo
	v_cndmask_b32_e64 v12, v12, 0xffffff92, vcc_lo
	s_delay_alu instid0(VALU_DEP_3) | instskip(NEXT) | instid1(VALU_DEP_3)
	v_lshl_add_u32 v15, 0x200000, v14, -1
	v_lshrrev_b32_e32 v144, v14, v13
	v_lshlrev_b32_e64 v146, v14, 0x100000
	s_delay_alu instid0(VALU_DEP_4) | instskip(NEXT) | instid1(VALU_DEP_4)
	v_add_nc_u32_e32 v14, v14, v12
	v_and_b32_e32 v13, v15, v13
	s_delay_alu instid0(VALU_DEP_4) | instskip(NEXT) | instid1(VALU_DEP_2)
	v_bfe_u32 v145, v144, 21, 1
	v_cmp_eq_u32_e64 s13, v13, v146
	s_delay_alu instid0(VALU_DEP_2) | instskip(NEXT) | instid1(VALU_DEP_1)
	v_add_nc_u32_e32 v15, -1, v145
	v_cndmask_b32_e64 v13, 0, v15, s13
	v_lshrrev_b32_e32 v15, 23, v144
	s_mov_b32 s13, exec_lo
	s_delay_alu instid0(VALU_DEP_2) | instskip(NEXT) | instid1(VALU_DEP_2)
	v_add_nc_u32_e32 v13, v13, v144
	v_xor_b32_e32 v15, 1, v15
	s_delay_alu instid0(VALU_DEP_2) | instskip(NEXT) | instid1(VALU_DEP_1)
	v_and_b32_e32 v12, 0x1fffff, v13
	v_add_nc_u32_e32 v13, v12, v144
                                        ; implicit-def: $vgpr12
	s_delay_alu instid0(VALU_DEP_3)
	v_cmpx_ne_u32_e64 v14, v15
	s_xor_b32 s13, exec_lo, s13
; %bb.5156:                             ;   in Loop: Header=BB4_4876 Depth=3
	s_delay_alu instid0(VALU_DEP_2) | instskip(SKIP_2) | instid1(VALU_DEP_2)
	v_cmp_lt_u32_e32 vcc_lo, 0xffffff, v13
	v_sub_nc_u32_e32 v12, v14, v15
	v_cndmask_b32_e64 v14, 0, 1, vcc_lo
	v_add_co_ci_u32_e32 v12, vcc_lo, 0, v12, vcc_lo
	s_delay_alu instid0(VALU_DEP_2)
	v_lshrrev_b32_e32 v13, v14, v13
; %bb.5157:                             ;   in Loop: Header=BB4_4876 Depth=3
	s_and_not1_saveexec_b32 s13, s13
; %bb.5158:                             ;   in Loop: Header=BB4_4876 Depth=3
	s_delay_alu instid0(VALU_DEP_1)
	v_bfe_u32 v12, v13, 23, 1
; %bb.5159:                             ;   in Loop: Header=BB4_4876 Depth=3
	s_or_b32 exec_lo, exec_lo, s13
	v_lshrrev_b32_e32 v13, 21, v13
	s_delay_alu instid0(VALU_DEP_2) | instskip(SKIP_2) | instid1(VALU_DEP_2)
	v_cmp_gt_i32_e32 vcc_lo, 32, v12
	v_min_i32_e32 v14, 31, v12
	v_lshrrev_b32_e32 v8, 24, v8
	v_dual_cndmask_b32 v13, 3, v13 :: v_dual_lshlrev_b32 v14, 2, v14
	s_delay_alu instid0(VALU_DEP_2) | instskip(NEXT) | instid1(VALU_DEP_2)
	v_and_b32_e32 v8, 0x80, v8
	v_or_b32_e32 v12, v12, v13
	s_delay_alu instid0(VALU_DEP_3) | instskip(NEXT) | instid1(VALU_DEP_2)
	v_and_b32_e32 v14, 0xfc, v14
	v_cmp_ne_u32_e32 vcc_lo, 0, v12
	v_and_b32_e32 v15, 3, v13
	s_delay_alu instid0(VALU_DEP_1) | instskip(NEXT) | instid1(VALU_DEP_1)
	v_or3_b32 v8, v14, v8, v15
	v_cndmask_b32_e32 v162, 0, v8, vcc_lo
.LBB4_5160:                             ;   in Loop: Header=BB4_4876 Depth=3
	s_or_b32 exec_lo, exec_lo, s31
.LBB4_5161:                             ;   in Loop: Header=BB4_4876 Depth=3
	s_delay_alu instid0(SALU_CYCLE_1) | instskip(SKIP_3) | instid1(VALU_DEP_1)
	s_or_b32 exec_lo, exec_lo, s30
	v_lshrrev_b32_e32 v8, 24, v9
	s_mov_b32 s13, 0
	s_mov_b32 s31, exec_lo
                                        ; implicit-def: $sgpr30
	v_cmpx_lt_i16_e32 0x7f, v8
	s_xor_b32 s31, exec_lo, s31
	s_cbranch_execnz .LBB4_5871
; %bb.5162:                             ;   in Loop: Header=BB4_4876 Depth=3
	s_or_saveexec_b32 s31, s31
	v_mov_b32_e32 v12, s30
	s_xor_b32 exec_lo, exec_lo, s31
	s_cbranch_execnz .LBB4_5874
.LBB4_5163:                             ;   in Loop: Header=BB4_4876 Depth=3
	s_or_b32 exec_lo, exec_lo, s31
	s_and_saveexec_b32 s30, s13
	s_cbranch_execz .LBB4_5165
.LBB4_5164:                             ;   in Loop: Header=BB4_4876 Depth=3
	v_bfe_u32 v12, v9, 24, 2
	s_delay_alu instid0(VALU_DEP_1) | instskip(NEXT) | instid1(VALU_DEP_1)
	v_clz_i32_u32_e32 v13, v12
	v_min_u32_e32 v13, 32, v13
	s_delay_alu instid0(VALU_DEP_1) | instskip(SKIP_1) | instid1(VALU_DEP_2)
	v_subrev_nc_u32_e32 v14, 29, v13
	v_sub_nc_u32_e32 v13, 30, v13
	v_lshlrev_b32_e32 v8, v14, v8
	v_bfe_u32 v14, v9, 26, 5
	v_and_b32_e32 v9, 0x80000000, v9
	s_delay_alu instid0(VALU_DEP_2) | instskip(NEXT) | instid1(VALU_DEP_4)
	v_cmp_eq_u32_e32 vcc_lo, 0, v14
	v_dual_cndmask_b32 v13, v14, v13 :: v_dual_and_b32 v8, 3, v8
	s_delay_alu instid0(VALU_DEP_1) | instskip(NEXT) | instid1(VALU_DEP_2)
	v_cndmask_b32_e32 v8, v12, v8, vcc_lo
	v_lshl_add_u32 v12, v13, 23, 0x37800000
	s_delay_alu instid0(VALU_DEP_2) | instskip(NEXT) | instid1(VALU_DEP_1)
	v_lshlrev_b32_e32 v8, 21, v8
	v_or3_b32 v12, v9, v12, v8
.LBB4_5165:                             ;   in Loop: Header=BB4_4876 Depth=3
	s_or_b32 exec_lo, exec_lo, s30
	s_delay_alu instid0(VALU_DEP_1) | instskip(SKIP_1) | instid1(VALU_DEP_1)
	v_dual_mul_f32 v8, s17, v12 :: v_dual_mov_b32 v165, 0x8000
	s_mov_b32 s30, exec_lo
	v_and_b32_e32 v9, 0x7f800000, v8
	s_delay_alu instid0(VALU_DEP_1)
	v_cmpx_ne_u32_e32 0x7f800000, v9
	s_cbranch_execz .LBB4_5173
; %bb.5166:                             ;   in Loop: Header=BB4_4876 Depth=3
	v_mov_b32_e32 v165, 0
	s_mov_b32 s31, exec_lo
	v_cmpx_ne_u32_e32 0, v8
	s_cbranch_execz .LBB4_5172
; %bb.5167:                             ;   in Loop: Header=BB4_4876 Depth=3
	v_bfe_u32 v9, v8, 23, 8
	s_delay_alu instid0(VALU_DEP_1) | instskip(SKIP_1) | instid1(VALU_DEP_2)
	v_sub_nc_u32_e32 v13, 0x70, v9
	v_cmp_gt_u32_e32 vcc_lo, 0x71, v9
	v_dual_cndmask_b32 v13, 0, v13 :: v_dual_and_b32 v12, 0x7fffff, v8
	s_delay_alu instid0(VALU_DEP_1) | instskip(SKIP_2) | instid1(VALU_DEP_4)
	v_or_b32_e32 v14, 0x800000, v12
	v_cmp_eq_u32_e32 vcc_lo, 0, v9
	v_add_nc_u32_e32 v9, 0xffffff91, v9
	v_cndmask_b32_e64 v13, v13, 0x6f, vcc_lo
	s_delay_alu instid0(VALU_DEP_4) | instskip(NEXT) | instid1(VALU_DEP_3)
	v_cndmask_b32_e32 v12, v14, v12, vcc_lo
	v_cndmask_b32_e64 v9, v9, 0xffffff92, vcc_lo
	s_delay_alu instid0(VALU_DEP_3) | instskip(NEXT) | instid1(VALU_DEP_3)
	v_lshl_add_u32 v14, 0x200000, v13, -1
	v_lshrrev_b32_e32 v15, v13, v12
	v_lshlrev_b32_e64 v145, v13, 0x100000
	s_delay_alu instid0(VALU_DEP_4) | instskip(NEXT) | instid1(VALU_DEP_4)
	v_add_nc_u32_e32 v13, v13, v9
	v_and_b32_e32 v12, v14, v12
	s_delay_alu instid0(VALU_DEP_4) | instskip(NEXT) | instid1(VALU_DEP_2)
	v_bfe_u32 v144, v15, 21, 1
	v_cmp_eq_u32_e64 s13, v12, v145
	s_delay_alu instid0(VALU_DEP_2) | instskip(NEXT) | instid1(VALU_DEP_1)
	v_add_nc_u32_e32 v14, -1, v144
	v_cndmask_b32_e64 v12, 0, v14, s13
	v_lshrrev_b32_e32 v14, 23, v15
	s_mov_b32 s13, exec_lo
	s_delay_alu instid0(VALU_DEP_2) | instskip(NEXT) | instid1(VALU_DEP_2)
	v_add_nc_u32_e32 v12, v12, v15
	v_xor_b32_e32 v14, 1, v14
	s_delay_alu instid0(VALU_DEP_2) | instskip(NEXT) | instid1(VALU_DEP_1)
	v_and_b32_e32 v9, 0x1fffff, v12
	v_add_nc_u32_e32 v12, v9, v15
                                        ; implicit-def: $vgpr9
	s_delay_alu instid0(VALU_DEP_3)
	v_cmpx_ne_u32_e64 v13, v14
	s_xor_b32 s13, exec_lo, s13
; %bb.5168:                             ;   in Loop: Header=BB4_4876 Depth=3
	s_delay_alu instid0(VALU_DEP_2) | instskip(SKIP_2) | instid1(VALU_DEP_2)
	v_cmp_lt_u32_e32 vcc_lo, 0xffffff, v12
	v_sub_nc_u32_e32 v9, v13, v14
	v_cndmask_b32_e64 v13, 0, 1, vcc_lo
	v_add_co_ci_u32_e32 v9, vcc_lo, 0, v9, vcc_lo
	s_delay_alu instid0(VALU_DEP_2)
	v_lshrrev_b32_e32 v12, v13, v12
; %bb.5169:                             ;   in Loop: Header=BB4_4876 Depth=3
	s_and_not1_saveexec_b32 s13, s13
; %bb.5170:                             ;   in Loop: Header=BB4_4876 Depth=3
	s_delay_alu instid0(VALU_DEP_1)
	v_bfe_u32 v9, v12, 23, 1
; %bb.5171:                             ;   in Loop: Header=BB4_4876 Depth=3
	s_or_b32 exec_lo, exec_lo, s13
	v_lshrrev_b32_e32 v12, 21, v12
	s_delay_alu instid0(VALU_DEP_2) | instskip(SKIP_2) | instid1(VALU_DEP_3)
	v_min_i32_e32 v13, 31, v9
	v_cmp_gt_i32_e32 vcc_lo, 32, v9
	v_lshrrev_b32_e32 v8, 24, v8
	v_dual_cndmask_b32 v12, 3, v12 :: v_dual_lshlrev_b32 v13, 2, v13
	s_delay_alu instid0(VALU_DEP_2) | instskip(NEXT) | instid1(VALU_DEP_2)
	v_and_b32_e32 v8, 0x80, v8
	v_and_b32_e32 v13, 0xfc, v13
	s_delay_alu instid0(VALU_DEP_3) | instskip(SKIP_1) | instid1(VALU_DEP_2)
	v_and_b32_e32 v14, 3, v12
	v_or_b32_e32 v9, v9, v12
	v_or3_b32 v8, v8, v13, v14
	s_delay_alu instid0(VALU_DEP_2) | instskip(NEXT) | instid1(VALU_DEP_2)
	v_cmp_ne_u32_e32 vcc_lo, 0, v9
	v_lshlrev_b32_e32 v8, 8, v8
	s_delay_alu instid0(VALU_DEP_1)
	v_cndmask_b32_e32 v165, 0, v8, vcc_lo
.LBB4_5172:                             ;   in Loop: Header=BB4_4876 Depth=3
	s_or_b32 exec_lo, exec_lo, s31
.LBB4_5173:                             ;   in Loop: Header=BB4_4876 Depth=3
	s_delay_alu instid0(SALU_CYCLE_1) | instskip(SKIP_3) | instid1(VALU_DEP_1)
	s_or_b32 exec_lo, exec_lo, s30
	v_and_b32_e32 v9, 0xff, v10
	s_mov_b32 s13, 0
	s_mov_b32 s31, exec_lo
                                        ; implicit-def: $sgpr30
	v_cmpx_lt_i16_e32 0x7f, v9
	s_xor_b32 s31, exec_lo, s31
	s_cbranch_execnz .LBB4_5875
; %bb.5174:                             ;   in Loop: Header=BB4_4876 Depth=3
	s_or_saveexec_b32 s31, s31
	v_mov_b32_e32 v8, s30
	s_xor_b32 exec_lo, exec_lo, s31
	s_cbranch_execnz .LBB4_5878
.LBB4_5175:                             ;   in Loop: Header=BB4_4876 Depth=3
	s_or_b32 exec_lo, exec_lo, s31
	s_and_saveexec_b32 s30, s13
	s_cbranch_execz .LBB4_5177
.LBB4_5176:                             ;   in Loop: Header=BB4_4876 Depth=3
	v_bfe_u32 v13, v10, 2, 5
	v_lshlrev_b32_e32 v14, 24, v10
	s_delay_alu instid0(VALU_DEP_2) | instskip(SKIP_1) | instid1(VALU_DEP_1)
	v_cmp_eq_u32_e32 vcc_lo, 0, v13
	v_and_b32_e32 v8, 3, v10
	v_clz_i32_u32_e32 v9, v8
	s_delay_alu instid0(VALU_DEP_1) | instskip(NEXT) | instid1(VALU_DEP_1)
	v_min_u32_e32 v9, 32, v9
	v_subrev_nc_u32_e32 v12, 29, v9
	v_sub_nc_u32_e32 v9, 30, v9
	s_delay_alu instid0(VALU_DEP_1) | instskip(NEXT) | instid1(VALU_DEP_1)
	v_dual_cndmask_b32 v9, v13, v9 :: v_dual_lshlrev_b32 v12, v12, v10
	v_and_b32_e32 v12, 3, v12
	s_delay_alu instid0(VALU_DEP_2) | instskip(NEXT) | instid1(VALU_DEP_2)
	v_lshl_add_u32 v9, v9, 23, 0x37800000
	v_cndmask_b32_e32 v8, v8, v12, vcc_lo
	v_and_b32_e32 v12, 0x80000000, v14
	s_delay_alu instid0(VALU_DEP_2) | instskip(NEXT) | instid1(VALU_DEP_1)
	v_lshlrev_b32_e32 v8, 21, v8
	v_or3_b32 v8, v12, v9, v8
.LBB4_5177:                             ;   in Loop: Header=BB4_4876 Depth=3
	s_or_b32 exec_lo, exec_lo, s30
	s_delay_alu instid0(VALU_DEP_1) | instskip(SKIP_2) | instid1(VALU_DEP_2)
	v_mul_f32_e32 v8, s17, v8
	v_mov_b32_e32 v160, 0x80
	s_mov_b32 s30, exec_lo
	v_and_b32_e32 v9, 0x7f800000, v8
	s_delay_alu instid0(VALU_DEP_1)
	v_cmpx_ne_u32_e32 0x7f800000, v9
	s_cbranch_execz .LBB4_5185
; %bb.5178:                             ;   in Loop: Header=BB4_4876 Depth=3
	v_mov_b32_e32 v160, 0
	s_mov_b32 s31, exec_lo
	v_cmpx_ne_u32_e32 0, v8
	s_cbranch_execz .LBB4_5184
; %bb.5179:                             ;   in Loop: Header=BB4_4876 Depth=3
	v_bfe_u32 v9, v8, 23, 8
	s_delay_alu instid0(VALU_DEP_1) | instskip(SKIP_1) | instid1(VALU_DEP_2)
	v_sub_nc_u32_e32 v13, 0x70, v9
	v_cmp_gt_u32_e32 vcc_lo, 0x71, v9
	v_dual_cndmask_b32 v13, 0, v13 :: v_dual_and_b32 v12, 0x7fffff, v8
	s_delay_alu instid0(VALU_DEP_1) | instskip(SKIP_2) | instid1(VALU_DEP_4)
	v_or_b32_e32 v14, 0x800000, v12
	v_cmp_eq_u32_e32 vcc_lo, 0, v9
	v_add_nc_u32_e32 v9, 0xffffff91, v9
	v_cndmask_b32_e64 v13, v13, 0x6f, vcc_lo
	s_delay_alu instid0(VALU_DEP_4) | instskip(NEXT) | instid1(VALU_DEP_3)
	v_cndmask_b32_e32 v12, v14, v12, vcc_lo
	v_cndmask_b32_e64 v9, v9, 0xffffff92, vcc_lo
	s_delay_alu instid0(VALU_DEP_3) | instskip(NEXT) | instid1(VALU_DEP_3)
	v_lshl_add_u32 v14, 0x200000, v13, -1
	v_lshrrev_b32_e32 v15, v13, v12
	v_lshlrev_b32_e64 v145, v13, 0x100000
	s_delay_alu instid0(VALU_DEP_4) | instskip(NEXT) | instid1(VALU_DEP_4)
	v_add_nc_u32_e32 v13, v13, v9
	v_and_b32_e32 v12, v14, v12
	s_delay_alu instid0(VALU_DEP_4) | instskip(NEXT) | instid1(VALU_DEP_2)
	v_bfe_u32 v144, v15, 21, 1
	v_cmp_eq_u32_e64 s13, v12, v145
	s_delay_alu instid0(VALU_DEP_2) | instskip(NEXT) | instid1(VALU_DEP_1)
	v_add_nc_u32_e32 v14, -1, v144
	v_cndmask_b32_e64 v12, 0, v14, s13
	v_lshrrev_b32_e32 v14, 23, v15
	s_mov_b32 s13, exec_lo
	s_delay_alu instid0(VALU_DEP_2) | instskip(NEXT) | instid1(VALU_DEP_2)
	v_add_nc_u32_e32 v12, v12, v15
	v_xor_b32_e32 v14, 1, v14
	s_delay_alu instid0(VALU_DEP_2) | instskip(NEXT) | instid1(VALU_DEP_1)
	v_and_b32_e32 v9, 0x1fffff, v12
	v_add_nc_u32_e32 v12, v9, v15
                                        ; implicit-def: $vgpr9
	s_delay_alu instid0(VALU_DEP_3)
	v_cmpx_ne_u32_e64 v13, v14
	s_xor_b32 s13, exec_lo, s13
; %bb.5180:                             ;   in Loop: Header=BB4_4876 Depth=3
	s_delay_alu instid0(VALU_DEP_2) | instskip(SKIP_2) | instid1(VALU_DEP_2)
	v_cmp_lt_u32_e32 vcc_lo, 0xffffff, v12
	v_sub_nc_u32_e32 v9, v13, v14
	v_cndmask_b32_e64 v13, 0, 1, vcc_lo
	v_add_co_ci_u32_e32 v9, vcc_lo, 0, v9, vcc_lo
	s_delay_alu instid0(VALU_DEP_2)
	v_lshrrev_b32_e32 v12, v13, v12
; %bb.5181:                             ;   in Loop: Header=BB4_4876 Depth=3
	s_and_not1_saveexec_b32 s13, s13
; %bb.5182:                             ;   in Loop: Header=BB4_4876 Depth=3
	s_delay_alu instid0(VALU_DEP_1)
	v_bfe_u32 v9, v12, 23, 1
; %bb.5183:                             ;   in Loop: Header=BB4_4876 Depth=3
	s_or_b32 exec_lo, exec_lo, s13
	v_lshrrev_b32_e32 v12, 21, v12
	s_delay_alu instid0(VALU_DEP_2) | instskip(SKIP_2) | instid1(VALU_DEP_4)
	v_cmp_gt_i32_e32 vcc_lo, 32, v9
	v_lshrrev_b32_e32 v8, 24, v8
	v_min_i32_e32 v13, 31, v9
	v_cndmask_b32_e32 v12, 3, v12, vcc_lo
	s_delay_alu instid0(VALU_DEP_3) | instskip(NEXT) | instid1(VALU_DEP_3)
	v_and_b32_e32 v8, 0x80, v8
	v_lshlrev_b32_e32 v13, 2, v13
	s_delay_alu instid0(VALU_DEP_3) | instskip(SKIP_1) | instid1(VALU_DEP_2)
	v_and_b32_e32 v14, 3, v12
	v_or_b32_e32 v9, v9, v12
	v_or3_b32 v8, v13, v8, v14
	s_delay_alu instid0(VALU_DEP_2) | instskip(NEXT) | instid1(VALU_DEP_2)
	v_cmp_ne_u32_e32 vcc_lo, 0, v9
	v_cndmask_b32_e32 v160, 0, v8, vcc_lo
.LBB4_5184:                             ;   in Loop: Header=BB4_4876 Depth=3
	s_or_b32 exec_lo, exec_lo, s31
.LBB4_5185:                             ;   in Loop: Header=BB4_4876 Depth=3
	s_delay_alu instid0(SALU_CYCLE_1) | instskip(SKIP_3) | instid1(VALU_DEP_1)
	s_or_b32 exec_lo, exec_lo, s30
	v_lshrrev_b16 v8, 8, v10
	s_mov_b32 s13, 0
	s_mov_b32 s31, exec_lo
                                        ; implicit-def: $sgpr30
	v_cmpx_lt_i16_e32 0x7f, v8
	s_xor_b32 s31, exec_lo, s31
	s_cbranch_execnz .LBB4_5879
; %bb.5186:                             ;   in Loop: Header=BB4_4876 Depth=3
	s_or_saveexec_b32 s31, s31
	v_mov_b32_e32 v9, s30
	s_xor_b32 exec_lo, exec_lo, s31
	s_cbranch_execnz .LBB4_5882
.LBB4_5187:                             ;   in Loop: Header=BB4_4876 Depth=3
	s_or_b32 exec_lo, exec_lo, s31
	s_and_saveexec_b32 s30, s13
	s_cbranch_execz .LBB4_5189
.LBB4_5188:                             ;   in Loop: Header=BB4_4876 Depth=3
	v_and_b32_e32 v9, 0xffff, v8
	v_lshlrev_b32_e32 v8, 24, v8
	s_delay_alu instid0(VALU_DEP_2) | instskip(NEXT) | instid1(VALU_DEP_2)
	v_and_b32_e32 v12, 3, v9
	v_and_b32_e32 v8, 0x80000000, v8
	s_delay_alu instid0(VALU_DEP_2) | instskip(NEXT) | instid1(VALU_DEP_1)
	v_clz_i32_u32_e32 v13, v12
	v_min_u32_e32 v13, 32, v13
	s_delay_alu instid0(VALU_DEP_1) | instskip(SKIP_1) | instid1(VALU_DEP_2)
	v_subrev_nc_u32_e32 v14, 29, v13
	v_sub_nc_u32_e32 v13, 30, v13
	v_lshlrev_b32_e32 v14, v14, v9
	v_bfe_u32 v9, v9, 2, 5
	s_delay_alu instid0(VALU_DEP_1) | instskip(NEXT) | instid1(VALU_DEP_3)
	v_cmp_eq_u32_e32 vcc_lo, 0, v9
	v_dual_cndmask_b32 v9, v9, v13 :: v_dual_and_b32 v14, 3, v14
	s_delay_alu instid0(VALU_DEP_1) | instskip(NEXT) | instid1(VALU_DEP_2)
	v_cndmask_b32_e32 v12, v12, v14, vcc_lo
	v_lshl_add_u32 v9, v9, 23, 0x37800000
	s_delay_alu instid0(VALU_DEP_2) | instskip(NEXT) | instid1(VALU_DEP_1)
	v_lshlrev_b32_e32 v12, 21, v12
	v_or3_b32 v9, v8, v9, v12
.LBB4_5189:                             ;   in Loop: Header=BB4_4876 Depth=3
	s_or_b32 exec_lo, exec_lo, s30
	s_delay_alu instid0(VALU_DEP_1) | instskip(SKIP_2) | instid1(VALU_DEP_2)
	v_mul_f32_e32 v8, s17, v9
	v_mov_b32_e32 v150, 0x80
	s_mov_b32 s30, exec_lo
	v_and_b32_e32 v9, 0x7f800000, v8
	s_delay_alu instid0(VALU_DEP_1)
	v_cmpx_ne_u32_e32 0x7f800000, v9
	s_cbranch_execz .LBB4_5197
; %bb.5190:                             ;   in Loop: Header=BB4_4876 Depth=3
	v_mov_b32_e32 v150, 0
	s_mov_b32 s31, exec_lo
	v_cmpx_ne_u32_e32 0, v8
	s_cbranch_execz .LBB4_5196
; %bb.5191:                             ;   in Loop: Header=BB4_4876 Depth=3
	v_bfe_u32 v9, v8, 23, 8
	s_delay_alu instid0(VALU_DEP_1) | instskip(SKIP_1) | instid1(VALU_DEP_2)
	v_sub_nc_u32_e32 v13, 0x70, v9
	v_cmp_gt_u32_e32 vcc_lo, 0x71, v9
	v_dual_cndmask_b32 v13, 0, v13 :: v_dual_and_b32 v12, 0x7fffff, v8
	s_delay_alu instid0(VALU_DEP_1) | instskip(SKIP_2) | instid1(VALU_DEP_4)
	v_or_b32_e32 v14, 0x800000, v12
	v_cmp_eq_u32_e32 vcc_lo, 0, v9
	v_add_nc_u32_e32 v9, 0xffffff91, v9
	v_cndmask_b32_e64 v13, v13, 0x6f, vcc_lo
	s_delay_alu instid0(VALU_DEP_4) | instskip(NEXT) | instid1(VALU_DEP_3)
	v_cndmask_b32_e32 v12, v14, v12, vcc_lo
	v_cndmask_b32_e64 v9, v9, 0xffffff92, vcc_lo
	s_delay_alu instid0(VALU_DEP_3) | instskip(NEXT) | instid1(VALU_DEP_3)
	v_lshl_add_u32 v14, 0x200000, v13, -1
	v_lshrrev_b32_e32 v15, v13, v12
	v_lshlrev_b32_e64 v145, v13, 0x100000
	s_delay_alu instid0(VALU_DEP_4) | instskip(NEXT) | instid1(VALU_DEP_4)
	v_add_nc_u32_e32 v13, v13, v9
	v_and_b32_e32 v12, v14, v12
	s_delay_alu instid0(VALU_DEP_4) | instskip(NEXT) | instid1(VALU_DEP_2)
	v_bfe_u32 v144, v15, 21, 1
	v_cmp_eq_u32_e64 s13, v12, v145
	s_delay_alu instid0(VALU_DEP_2) | instskip(NEXT) | instid1(VALU_DEP_1)
	v_add_nc_u32_e32 v14, -1, v144
	v_cndmask_b32_e64 v12, 0, v14, s13
	v_lshrrev_b32_e32 v14, 23, v15
	s_mov_b32 s13, exec_lo
	s_delay_alu instid0(VALU_DEP_2) | instskip(NEXT) | instid1(VALU_DEP_2)
	v_add_nc_u32_e32 v12, v12, v15
	v_xor_b32_e32 v14, 1, v14
	s_delay_alu instid0(VALU_DEP_2) | instskip(NEXT) | instid1(VALU_DEP_1)
	v_and_b32_e32 v9, 0x1fffff, v12
	v_add_nc_u32_e32 v12, v9, v15
                                        ; implicit-def: $vgpr9
	s_delay_alu instid0(VALU_DEP_3)
	v_cmpx_ne_u32_e64 v13, v14
	s_xor_b32 s13, exec_lo, s13
; %bb.5192:                             ;   in Loop: Header=BB4_4876 Depth=3
	s_delay_alu instid0(VALU_DEP_2) | instskip(SKIP_2) | instid1(VALU_DEP_2)
	v_cmp_lt_u32_e32 vcc_lo, 0xffffff, v12
	v_sub_nc_u32_e32 v9, v13, v14
	v_cndmask_b32_e64 v13, 0, 1, vcc_lo
	v_add_co_ci_u32_e32 v9, vcc_lo, 0, v9, vcc_lo
	s_delay_alu instid0(VALU_DEP_2)
	v_lshrrev_b32_e32 v12, v13, v12
; %bb.5193:                             ;   in Loop: Header=BB4_4876 Depth=3
	s_and_not1_saveexec_b32 s13, s13
; %bb.5194:                             ;   in Loop: Header=BB4_4876 Depth=3
	s_delay_alu instid0(VALU_DEP_1)
	v_bfe_u32 v9, v12, 23, 1
; %bb.5195:                             ;   in Loop: Header=BB4_4876 Depth=3
	s_or_b32 exec_lo, exec_lo, s13
	v_lshrrev_b32_e32 v12, 21, v12
	s_delay_alu instid0(VALU_DEP_2) | instskip(SKIP_2) | instid1(VALU_DEP_4)
	v_cmp_gt_i32_e32 vcc_lo, 32, v9
	v_lshrrev_b32_e32 v8, 24, v8
	v_min_i32_e32 v13, 31, v9
	v_cndmask_b32_e32 v12, 3, v12, vcc_lo
	s_delay_alu instid0(VALU_DEP_3) | instskip(NEXT) | instid1(VALU_DEP_3)
	v_and_b32_e32 v8, 0x80, v8
	v_lshlrev_b32_e32 v13, 2, v13
	s_delay_alu instid0(VALU_DEP_3) | instskip(SKIP_1) | instid1(VALU_DEP_2)
	v_and_b32_e32 v14, 3, v12
	v_or_b32_e32 v9, v9, v12
	v_or3_b32 v8, v13, v8, v14
	s_delay_alu instid0(VALU_DEP_2) | instskip(NEXT) | instid1(VALU_DEP_2)
	v_cmp_ne_u32_e32 vcc_lo, 0, v9
	v_cndmask_b32_e32 v150, 0, v8, vcc_lo
.LBB4_5196:                             ;   in Loop: Header=BB4_4876 Depth=3
	s_or_b32 exec_lo, exec_lo, s31
.LBB4_5197:                             ;   in Loop: Header=BB4_4876 Depth=3
	s_delay_alu instid0(SALU_CYCLE_1) | instskip(SKIP_3) | instid1(VALU_DEP_1)
	s_or_b32 exec_lo, exec_lo, s30
	v_lshrrev_b32_e32 v8, 16, v10
	s_mov_b32 s13, 0
	s_mov_b32 s31, exec_lo
                                        ; implicit-def: $sgpr30
	v_and_b32_e32 v12, 0xff, v8
	s_delay_alu instid0(VALU_DEP_1)
	v_cmpx_lt_i16_e32 0x7f, v12
	s_xor_b32 s31, exec_lo, s31
	s_cbranch_execnz .LBB4_5883
; %bb.5198:                             ;   in Loop: Header=BB4_4876 Depth=3
	s_or_saveexec_b32 s31, s31
	v_mov_b32_e32 v9, s30
	s_xor_b32 exec_lo, exec_lo, s31
	s_cbranch_execnz .LBB4_5886
.LBB4_5199:                             ;   in Loop: Header=BB4_4876 Depth=3
	s_or_b32 exec_lo, exec_lo, s31
	s_and_saveexec_b32 s30, s13
	s_cbranch_execz .LBB4_5201
.LBB4_5200:                             ;   in Loop: Header=BB4_4876 Depth=3
	v_bfe_u32 v9, v10, 16, 2
	v_lshlrev_b32_e32 v14, 8, v10
	s_delay_alu instid0(VALU_DEP_2) | instskip(NEXT) | instid1(VALU_DEP_1)
	v_clz_i32_u32_e32 v12, v9
	v_min_u32_e32 v12, 32, v12
	s_delay_alu instid0(VALU_DEP_1) | instskip(SKIP_1) | instid1(VALU_DEP_2)
	v_subrev_nc_u32_e32 v13, 29, v12
	v_sub_nc_u32_e32 v12, 30, v12
	v_lshlrev_b32_e32 v8, v13, v8
	v_bfe_u32 v13, v10, 18, 5
	s_delay_alu instid0(VALU_DEP_2) | instskip(NEXT) | instid1(VALU_DEP_2)
	v_and_b32_e32 v8, 3, v8
	v_cmp_eq_u32_e32 vcc_lo, 0, v13
	v_cndmask_b32_e32 v12, v13, v12, vcc_lo
	s_delay_alu instid0(VALU_DEP_3) | instskip(NEXT) | instid1(VALU_DEP_2)
	v_dual_cndmask_b32 v8, v9, v8 :: v_dual_and_b32 v9, 0x80000000, v14
	v_lshl_add_u32 v12, v12, 23, 0x37800000
	s_delay_alu instid0(VALU_DEP_2) | instskip(NEXT) | instid1(VALU_DEP_1)
	v_lshlrev_b32_e32 v8, 21, v8
	v_or3_b32 v9, v9, v12, v8
.LBB4_5201:                             ;   in Loop: Header=BB4_4876 Depth=3
	s_or_b32 exec_lo, exec_lo, s30
	s_delay_alu instid0(VALU_DEP_1) | instskip(SKIP_1) | instid1(VALU_DEP_1)
	v_dual_mul_f32 v8, s17, v9 :: v_dual_mov_b32 v149, 0x80
	s_mov_b32 s30, exec_lo
	v_and_b32_e32 v9, 0x7f800000, v8
	s_delay_alu instid0(VALU_DEP_1)
	v_cmpx_ne_u32_e32 0x7f800000, v9
	s_cbranch_execz .LBB4_5209
; %bb.5202:                             ;   in Loop: Header=BB4_4876 Depth=3
	v_mov_b32_e32 v149, 0
	s_mov_b32 s31, exec_lo
	v_cmpx_ne_u32_e32 0, v8
	s_cbranch_execz .LBB4_5208
; %bb.5203:                             ;   in Loop: Header=BB4_4876 Depth=3
	v_bfe_u32 v9, v8, 23, 8
	s_delay_alu instid0(VALU_DEP_1) | instskip(SKIP_1) | instid1(VALU_DEP_2)
	v_sub_nc_u32_e32 v13, 0x70, v9
	v_cmp_gt_u32_e32 vcc_lo, 0x71, v9
	v_dual_cndmask_b32 v13, 0, v13 :: v_dual_and_b32 v12, 0x7fffff, v8
	s_delay_alu instid0(VALU_DEP_1) | instskip(SKIP_2) | instid1(VALU_DEP_4)
	v_or_b32_e32 v14, 0x800000, v12
	v_cmp_eq_u32_e32 vcc_lo, 0, v9
	v_add_nc_u32_e32 v9, 0xffffff91, v9
	v_cndmask_b32_e64 v13, v13, 0x6f, vcc_lo
	s_delay_alu instid0(VALU_DEP_4) | instskip(NEXT) | instid1(VALU_DEP_3)
	v_cndmask_b32_e32 v12, v14, v12, vcc_lo
	v_cndmask_b32_e64 v9, v9, 0xffffff92, vcc_lo
	s_delay_alu instid0(VALU_DEP_3) | instskip(NEXT) | instid1(VALU_DEP_3)
	v_lshl_add_u32 v14, 0x200000, v13, -1
	v_lshrrev_b32_e32 v15, v13, v12
	v_lshlrev_b32_e64 v145, v13, 0x100000
	s_delay_alu instid0(VALU_DEP_4) | instskip(NEXT) | instid1(VALU_DEP_4)
	v_add_nc_u32_e32 v13, v13, v9
	v_and_b32_e32 v12, v14, v12
	s_delay_alu instid0(VALU_DEP_4) | instskip(NEXT) | instid1(VALU_DEP_2)
	v_bfe_u32 v144, v15, 21, 1
	v_cmp_eq_u32_e64 s13, v12, v145
	s_delay_alu instid0(VALU_DEP_2) | instskip(NEXT) | instid1(VALU_DEP_1)
	v_add_nc_u32_e32 v14, -1, v144
	v_cndmask_b32_e64 v12, 0, v14, s13
	v_lshrrev_b32_e32 v14, 23, v15
	s_mov_b32 s13, exec_lo
	s_delay_alu instid0(VALU_DEP_2) | instskip(NEXT) | instid1(VALU_DEP_2)
	v_add_nc_u32_e32 v12, v12, v15
	v_xor_b32_e32 v14, 1, v14
	s_delay_alu instid0(VALU_DEP_2) | instskip(NEXT) | instid1(VALU_DEP_1)
	v_and_b32_e32 v9, 0x1fffff, v12
	v_add_nc_u32_e32 v12, v9, v15
                                        ; implicit-def: $vgpr9
	s_delay_alu instid0(VALU_DEP_3)
	v_cmpx_ne_u32_e64 v13, v14
	s_xor_b32 s13, exec_lo, s13
; %bb.5204:                             ;   in Loop: Header=BB4_4876 Depth=3
	s_delay_alu instid0(VALU_DEP_2) | instskip(SKIP_2) | instid1(VALU_DEP_2)
	v_cmp_lt_u32_e32 vcc_lo, 0xffffff, v12
	v_sub_nc_u32_e32 v9, v13, v14
	v_cndmask_b32_e64 v13, 0, 1, vcc_lo
	v_add_co_ci_u32_e32 v9, vcc_lo, 0, v9, vcc_lo
	s_delay_alu instid0(VALU_DEP_2)
	v_lshrrev_b32_e32 v12, v13, v12
; %bb.5205:                             ;   in Loop: Header=BB4_4876 Depth=3
	s_and_not1_saveexec_b32 s13, s13
; %bb.5206:                             ;   in Loop: Header=BB4_4876 Depth=3
	s_delay_alu instid0(VALU_DEP_1)
	v_bfe_u32 v9, v12, 23, 1
; %bb.5207:                             ;   in Loop: Header=BB4_4876 Depth=3
	s_or_b32 exec_lo, exec_lo, s13
	v_lshrrev_b32_e32 v12, 21, v12
	s_delay_alu instid0(VALU_DEP_2) | instskip(SKIP_2) | instid1(VALU_DEP_4)
	v_cmp_gt_i32_e32 vcc_lo, 32, v9
	v_lshrrev_b32_e32 v8, 24, v8
	v_min_i32_e32 v13, 31, v9
	v_cndmask_b32_e32 v12, 3, v12, vcc_lo
	s_delay_alu instid0(VALU_DEP_3) | instskip(NEXT) | instid1(VALU_DEP_3)
	v_and_b32_e32 v8, 0x80, v8
	v_lshlrev_b32_e32 v13, 2, v13
	s_delay_alu instid0(VALU_DEP_3) | instskip(SKIP_1) | instid1(VALU_DEP_2)
	v_and_b32_e32 v14, 3, v12
	v_or_b32_e32 v9, v9, v12
	v_or3_b32 v8, v13, v8, v14
	s_delay_alu instid0(VALU_DEP_2) | instskip(NEXT) | instid1(VALU_DEP_2)
	v_cmp_ne_u32_e32 vcc_lo, 0, v9
	v_cndmask_b32_e32 v149, 0, v8, vcc_lo
.LBB4_5208:                             ;   in Loop: Header=BB4_4876 Depth=3
	s_or_b32 exec_lo, exec_lo, s31
.LBB4_5209:                             ;   in Loop: Header=BB4_4876 Depth=3
	s_delay_alu instid0(SALU_CYCLE_1) | instskip(SKIP_3) | instid1(VALU_DEP_1)
	s_or_b32 exec_lo, exec_lo, s30
	v_lshrrev_b32_e32 v8, 24, v10
	s_mov_b32 s13, 0
	s_mov_b32 s31, exec_lo
                                        ; implicit-def: $sgpr30
	v_cmpx_lt_i16_e32 0x7f, v8
	s_xor_b32 s31, exec_lo, s31
	s_cbranch_execnz .LBB4_5887
; %bb.5210:                             ;   in Loop: Header=BB4_4876 Depth=3
	s_or_saveexec_b32 s31, s31
	v_mov_b32_e32 v9, s30
	s_xor_b32 exec_lo, exec_lo, s31
	s_cbranch_execnz .LBB4_5890
.LBB4_5211:                             ;   in Loop: Header=BB4_4876 Depth=3
	s_or_b32 exec_lo, exec_lo, s31
	s_and_saveexec_b32 s30, s13
	s_cbranch_execz .LBB4_5213
.LBB4_5212:                             ;   in Loop: Header=BB4_4876 Depth=3
	v_bfe_u32 v9, v10, 24, 2
	s_delay_alu instid0(VALU_DEP_1) | instskip(NEXT) | instid1(VALU_DEP_1)
	v_clz_i32_u32_e32 v12, v9
	v_min_u32_e32 v12, 32, v12
	s_delay_alu instid0(VALU_DEP_1) | instskip(SKIP_1) | instid1(VALU_DEP_2)
	v_subrev_nc_u32_e32 v13, 29, v12
	v_sub_nc_u32_e32 v12, 30, v12
	v_lshlrev_b32_e32 v8, v13, v8
	v_bfe_u32 v13, v10, 26, 5
	s_delay_alu instid0(VALU_DEP_2) | instskip(NEXT) | instid1(VALU_DEP_2)
	v_and_b32_e32 v8, 3, v8
	v_cmp_eq_u32_e32 vcc_lo, 0, v13
	v_cndmask_b32_e32 v12, v13, v12, vcc_lo
	s_delay_alu instid0(VALU_DEP_3) | instskip(NEXT) | instid1(VALU_DEP_2)
	v_dual_cndmask_b32 v8, v9, v8 :: v_dual_and_b32 v9, 0x80000000, v10
	v_lshl_add_u32 v10, v12, 23, 0x37800000
	s_delay_alu instid0(VALU_DEP_2) | instskip(NEXT) | instid1(VALU_DEP_1)
	v_lshlrev_b32_e32 v8, 21, v8
	v_or3_b32 v9, v9, v10, v8
.LBB4_5213:                             ;   in Loop: Header=BB4_4876 Depth=3
	s_or_b32 exec_lo, exec_lo, s30
	s_delay_alu instid0(VALU_DEP_1) | instskip(SKIP_2) | instid1(VALU_DEP_2)
	v_mul_f32_e32 v8, s17, v9
	v_mov_b32_e32 v146, 0x80
	s_mov_b32 s30, exec_lo
	v_and_b32_e32 v9, 0x7f800000, v8
	s_delay_alu instid0(VALU_DEP_1)
	v_cmpx_ne_u32_e32 0x7f800000, v9
	s_cbranch_execz .LBB4_5221
; %bb.5214:                             ;   in Loop: Header=BB4_4876 Depth=3
	v_mov_b32_e32 v146, 0
	s_mov_b32 s31, exec_lo
	v_cmpx_ne_u32_e32 0, v8
	s_cbranch_execz .LBB4_5220
; %bb.5215:                             ;   in Loop: Header=BB4_4876 Depth=3
	v_bfe_u32 v9, v8, 23, 8
	v_and_b32_e32 v10, 0x7fffff, v8
	s_delay_alu instid0(VALU_DEP_2) | instskip(SKIP_1) | instid1(VALU_DEP_3)
	v_sub_nc_u32_e32 v12, 0x70, v9
	v_cmp_gt_u32_e32 vcc_lo, 0x71, v9
	v_or_b32_e32 v13, 0x800000, v10
	s_delay_alu instid0(VALU_DEP_3) | instskip(SKIP_2) | instid1(VALU_DEP_3)
	v_cndmask_b32_e32 v12, 0, v12, vcc_lo
	v_cmp_eq_u32_e32 vcc_lo, 0, v9
	v_add_nc_u32_e32 v9, 0xffffff91, v9
	v_cndmask_b32_e64 v12, v12, 0x6f, vcc_lo
	v_cndmask_b32_e32 v10, v13, v10, vcc_lo
	s_delay_alu instid0(VALU_DEP_3) | instskip(NEXT) | instid1(VALU_DEP_3)
	v_cndmask_b32_e64 v9, v9, 0xffffff92, vcc_lo
	v_lshl_add_u32 v13, 0x200000, v12, -1
	s_delay_alu instid0(VALU_DEP_3) | instskip(SKIP_1) | instid1(VALU_DEP_4)
	v_lshrrev_b32_e32 v14, v12, v10
	v_lshlrev_b32_e64 v144, v12, 0x100000
	v_add_nc_u32_e32 v12, v12, v9
	s_delay_alu instid0(VALU_DEP_4) | instskip(NEXT) | instid1(VALU_DEP_4)
	v_and_b32_e32 v10, v13, v10
	v_bfe_u32 v15, v14, 21, 1
	s_delay_alu instid0(VALU_DEP_2) | instskip(NEXT) | instid1(VALU_DEP_2)
	v_cmp_eq_u32_e64 s13, v10, v144
	v_add_nc_u32_e32 v13, -1, v15
	s_delay_alu instid0(VALU_DEP_1) | instskip(SKIP_2) | instid1(VALU_DEP_2)
	v_cndmask_b32_e64 v10, 0, v13, s13
	v_lshrrev_b32_e32 v13, 23, v14
	s_mov_b32 s13, exec_lo
	v_add_nc_u32_e32 v10, v10, v14
	s_delay_alu instid0(VALU_DEP_2) | instskip(NEXT) | instid1(VALU_DEP_2)
	v_xor_b32_e32 v13, 1, v13
	v_and_b32_e32 v9, 0x1fffff, v10
	s_delay_alu instid0(VALU_DEP_1) | instskip(NEXT) | instid1(VALU_DEP_3)
	v_add_nc_u32_e32 v10, v9, v14
                                        ; implicit-def: $vgpr9
	v_cmpx_ne_u32_e64 v12, v13
	s_xor_b32 s13, exec_lo, s13
; %bb.5216:                             ;   in Loop: Header=BB4_4876 Depth=3
	s_delay_alu instid0(VALU_DEP_2) | instskip(SKIP_2) | instid1(VALU_DEP_2)
	v_cmp_lt_u32_e32 vcc_lo, 0xffffff, v10
	v_sub_nc_u32_e32 v9, v12, v13
	v_cndmask_b32_e64 v12, 0, 1, vcc_lo
	v_add_co_ci_u32_e32 v9, vcc_lo, 0, v9, vcc_lo
	s_delay_alu instid0(VALU_DEP_2)
	v_lshrrev_b32_e32 v10, v12, v10
; %bb.5217:                             ;   in Loop: Header=BB4_4876 Depth=3
	s_and_not1_saveexec_b32 s13, s13
; %bb.5218:                             ;   in Loop: Header=BB4_4876 Depth=3
	s_delay_alu instid0(VALU_DEP_1)
	v_bfe_u32 v9, v10, 23, 1
; %bb.5219:                             ;   in Loop: Header=BB4_4876 Depth=3
	s_or_b32 exec_lo, exec_lo, s13
	v_lshrrev_b32_e32 v10, 21, v10
	s_delay_alu instid0(VALU_DEP_2) | instskip(SKIP_2) | instid1(VALU_DEP_4)
	v_cmp_gt_i32_e32 vcc_lo, 32, v9
	v_lshrrev_b32_e32 v8, 24, v8
	v_min_i32_e32 v12, 31, v9
	v_cndmask_b32_e32 v10, 3, v10, vcc_lo
	s_delay_alu instid0(VALU_DEP_3) | instskip(NEXT) | instid1(VALU_DEP_3)
	v_and_b32_e32 v8, 0x80, v8
	v_lshlrev_b32_e32 v12, 2, v12
	s_delay_alu instid0(VALU_DEP_3) | instskip(NEXT) | instid1(VALU_DEP_1)
	v_or_b32_e32 v9, v9, v10
	v_cmp_ne_u32_e32 vcc_lo, 0, v9
	v_and_b32_e32 v13, 3, v10
	s_delay_alu instid0(VALU_DEP_1) | instskip(NEXT) | instid1(VALU_DEP_1)
	v_or3_b32 v8, v12, v8, v13
	v_cndmask_b32_e32 v146, 0, v8, vcc_lo
.LBB4_5220:                             ;   in Loop: Header=BB4_4876 Depth=3
	s_or_b32 exec_lo, exec_lo, s31
.LBB4_5221:                             ;   in Loop: Header=BB4_4876 Depth=3
	s_delay_alu instid0(SALU_CYCLE_1) | instskip(SKIP_3) | instid1(VALU_DEP_1)
	s_or_b32 exec_lo, exec_lo, s30
	v_and_b32_e32 v9, 0xff, v11
	s_mov_b32 s13, 0
	s_mov_b32 s31, exec_lo
                                        ; implicit-def: $sgpr30
	v_cmpx_lt_i16_e32 0x7f, v9
	s_xor_b32 s31, exec_lo, s31
	s_cbranch_execnz .LBB4_5891
; %bb.5222:                             ;   in Loop: Header=BB4_4876 Depth=3
	s_or_saveexec_b32 s31, s31
	v_mov_b32_e32 v8, s30
	s_xor_b32 exec_lo, exec_lo, s31
	s_cbranch_execnz .LBB4_5894
.LBB4_5223:                             ;   in Loop: Header=BB4_4876 Depth=3
	s_or_b32 exec_lo, exec_lo, s31
	s_and_saveexec_b32 s30, s13
	s_cbranch_execz .LBB4_5225
.LBB4_5224:                             ;   in Loop: Header=BB4_4876 Depth=3
	v_bfe_u32 v12, v11, 2, 5
	s_delay_alu instid0(VALU_DEP_1) | instskip(SKIP_1) | instid1(VALU_DEP_1)
	v_cmp_eq_u32_e32 vcc_lo, 0, v12
	v_and_b32_e32 v8, 3, v11
	v_clz_i32_u32_e32 v9, v8
	s_delay_alu instid0(VALU_DEP_1) | instskip(NEXT) | instid1(VALU_DEP_1)
	v_min_u32_e32 v9, 32, v9
	v_subrev_nc_u32_e32 v10, 29, v9
	v_sub_nc_u32_e32 v9, 30, v9
	s_delay_alu instid0(VALU_DEP_1) | instskip(NEXT) | instid1(VALU_DEP_1)
	v_dual_cndmask_b32 v9, v12, v9 :: v_dual_lshlrev_b32 v10, v10, v11
	v_and_b32_e32 v10, 3, v10
	v_lshlrev_b32_e32 v13, 24, v11
	s_delay_alu instid0(VALU_DEP_3) | instskip(NEXT) | instid1(VALU_DEP_3)
	v_lshl_add_u32 v9, v9, 23, 0x37800000
	v_cndmask_b32_e32 v8, v8, v10, vcc_lo
	s_delay_alu instid0(VALU_DEP_3) | instskip(NEXT) | instid1(VALU_DEP_2)
	v_and_b32_e32 v10, 0x80000000, v13
	v_lshlrev_b32_e32 v8, 21, v8
	s_delay_alu instid0(VALU_DEP_1)
	v_or3_b32 v8, v10, v9, v8
.LBB4_5225:                             ;   in Loop: Header=BB4_4876 Depth=3
	s_or_b32 exec_lo, exec_lo, s30
	s_delay_alu instid0(VALU_DEP_1) | instskip(SKIP_1) | instid1(VALU_DEP_1)
	v_dual_mul_f32 v8, s17, v8 :: v_dual_mov_b32 v145, 0x80
	s_mov_b32 s30, exec_lo
	v_and_b32_e32 v9, 0x7f800000, v8
	s_delay_alu instid0(VALU_DEP_1)
	v_cmpx_ne_u32_e32 0x7f800000, v9
	s_cbranch_execz .LBB4_5233
; %bb.5226:                             ;   in Loop: Header=BB4_4876 Depth=3
	v_mov_b32_e32 v145, 0
	s_mov_b32 s31, exec_lo
	v_cmpx_ne_u32_e32 0, v8
	s_cbranch_execz .LBB4_5232
; %bb.5227:                             ;   in Loop: Header=BB4_4876 Depth=3
	v_bfe_u32 v9, v8, 23, 8
	v_and_b32_e32 v10, 0x7fffff, v8
	s_delay_alu instid0(VALU_DEP_2) | instskip(SKIP_1) | instid1(VALU_DEP_3)
	v_sub_nc_u32_e32 v12, 0x70, v9
	v_cmp_gt_u32_e32 vcc_lo, 0x71, v9
	v_or_b32_e32 v13, 0x800000, v10
	s_delay_alu instid0(VALU_DEP_3) | instskip(SKIP_2) | instid1(VALU_DEP_3)
	v_cndmask_b32_e32 v12, 0, v12, vcc_lo
	v_cmp_eq_u32_e32 vcc_lo, 0, v9
	v_add_nc_u32_e32 v9, 0xffffff91, v9
	v_cndmask_b32_e64 v12, v12, 0x6f, vcc_lo
	v_cndmask_b32_e32 v10, v13, v10, vcc_lo
	s_delay_alu instid0(VALU_DEP_3) | instskip(NEXT) | instid1(VALU_DEP_3)
	v_cndmask_b32_e64 v9, v9, 0xffffff92, vcc_lo
	v_lshl_add_u32 v13, 0x200000, v12, -1
	s_delay_alu instid0(VALU_DEP_3) | instskip(SKIP_1) | instid1(VALU_DEP_4)
	v_lshrrev_b32_e32 v14, v12, v10
	v_lshlrev_b32_e64 v144, v12, 0x100000
	v_add_nc_u32_e32 v12, v12, v9
	s_delay_alu instid0(VALU_DEP_4) | instskip(NEXT) | instid1(VALU_DEP_4)
	v_and_b32_e32 v10, v13, v10
	v_bfe_u32 v15, v14, 21, 1
	s_delay_alu instid0(VALU_DEP_2) | instskip(NEXT) | instid1(VALU_DEP_2)
	v_cmp_eq_u32_e64 s13, v10, v144
	v_add_nc_u32_e32 v13, -1, v15
	s_delay_alu instid0(VALU_DEP_1) | instskip(SKIP_2) | instid1(VALU_DEP_2)
	v_cndmask_b32_e64 v10, 0, v13, s13
	v_lshrrev_b32_e32 v13, 23, v14
	s_mov_b32 s13, exec_lo
	v_add_nc_u32_e32 v10, v10, v14
	s_delay_alu instid0(VALU_DEP_2) | instskip(NEXT) | instid1(VALU_DEP_2)
	v_xor_b32_e32 v13, 1, v13
	v_and_b32_e32 v9, 0x1fffff, v10
	s_delay_alu instid0(VALU_DEP_1) | instskip(NEXT) | instid1(VALU_DEP_3)
	v_add_nc_u32_e32 v10, v9, v14
                                        ; implicit-def: $vgpr9
	v_cmpx_ne_u32_e64 v12, v13
	s_xor_b32 s13, exec_lo, s13
; %bb.5228:                             ;   in Loop: Header=BB4_4876 Depth=3
	s_delay_alu instid0(VALU_DEP_2) | instskip(SKIP_2) | instid1(VALU_DEP_2)
	v_cmp_lt_u32_e32 vcc_lo, 0xffffff, v10
	v_sub_nc_u32_e32 v9, v12, v13
	v_cndmask_b32_e64 v12, 0, 1, vcc_lo
	v_add_co_ci_u32_e32 v9, vcc_lo, 0, v9, vcc_lo
	s_delay_alu instid0(VALU_DEP_2)
	v_lshrrev_b32_e32 v10, v12, v10
; %bb.5229:                             ;   in Loop: Header=BB4_4876 Depth=3
	s_and_not1_saveexec_b32 s13, s13
; %bb.5230:                             ;   in Loop: Header=BB4_4876 Depth=3
	s_delay_alu instid0(VALU_DEP_1)
	v_bfe_u32 v9, v10, 23, 1
; %bb.5231:                             ;   in Loop: Header=BB4_4876 Depth=3
	s_or_b32 exec_lo, exec_lo, s13
	v_lshrrev_b32_e32 v10, 21, v10
	s_delay_alu instid0(VALU_DEP_2) | instskip(SKIP_2) | instid1(VALU_DEP_3)
	v_min_i32_e32 v12, 31, v9
	v_cmp_gt_i32_e32 vcc_lo, 32, v9
	v_lshrrev_b32_e32 v8, 24, v8
	v_lshlrev_b32_e32 v12, 2, v12
	v_cndmask_b32_e32 v10, 3, v10, vcc_lo
	s_delay_alu instid0(VALU_DEP_3) | instskip(NEXT) | instid1(VALU_DEP_3)
	v_and_b32_e32 v8, 0x80, v8
	v_and_b32_e32 v12, 0xfc, v12
	s_delay_alu instid0(VALU_DEP_3) | instskip(SKIP_1) | instid1(VALU_DEP_2)
	v_and_b32_e32 v13, 3, v10
	v_or_b32_e32 v9, v9, v10
	v_or3_b32 v8, v12, v8, v13
	s_delay_alu instid0(VALU_DEP_2) | instskip(NEXT) | instid1(VALU_DEP_2)
	v_cmp_ne_u32_e32 vcc_lo, 0, v9
	v_cndmask_b32_e32 v145, 0, v8, vcc_lo
.LBB4_5232:                             ;   in Loop: Header=BB4_4876 Depth=3
	s_or_b32 exec_lo, exec_lo, s31
.LBB4_5233:                             ;   in Loop: Header=BB4_4876 Depth=3
	s_delay_alu instid0(SALU_CYCLE_1) | instskip(SKIP_3) | instid1(VALU_DEP_1)
	s_or_b32 exec_lo, exec_lo, s30
	v_lshrrev_b16 v8, 8, v11
	s_mov_b32 s13, 0
	s_mov_b32 s31, exec_lo
                                        ; implicit-def: $sgpr30
	v_cmpx_lt_i16_e32 0x7f, v8
	s_xor_b32 s31, exec_lo, s31
	s_cbranch_execnz .LBB4_5895
; %bb.5234:                             ;   in Loop: Header=BB4_4876 Depth=3
	s_or_saveexec_b32 s31, s31
	v_mov_b32_e32 v9, s30
	s_xor_b32 exec_lo, exec_lo, s31
	s_cbranch_execnz .LBB4_5898
.LBB4_5235:                             ;   in Loop: Header=BB4_4876 Depth=3
	s_or_b32 exec_lo, exec_lo, s31
	s_and_saveexec_b32 s30, s13
	s_cbranch_execz .LBB4_5237
.LBB4_5236:                             ;   in Loop: Header=BB4_4876 Depth=3
	v_and_b32_e32 v9, 0xffff, v8
	v_lshlrev_b32_e32 v8, 24, v8
	s_delay_alu instid0(VALU_DEP_2) | instskip(NEXT) | instid1(VALU_DEP_2)
	v_and_b32_e32 v10, 3, v9
	v_and_b32_e32 v8, 0x80000000, v8
	s_delay_alu instid0(VALU_DEP_2) | instskip(NEXT) | instid1(VALU_DEP_1)
	v_clz_i32_u32_e32 v12, v10
	v_min_u32_e32 v12, 32, v12
	s_delay_alu instid0(VALU_DEP_1) | instskip(SKIP_1) | instid1(VALU_DEP_2)
	v_subrev_nc_u32_e32 v13, 29, v12
	v_sub_nc_u32_e32 v12, 30, v12
	v_lshlrev_b32_e32 v13, v13, v9
	v_bfe_u32 v9, v9, 2, 5
	s_delay_alu instid0(VALU_DEP_2) | instskip(NEXT) | instid1(VALU_DEP_2)
	v_and_b32_e32 v13, 3, v13
	v_cmp_eq_u32_e32 vcc_lo, 0, v9
	s_delay_alu instid0(VALU_DEP_2) | instskip(NEXT) | instid1(VALU_DEP_1)
	v_dual_cndmask_b32 v9, v9, v12 :: v_dual_cndmask_b32 v10, v10, v13
	v_lshl_add_u32 v9, v9, 23, 0x37800000
	s_delay_alu instid0(VALU_DEP_2) | instskip(NEXT) | instid1(VALU_DEP_1)
	v_lshlrev_b32_e32 v10, 21, v10
	v_or3_b32 v9, v8, v9, v10
.LBB4_5237:                             ;   in Loop: Header=BB4_4876 Depth=3
	s_or_b32 exec_lo, exec_lo, s30
	s_delay_alu instid0(VALU_DEP_1) | instskip(SKIP_1) | instid1(VALU_DEP_1)
	v_dual_mul_f32 v8, s17, v9 :: v_dual_mov_b32 v151, 0x8000
	s_mov_b32 s30, exec_lo
	v_and_b32_e32 v9, 0x7f800000, v8
	s_delay_alu instid0(VALU_DEP_1)
	v_cmpx_ne_u32_e32 0x7f800000, v9
	s_cbranch_execz .LBB4_5245
; %bb.5238:                             ;   in Loop: Header=BB4_4876 Depth=3
	v_mov_b32_e32 v151, 0
	s_mov_b32 s31, exec_lo
	v_cmpx_ne_u32_e32 0, v8
	s_cbranch_execz .LBB4_5244
; %bb.5239:                             ;   in Loop: Header=BB4_4876 Depth=3
	v_bfe_u32 v9, v8, 23, 8
	v_and_b32_e32 v10, 0x7fffff, v8
	s_delay_alu instid0(VALU_DEP_2) | instskip(SKIP_1) | instid1(VALU_DEP_3)
	v_sub_nc_u32_e32 v12, 0x70, v9
	v_cmp_gt_u32_e32 vcc_lo, 0x71, v9
	v_or_b32_e32 v13, 0x800000, v10
	s_delay_alu instid0(VALU_DEP_3) | instskip(SKIP_2) | instid1(VALU_DEP_3)
	v_cndmask_b32_e32 v12, 0, v12, vcc_lo
	v_cmp_eq_u32_e32 vcc_lo, 0, v9
	v_add_nc_u32_e32 v9, 0xffffff91, v9
	v_cndmask_b32_e64 v12, v12, 0x6f, vcc_lo
	v_cndmask_b32_e32 v10, v13, v10, vcc_lo
	s_delay_alu instid0(VALU_DEP_3) | instskip(NEXT) | instid1(VALU_DEP_3)
	v_cndmask_b32_e64 v9, v9, 0xffffff92, vcc_lo
	v_lshl_add_u32 v13, 0x200000, v12, -1
	s_delay_alu instid0(VALU_DEP_3) | instskip(SKIP_1) | instid1(VALU_DEP_4)
	v_lshrrev_b32_e32 v14, v12, v10
	v_lshlrev_b32_e64 v144, v12, 0x100000
	v_add_nc_u32_e32 v12, v12, v9
	s_delay_alu instid0(VALU_DEP_4) | instskip(NEXT) | instid1(VALU_DEP_4)
	v_and_b32_e32 v10, v13, v10
	v_bfe_u32 v15, v14, 21, 1
	s_delay_alu instid0(VALU_DEP_2) | instskip(NEXT) | instid1(VALU_DEP_2)
	v_cmp_eq_u32_e64 s13, v10, v144
	v_add_nc_u32_e32 v13, -1, v15
	s_delay_alu instid0(VALU_DEP_1) | instskip(SKIP_2) | instid1(VALU_DEP_2)
	v_cndmask_b32_e64 v10, 0, v13, s13
	v_lshrrev_b32_e32 v13, 23, v14
	s_mov_b32 s13, exec_lo
	v_add_nc_u32_e32 v10, v10, v14
	s_delay_alu instid0(VALU_DEP_2) | instskip(NEXT) | instid1(VALU_DEP_2)
	v_xor_b32_e32 v13, 1, v13
	v_and_b32_e32 v9, 0x1fffff, v10
	s_delay_alu instid0(VALU_DEP_1) | instskip(NEXT) | instid1(VALU_DEP_3)
	v_add_nc_u32_e32 v10, v9, v14
                                        ; implicit-def: $vgpr9
	v_cmpx_ne_u32_e64 v12, v13
	s_xor_b32 s13, exec_lo, s13
; %bb.5240:                             ;   in Loop: Header=BB4_4876 Depth=3
	s_delay_alu instid0(VALU_DEP_2) | instskip(SKIP_2) | instid1(VALU_DEP_2)
	v_cmp_lt_u32_e32 vcc_lo, 0xffffff, v10
	v_sub_nc_u32_e32 v9, v12, v13
	v_cndmask_b32_e64 v12, 0, 1, vcc_lo
	v_add_co_ci_u32_e32 v9, vcc_lo, 0, v9, vcc_lo
	s_delay_alu instid0(VALU_DEP_2)
	v_lshrrev_b32_e32 v10, v12, v10
; %bb.5241:                             ;   in Loop: Header=BB4_4876 Depth=3
	s_and_not1_saveexec_b32 s13, s13
; %bb.5242:                             ;   in Loop: Header=BB4_4876 Depth=3
	s_delay_alu instid0(VALU_DEP_1)
	v_bfe_u32 v9, v10, 23, 1
; %bb.5243:                             ;   in Loop: Header=BB4_4876 Depth=3
	s_or_b32 exec_lo, exec_lo, s13
	v_lshrrev_b32_e32 v10, 21, v10
	s_delay_alu instid0(VALU_DEP_2) | instskip(SKIP_2) | instid1(VALU_DEP_3)
	v_min_i32_e32 v12, 31, v9
	v_cmp_gt_i32_e32 vcc_lo, 32, v9
	v_lshrrev_b32_e32 v8, 24, v8
	v_lshlrev_b32_e32 v12, 2, v12
	v_cndmask_b32_e32 v10, 3, v10, vcc_lo
	s_delay_alu instid0(VALU_DEP_3) | instskip(NEXT) | instid1(VALU_DEP_3)
	v_and_b32_e32 v8, 0x80, v8
	v_and_b32_e32 v12, 0xfc, v12
	s_delay_alu instid0(VALU_DEP_3) | instskip(SKIP_1) | instid1(VALU_DEP_2)
	v_and_b32_e32 v13, 3, v10
	v_or_b32_e32 v9, v9, v10
	v_or3_b32 v8, v8, v12, v13
	s_delay_alu instid0(VALU_DEP_2) | instskip(NEXT) | instid1(VALU_DEP_2)
	v_cmp_ne_u32_e32 vcc_lo, 0, v9
	v_lshlrev_b32_e32 v8, 8, v8
	s_delay_alu instid0(VALU_DEP_1)
	v_cndmask_b32_e32 v151, 0, v8, vcc_lo
.LBB4_5244:                             ;   in Loop: Header=BB4_4876 Depth=3
	s_or_b32 exec_lo, exec_lo, s31
.LBB4_5245:                             ;   in Loop: Header=BB4_4876 Depth=3
	s_delay_alu instid0(SALU_CYCLE_1) | instskip(SKIP_3) | instid1(VALU_DEP_1)
	s_or_b32 exec_lo, exec_lo, s30
	v_lshrrev_b32_e32 v8, 16, v11
	s_mov_b32 s13, 0
	s_mov_b32 s31, exec_lo
                                        ; implicit-def: $sgpr30
	v_and_b32_e32 v10, 0xff, v8
	s_delay_alu instid0(VALU_DEP_1)
	v_cmpx_lt_i16_e32 0x7f, v10
	s_xor_b32 s31, exec_lo, s31
	s_cbranch_execnz .LBB4_5899
; %bb.5246:                             ;   in Loop: Header=BB4_4876 Depth=3
	s_or_saveexec_b32 s31, s31
	v_mov_b32_e32 v9, s30
	s_xor_b32 exec_lo, exec_lo, s31
	s_cbranch_execnz .LBB4_5902
.LBB4_5247:                             ;   in Loop: Header=BB4_4876 Depth=3
	s_or_b32 exec_lo, exec_lo, s31
	s_and_saveexec_b32 s30, s13
	s_cbranch_execz .LBB4_5249
.LBB4_5248:                             ;   in Loop: Header=BB4_4876 Depth=3
	v_bfe_u32 v9, v11, 16, 2
	s_delay_alu instid0(VALU_DEP_1) | instskip(NEXT) | instid1(VALU_DEP_1)
	v_clz_i32_u32_e32 v10, v9
	v_min_u32_e32 v10, 32, v10
	s_delay_alu instid0(VALU_DEP_1) | instskip(SKIP_1) | instid1(VALU_DEP_2)
	v_subrev_nc_u32_e32 v12, 29, v10
	v_sub_nc_u32_e32 v10, 30, v10
	v_lshlrev_b32_e32 v8, v12, v8
	v_bfe_u32 v12, v11, 18, 5
	s_delay_alu instid0(VALU_DEP_2) | instskip(NEXT) | instid1(VALU_DEP_2)
	v_and_b32_e32 v8, 3, v8
	v_cmp_eq_u32_e32 vcc_lo, 0, v12
	v_dual_cndmask_b32 v10, v12, v10 :: v_dual_lshlrev_b32 v13, 8, v11
	s_delay_alu instid0(VALU_DEP_1) | instskip(NEXT) | instid1(VALU_DEP_2)
	v_dual_cndmask_b32 v8, v9, v8 :: v_dual_and_b32 v9, 0x80000000, v13
	v_lshl_add_u32 v10, v10, 23, 0x37800000
	s_delay_alu instid0(VALU_DEP_2) | instskip(NEXT) | instid1(VALU_DEP_1)
	v_lshlrev_b32_e32 v8, 21, v8
	v_or3_b32 v9, v9, v10, v8
.LBB4_5249:                             ;   in Loop: Header=BB4_4876 Depth=3
	s_or_b32 exec_lo, exec_lo, s30
	s_delay_alu instid0(VALU_DEP_1) | instskip(SKIP_2) | instid1(VALU_DEP_2)
	v_mul_f32_e32 v8, s17, v9
	v_mov_b32_e32 v144, 0x80
	s_mov_b32 s30, exec_lo
	v_and_b32_e32 v9, 0x7f800000, v8
	s_delay_alu instid0(VALU_DEP_1)
	v_cmpx_ne_u32_e32 0x7f800000, v9
	s_cbranch_execz .LBB4_5257
; %bb.5250:                             ;   in Loop: Header=BB4_4876 Depth=3
	v_mov_b32_e32 v144, 0
	s_mov_b32 s31, exec_lo
	v_cmpx_ne_u32_e32 0, v8
	s_cbranch_execz .LBB4_5256
; %bb.5251:                             ;   in Loop: Header=BB4_4876 Depth=3
	v_bfe_u32 v9, v8, 23, 8
	v_and_b32_e32 v10, 0x7fffff, v8
	s_delay_alu instid0(VALU_DEP_2) | instskip(SKIP_1) | instid1(VALU_DEP_3)
	v_sub_nc_u32_e32 v12, 0x70, v9
	v_cmp_gt_u32_e32 vcc_lo, 0x71, v9
	v_or_b32_e32 v13, 0x800000, v10
	s_delay_alu instid0(VALU_DEP_3) | instskip(SKIP_2) | instid1(VALU_DEP_3)
	v_cndmask_b32_e32 v12, 0, v12, vcc_lo
	v_cmp_eq_u32_e32 vcc_lo, 0, v9
	v_add_nc_u32_e32 v9, 0xffffff91, v9
	v_cndmask_b32_e64 v12, v12, 0x6f, vcc_lo
	v_cndmask_b32_e32 v10, v13, v10, vcc_lo
	s_delay_alu instid0(VALU_DEP_3) | instskip(NEXT) | instid1(VALU_DEP_3)
	v_cndmask_b32_e64 v9, v9, 0xffffff92, vcc_lo
	v_lshl_add_u32 v13, 0x200000, v12, -1
	s_delay_alu instid0(VALU_DEP_3) | instskip(SKIP_1) | instid1(VALU_DEP_4)
	v_lshrrev_b32_e32 v14, v12, v10
	v_lshlrev_b32_e64 v144, v12, 0x100000
	v_add_nc_u32_e32 v12, v12, v9
	s_delay_alu instid0(VALU_DEP_4) | instskip(NEXT) | instid1(VALU_DEP_4)
	v_and_b32_e32 v10, v13, v10
	v_bfe_u32 v15, v14, 21, 1
	s_delay_alu instid0(VALU_DEP_2) | instskip(NEXT) | instid1(VALU_DEP_2)
	v_cmp_eq_u32_e64 s13, v10, v144
	v_add_nc_u32_e32 v13, -1, v15
	s_delay_alu instid0(VALU_DEP_1) | instskip(SKIP_2) | instid1(VALU_DEP_2)
	v_cndmask_b32_e64 v10, 0, v13, s13
	v_lshrrev_b32_e32 v13, 23, v14
	s_mov_b32 s13, exec_lo
	v_add_nc_u32_e32 v10, v10, v14
	s_delay_alu instid0(VALU_DEP_2) | instskip(NEXT) | instid1(VALU_DEP_2)
	v_xor_b32_e32 v13, 1, v13
	v_and_b32_e32 v9, 0x1fffff, v10
	s_delay_alu instid0(VALU_DEP_1) | instskip(NEXT) | instid1(VALU_DEP_3)
	v_add_nc_u32_e32 v10, v9, v14
                                        ; implicit-def: $vgpr9
	v_cmpx_ne_u32_e64 v12, v13
	s_xor_b32 s13, exec_lo, s13
; %bb.5252:                             ;   in Loop: Header=BB4_4876 Depth=3
	s_delay_alu instid0(VALU_DEP_2) | instskip(SKIP_2) | instid1(VALU_DEP_2)
	v_cmp_lt_u32_e32 vcc_lo, 0xffffff, v10
	v_sub_nc_u32_e32 v9, v12, v13
	v_cndmask_b32_e64 v12, 0, 1, vcc_lo
	v_add_co_ci_u32_e32 v9, vcc_lo, 0, v9, vcc_lo
	s_delay_alu instid0(VALU_DEP_2)
	v_lshrrev_b32_e32 v10, v12, v10
; %bb.5253:                             ;   in Loop: Header=BB4_4876 Depth=3
	s_and_not1_saveexec_b32 s13, s13
; %bb.5254:                             ;   in Loop: Header=BB4_4876 Depth=3
	s_delay_alu instid0(VALU_DEP_1)
	v_bfe_u32 v9, v10, 23, 1
; %bb.5255:                             ;   in Loop: Header=BB4_4876 Depth=3
	s_or_b32 exec_lo, exec_lo, s13
	v_lshrrev_b32_e32 v10, 21, v10
	s_delay_alu instid0(VALU_DEP_2) | instskip(SKIP_2) | instid1(VALU_DEP_4)
	v_cmp_gt_i32_e32 vcc_lo, 32, v9
	v_min_i32_e32 v12, 31, v9
	v_lshrrev_b32_e32 v8, 24, v8
	v_cndmask_b32_e32 v10, 3, v10, vcc_lo
	s_delay_alu instid0(VALU_DEP_3) | instskip(NEXT) | instid1(VALU_DEP_3)
	v_lshlrev_b32_e32 v12, 2, v12
	v_and_b32_e32 v8, 0x80, v8
	s_delay_alu instid0(VALU_DEP_3) | instskip(NEXT) | instid1(VALU_DEP_3)
	v_or_b32_e32 v9, v9, v10
	v_and_b32_e32 v12, 0xfc, v12
	s_delay_alu instid0(VALU_DEP_2) | instskip(SKIP_1) | instid1(VALU_DEP_1)
	v_cmp_ne_u32_e32 vcc_lo, 0, v9
	v_and_b32_e32 v13, 3, v10
	v_or3_b32 v8, v12, v8, v13
	s_delay_alu instid0(VALU_DEP_1)
	v_cndmask_b32_e32 v144, 0, v8, vcc_lo
.LBB4_5256:                             ;   in Loop: Header=BB4_4876 Depth=3
	s_or_b32 exec_lo, exec_lo, s31
.LBB4_5257:                             ;   in Loop: Header=BB4_4876 Depth=3
	s_delay_alu instid0(SALU_CYCLE_1) | instskip(SKIP_3) | instid1(VALU_DEP_1)
	s_or_b32 exec_lo, exec_lo, s30
	v_lshrrev_b32_e32 v8, 24, v11
	s_mov_b32 s13, 0
	s_mov_b32 s31, exec_lo
                                        ; implicit-def: $sgpr30
	v_cmpx_lt_i16_e32 0x7f, v8
	s_xor_b32 s31, exec_lo, s31
	s_cbranch_execnz .LBB4_5903
; %bb.5258:                             ;   in Loop: Header=BB4_4876 Depth=3
	s_or_saveexec_b32 s31, s31
	v_mov_b32_e32 v9, s30
	s_xor_b32 exec_lo, exec_lo, s31
	s_cbranch_execnz .LBB4_5906
.LBB4_5259:                             ;   in Loop: Header=BB4_4876 Depth=3
	s_or_b32 exec_lo, exec_lo, s31
	s_and_saveexec_b32 s30, s13
	s_cbranch_execz .LBB4_5261
.LBB4_5260:                             ;   in Loop: Header=BB4_4876 Depth=3
	v_bfe_u32 v9, v11, 24, 2
	s_delay_alu instid0(VALU_DEP_1) | instskip(NEXT) | instid1(VALU_DEP_1)
	v_clz_i32_u32_e32 v10, v9
	v_min_u32_e32 v10, 32, v10
	s_delay_alu instid0(VALU_DEP_1) | instskip(SKIP_1) | instid1(VALU_DEP_2)
	v_subrev_nc_u32_e32 v12, 29, v10
	v_sub_nc_u32_e32 v10, 30, v10
	v_lshlrev_b32_e32 v8, v12, v8
	v_bfe_u32 v12, v11, 26, 5
	s_delay_alu instid0(VALU_DEP_2) | instskip(NEXT) | instid1(VALU_DEP_2)
	v_and_b32_e32 v8, 3, v8
	v_cmp_eq_u32_e32 vcc_lo, 0, v12
	v_cndmask_b32_e32 v10, v12, v10, vcc_lo
	s_delay_alu instid0(VALU_DEP_3) | instskip(NEXT) | instid1(VALU_DEP_2)
	v_dual_cndmask_b32 v8, v9, v8 :: v_dual_and_b32 v9, 0x80000000, v11
	v_lshl_add_u32 v10, v10, 23, 0x37800000
	s_delay_alu instid0(VALU_DEP_2) | instskip(NEXT) | instid1(VALU_DEP_1)
	v_lshlrev_b32_e32 v8, 21, v8
	v_or3_b32 v9, v9, v10, v8
.LBB4_5261:                             ;   in Loop: Header=BB4_4876 Depth=3
	s_or_b32 exec_lo, exec_lo, s30
	s_delay_alu instid0(VALU_DEP_1) | instskip(SKIP_2) | instid1(VALU_DEP_2)
	v_mul_f32_e32 v8, s17, v9
	v_mov_b32_e32 v148, 0x8000
	s_mov_b32 s17, exec_lo
	v_and_b32_e32 v9, 0x7f800000, v8
	s_delay_alu instid0(VALU_DEP_1)
	v_cmpx_ne_u32_e32 0x7f800000, v9
	s_cbranch_execz .LBB4_5269
; %bb.5262:                             ;   in Loop: Header=BB4_4876 Depth=3
	v_mov_b32_e32 v148, 0
	s_mov_b32 s30, exec_lo
	v_cmpx_ne_u32_e32 0, v8
	s_cbranch_execz .LBB4_5268
; %bb.5263:                             ;   in Loop: Header=BB4_4876 Depth=3
	v_bfe_u32 v9, v8, 23, 8
	s_delay_alu instid0(VALU_DEP_1) | instskip(SKIP_1) | instid1(VALU_DEP_2)
	v_sub_nc_u32_e32 v11, 0x70, v9
	v_cmp_gt_u32_e32 vcc_lo, 0x71, v9
	v_dual_cndmask_b32 v11, 0, v11 :: v_dual_and_b32 v10, 0x7fffff, v8
	s_delay_alu instid0(VALU_DEP_1) | instskip(SKIP_2) | instid1(VALU_DEP_4)
	v_or_b32_e32 v12, 0x800000, v10
	v_cmp_eq_u32_e32 vcc_lo, 0, v9
	v_add_nc_u32_e32 v9, 0xffffff91, v9
	v_cndmask_b32_e64 v11, v11, 0x6f, vcc_lo
	s_delay_alu instid0(VALU_DEP_4) | instskip(NEXT) | instid1(VALU_DEP_3)
	v_cndmask_b32_e32 v10, v12, v10, vcc_lo
	v_cndmask_b32_e64 v9, v9, 0xffffff92, vcc_lo
	s_delay_alu instid0(VALU_DEP_3) | instskip(NEXT) | instid1(VALU_DEP_3)
	v_lshl_add_u32 v12, 0x200000, v11, -1
	v_lshrrev_b32_e32 v13, v11, v10
	v_lshlrev_b32_e64 v15, v11, 0x100000
	s_delay_alu instid0(VALU_DEP_4) | instskip(NEXT) | instid1(VALU_DEP_4)
	v_add_nc_u32_e32 v11, v11, v9
	v_and_b32_e32 v10, v12, v10
	s_delay_alu instid0(VALU_DEP_4) | instskip(NEXT) | instid1(VALU_DEP_2)
	v_bfe_u32 v14, v13, 21, 1
	v_cmp_eq_u32_e64 s13, v10, v15
	s_delay_alu instid0(VALU_DEP_2) | instskip(NEXT) | instid1(VALU_DEP_1)
	v_add_nc_u32_e32 v12, -1, v14
	v_cndmask_b32_e64 v10, 0, v12, s13
	v_lshrrev_b32_e32 v12, 23, v13
	s_mov_b32 s13, exec_lo
	s_delay_alu instid0(VALU_DEP_2) | instskip(NEXT) | instid1(VALU_DEP_2)
	v_add_nc_u32_e32 v10, v10, v13
	v_xor_b32_e32 v12, 1, v12
	s_delay_alu instid0(VALU_DEP_2) | instskip(NEXT) | instid1(VALU_DEP_1)
	v_and_b32_e32 v9, 0x1fffff, v10
	v_add_nc_u32_e32 v10, v9, v13
                                        ; implicit-def: $vgpr9
	s_delay_alu instid0(VALU_DEP_3)
	v_cmpx_ne_u32_e64 v11, v12
	s_xor_b32 s13, exec_lo, s13
; %bb.5264:                             ;   in Loop: Header=BB4_4876 Depth=3
	s_delay_alu instid0(VALU_DEP_2) | instskip(SKIP_2) | instid1(VALU_DEP_2)
	v_cmp_lt_u32_e32 vcc_lo, 0xffffff, v10
	v_sub_nc_u32_e32 v9, v11, v12
	v_cndmask_b32_e64 v11, 0, 1, vcc_lo
	v_add_co_ci_u32_e32 v9, vcc_lo, 0, v9, vcc_lo
	s_delay_alu instid0(VALU_DEP_2)
	v_lshrrev_b32_e32 v10, v11, v10
; %bb.5265:                             ;   in Loop: Header=BB4_4876 Depth=3
	s_and_not1_saveexec_b32 s13, s13
; %bb.5266:                             ;   in Loop: Header=BB4_4876 Depth=3
	s_delay_alu instid0(VALU_DEP_1)
	v_bfe_u32 v9, v10, 23, 1
; %bb.5267:                             ;   in Loop: Header=BB4_4876 Depth=3
	s_or_b32 exec_lo, exec_lo, s13
	v_lshrrev_b32_e32 v10, 21, v10
	s_delay_alu instid0(VALU_DEP_2) | instskip(SKIP_2) | instid1(VALU_DEP_2)
	v_cmp_gt_i32_e32 vcc_lo, 32, v9
	v_min_i32_e32 v11, 31, v9
	v_lshrrev_b32_e32 v8, 24, v8
	v_dual_cndmask_b32 v10, 3, v10 :: v_dual_lshlrev_b32 v11, 2, v11
	s_delay_alu instid0(VALU_DEP_2) | instskip(NEXT) | instid1(VALU_DEP_2)
	v_and_b32_e32 v8, 0x80, v8
	v_or_b32_e32 v9, v9, v10
	v_and_b32_e32 v12, 3, v10
	s_delay_alu instid0(VALU_DEP_2) | instskip(SKIP_1) | instid1(VALU_DEP_1)
	v_cmp_ne_u32_e32 vcc_lo, 0, v9
	v_and_b32_e32 v11, 0xfc, v11
	v_or3_b32 v8, v8, v11, v12
	s_delay_alu instid0(VALU_DEP_1) | instskip(NEXT) | instid1(VALU_DEP_1)
	v_lshlrev_b32_e32 v8, 8, v8
	v_cndmask_b32_e32 v148, 0, v8, vcc_lo
.LBB4_5268:                             ;   in Loop: Header=BB4_4876 Depth=3
	s_or_b32 exec_lo, exec_lo, s30
.LBB4_5269:                             ;   in Loop: Header=BB4_4876 Depth=3
	s_delay_alu instid0(SALU_CYCLE_1)
	s_or_b32 exec_lo, exec_lo, s17
	s_clause 0x1
	global_load_b128 v[12:15], v[64:65], off slc dlc
	global_load_b128 v[8:11], v[64:65], off offset:512 slc dlc
	v_and_b32_e32 v56, 0xff, v135
	s_mov_b32 s13, 0
	s_mov_b32 s30, exec_lo
                                        ; implicit-def: $sgpr17
	s_delay_alu instid0(VALU_DEP_1)
	v_cmpx_lt_i16_e32 0x7f, v56
	s_xor_b32 s30, exec_lo, s30
	s_cbranch_execnz .LBB4_5907
; %bb.5270:                             ;   in Loop: Header=BB4_4876 Depth=3
	s_or_saveexec_b32 s30, s30
	v_mov_b32_e32 v47, s17
	s_xor_b32 exec_lo, exec_lo, s30
	s_cbranch_execnz .LBB4_5910
.LBB4_5271:                             ;   in Loop: Header=BB4_4876 Depth=3
	s_or_b32 exec_lo, exec_lo, s30
	s_and_saveexec_b32 s17, s13
	s_cbranch_execz .LBB4_5273
.LBB4_5272:                             ;   in Loop: Header=BB4_4876 Depth=3
	v_bfe_u32 v58, v135, 2, 5
	s_delay_alu instid0(VALU_DEP_1) | instskip(SKIP_1) | instid1(VALU_DEP_1)
	v_cmp_eq_u32_e32 vcc_lo, 0, v58
	v_and_b32_e32 v47, 3, v135
	v_clz_i32_u32_e32 v56, v47
	s_delay_alu instid0(VALU_DEP_1) | instskip(NEXT) | instid1(VALU_DEP_1)
	v_min_u32_e32 v56, 32, v56
	v_subrev_nc_u32_e32 v57, 29, v56
	v_sub_nc_u32_e32 v56, 30, v56
	s_delay_alu instid0(VALU_DEP_1) | instskip(SKIP_1) | instid1(VALU_DEP_2)
	v_dual_cndmask_b32 v56, v58, v56 :: v_dual_lshlrev_b32 v57, v57, v135
	v_lshlrev_b32_e32 v135, 24, v135
	v_and_b32_e32 v57, 3, v57
	s_delay_alu instid0(VALU_DEP_3) | instskip(NEXT) | instid1(VALU_DEP_3)
	v_lshl_add_u32 v56, v56, 23, 0x37800000
	v_and_b32_e32 v135, 0x80000000, v135
	s_delay_alu instid0(VALU_DEP_3) | instskip(NEXT) | instid1(VALU_DEP_1)
	v_cndmask_b32_e32 v47, v47, v57, vcc_lo
	v_lshlrev_b32_e32 v47, 21, v47
	s_delay_alu instid0(VALU_DEP_1)
	v_or3_b32 v47, v135, v56, v47
.LBB4_5273:                             ;   in Loop: Header=BB4_4876 Depth=3
	s_or_b32 exec_lo, exec_lo, s17
	s_waitcnt vmcnt(1)
	v_and_b32_e32 v56, 0xff, v12
	s_mov_b32 s13, 0
	s_mov_b32 s30, exec_lo
                                        ; implicit-def: $sgpr17
	s_delay_alu instid0(VALU_DEP_1)
	v_cmpx_lt_i16_e32 0x7f, v56
	s_xor_b32 s30, exec_lo, s30
	s_cbranch_execnz .LBB4_5911
; %bb.5274:                             ;   in Loop: Header=BB4_4876 Depth=3
	s_or_saveexec_b32 s30, s30
	v_mov_b32_e32 v135, s17
	s_xor_b32 exec_lo, exec_lo, s30
	s_cbranch_execnz .LBB4_5914
.LBB4_5275:                             ;   in Loop: Header=BB4_4876 Depth=3
	s_or_b32 exec_lo, exec_lo, s30
	s_and_saveexec_b32 s17, s13
	s_cbranch_execz .LBB4_5277
.LBB4_5276:                             ;   in Loop: Header=BB4_4876 Depth=3
	v_and_b32_e32 v135, 3, v12
	v_bfe_u32 v58, v12, 2, 5
	v_lshlrev_b32_e32 v59, 24, v12
	s_delay_alu instid0(VALU_DEP_3) | instskip(NEXT) | instid1(VALU_DEP_3)
	v_clz_i32_u32_e32 v56, v135
	v_cmp_eq_u32_e32 vcc_lo, 0, v58
	s_delay_alu instid0(VALU_DEP_2) | instskip(NEXT) | instid1(VALU_DEP_1)
	v_min_u32_e32 v56, 32, v56
	v_subrev_nc_u32_e32 v57, 29, v56
	v_sub_nc_u32_e32 v56, 30, v56
	s_delay_alu instid0(VALU_DEP_2) | instskip(NEXT) | instid1(VALU_DEP_1)
	v_lshlrev_b32_e32 v57, v57, v12
	v_dual_cndmask_b32 v56, v58, v56 :: v_dual_and_b32 v57, 3, v57
	s_delay_alu instid0(VALU_DEP_1) | instskip(NEXT) | instid1(VALU_DEP_2)
	v_lshl_add_u32 v56, v56, 23, 0x37800000
	v_cndmask_b32_e32 v135, v135, v57, vcc_lo
	v_and_b32_e32 v57, 0x80000000, v59
	s_delay_alu instid0(VALU_DEP_2) | instskip(NEXT) | instid1(VALU_DEP_1)
	v_lshlrev_b32_e32 v135, 21, v135
	v_or3_b32 v135, v57, v56, v135
.LBB4_5277:                             ;   in Loop: Header=BB4_4876 Depth=3
	s_or_b32 exec_lo, exec_lo, s17
	s_delay_alu instid0(VALU_DEP_1) | instskip(NEXT) | instid1(VALU_DEP_1)
	v_add_f32_e32 v47, v47, v135
	v_and_b32_e32 v135, 0x7f800000, v47
	s_delay_alu instid0(VALU_DEP_1)
	v_cmp_ne_u32_e32 vcc_lo, 0x7f800000, v135
	v_mov_b32_e32 v135, 0x80
	s_and_saveexec_b32 s17, vcc_lo
	s_cbranch_execz .LBB4_5285
; %bb.5278:                             ;   in Loop: Header=BB4_4876 Depth=3
	v_mov_b32_e32 v135, 0
	s_mov_b32 s30, exec_lo
	v_cmpx_ne_u32_e32 0, v47
	s_cbranch_execz .LBB4_5284
; %bb.5279:                             ;   in Loop: Header=BB4_4876 Depth=3
	v_bfe_u32 v135, v47, 23, 8
	s_delay_alu instid0(VALU_DEP_1) | instskip(SKIP_1) | instid1(VALU_DEP_2)
	v_sub_nc_u32_e32 v57, 0x70, v135
	v_cmp_gt_u32_e32 vcc_lo, 0x71, v135
	v_dual_cndmask_b32 v57, 0, v57 :: v_dual_and_b32 v56, 0x7fffff, v47
	s_delay_alu instid0(VALU_DEP_1) | instskip(SKIP_2) | instid1(VALU_DEP_4)
	v_or_b32_e32 v58, 0x800000, v56
	v_cmp_eq_u32_e32 vcc_lo, 0, v135
	v_add_nc_u32_e32 v135, 0xffffff91, v135
	v_cndmask_b32_e64 v57, v57, 0x6f, vcc_lo
	s_delay_alu instid0(VALU_DEP_4) | instskip(NEXT) | instid1(VALU_DEP_3)
	v_cndmask_b32_e32 v56, v58, v56, vcc_lo
	v_cndmask_b32_e64 v135, v135, 0xffffff92, vcc_lo
	s_delay_alu instid0(VALU_DEP_3) | instskip(NEXT) | instid1(VALU_DEP_3)
	v_lshl_add_u32 v58, 0x200000, v57, -1
	v_lshrrev_b32_e32 v59, v57, v56
	v_lshlrev_b32_e64 v61, v57, 0x100000
	s_delay_alu instid0(VALU_DEP_4) | instskip(NEXT) | instid1(VALU_DEP_4)
	v_add_nc_u32_e32 v57, v57, v135
	v_and_b32_e32 v56, v58, v56
	s_delay_alu instid0(VALU_DEP_4) | instskip(NEXT) | instid1(VALU_DEP_2)
	v_bfe_u32 v60, v59, 21, 1
	v_cmp_eq_u32_e64 s13, v56, v61
	s_delay_alu instid0(VALU_DEP_2) | instskip(NEXT) | instid1(VALU_DEP_1)
	v_add_nc_u32_e32 v58, -1, v60
	v_cndmask_b32_e64 v56, 0, v58, s13
	v_lshrrev_b32_e32 v58, 23, v59
	s_mov_b32 s13, exec_lo
	s_delay_alu instid0(VALU_DEP_2) | instskip(NEXT) | instid1(VALU_DEP_2)
	v_add_nc_u32_e32 v56, v56, v59
	v_xor_b32_e32 v58, 1, v58
	s_delay_alu instid0(VALU_DEP_2) | instskip(NEXT) | instid1(VALU_DEP_1)
	v_and_b32_e32 v135, 0x1fffff, v56
	v_add_nc_u32_e32 v56, v135, v59
                                        ; implicit-def: $vgpr135
	s_delay_alu instid0(VALU_DEP_3)
	v_cmpx_ne_u32_e64 v57, v58
	s_xor_b32 s13, exec_lo, s13
; %bb.5280:                             ;   in Loop: Header=BB4_4876 Depth=3
	s_delay_alu instid0(VALU_DEP_2) | instskip(SKIP_2) | instid1(VALU_DEP_2)
	v_cmp_lt_u32_e32 vcc_lo, 0xffffff, v56
	v_sub_nc_u32_e32 v135, v57, v58
	v_cndmask_b32_e64 v57, 0, 1, vcc_lo
	v_add_co_ci_u32_e32 v135, vcc_lo, 0, v135, vcc_lo
	s_delay_alu instid0(VALU_DEP_2)
	v_lshrrev_b32_e32 v56, v57, v56
; %bb.5281:                             ;   in Loop: Header=BB4_4876 Depth=3
	s_and_not1_saveexec_b32 s13, s13
; %bb.5282:                             ;   in Loop: Header=BB4_4876 Depth=3
	s_delay_alu instid0(VALU_DEP_1)
	v_bfe_u32 v135, v56, 23, 1
; %bb.5283:                             ;   in Loop: Header=BB4_4876 Depth=3
	s_or_b32 exec_lo, exec_lo, s13
	v_lshrrev_b32_e32 v56, 21, v56
	s_delay_alu instid0(VALU_DEP_2) | instskip(SKIP_2) | instid1(VALU_DEP_2)
	v_cmp_gt_i32_e32 vcc_lo, 32, v135
	v_lshrrev_b32_e32 v47, 24, v47
	v_min_i32_e32 v57, 31, v135
	v_dual_cndmask_b32 v56, 3, v56 :: v_dual_and_b32 v47, 0x80, v47
	s_delay_alu instid0(VALU_DEP_2) | instskip(NEXT) | instid1(VALU_DEP_2)
	v_lshlrev_b32_e32 v57, 2, v57
	v_or_b32_e32 v135, v135, v56
	s_delay_alu instid0(VALU_DEP_1) | instskip(SKIP_1) | instid1(VALU_DEP_1)
	v_cmp_ne_u32_e32 vcc_lo, 0, v135
	v_and_b32_e32 v58, 3, v56
	v_or3_b32 v47, v57, v47, v58
	s_delay_alu instid0(VALU_DEP_1)
	v_cndmask_b32_e32 v135, 0, v47, vcc_lo
.LBB4_5284:                             ;   in Loop: Header=BB4_4876 Depth=3
	s_or_b32 exec_lo, exec_lo, s30
.LBB4_5285:                             ;   in Loop: Header=BB4_4876 Depth=3
	s_delay_alu instid0(SALU_CYCLE_1) | instskip(SKIP_3) | instid1(VALU_DEP_1)
	s_or_b32 exec_lo, exec_lo, s17
	v_and_b32_e32 v56, 0xff, v147
	s_mov_b32 s13, 0
	s_mov_b32 s30, exec_lo
                                        ; implicit-def: $sgpr17
	v_cmpx_lt_i16_e32 0x7f, v56
	s_xor_b32 s30, exec_lo, s30
	s_cbranch_execnz .LBB4_5915
; %bb.5286:                             ;   in Loop: Header=BB4_4876 Depth=3
	s_or_saveexec_b32 s30, s30
	v_mov_b32_e32 v47, s17
	s_xor_b32 exec_lo, exec_lo, s30
	s_cbranch_execnz .LBB4_5918
.LBB4_5287:                             ;   in Loop: Header=BB4_4876 Depth=3
	s_or_b32 exec_lo, exec_lo, s30
	s_and_saveexec_b32 s17, s13
	s_cbranch_execz .LBB4_5289
.LBB4_5288:                             ;   in Loop: Header=BB4_4876 Depth=3
	v_bfe_u32 v58, v147, 2, 5
	s_delay_alu instid0(VALU_DEP_1) | instskip(SKIP_1) | instid1(VALU_DEP_1)
	v_cmp_eq_u32_e32 vcc_lo, 0, v58
	v_and_b32_e32 v47, 3, v147
	v_clz_i32_u32_e32 v56, v47
	s_delay_alu instid0(VALU_DEP_1) | instskip(NEXT) | instid1(VALU_DEP_1)
	v_min_u32_e32 v56, 32, v56
	v_subrev_nc_u32_e32 v57, 29, v56
	v_sub_nc_u32_e32 v56, 30, v56
	s_delay_alu instid0(VALU_DEP_1) | instskip(SKIP_1) | instid1(VALU_DEP_2)
	v_dual_cndmask_b32 v56, v58, v56 :: v_dual_lshlrev_b32 v57, v57, v147
	v_lshlrev_b32_e32 v147, 24, v147
	v_and_b32_e32 v57, 3, v57
	s_delay_alu instid0(VALU_DEP_3) | instskip(NEXT) | instid1(VALU_DEP_3)
	v_lshl_add_u32 v56, v56, 23, 0x37800000
	v_and_b32_e32 v147, 0x80000000, v147
	s_delay_alu instid0(VALU_DEP_3) | instskip(NEXT) | instid1(VALU_DEP_1)
	v_cndmask_b32_e32 v47, v47, v57, vcc_lo
	v_lshlrev_b32_e32 v47, 21, v47
	s_delay_alu instid0(VALU_DEP_1)
	v_or3_b32 v47, v147, v56, v47
.LBB4_5289:                             ;   in Loop: Header=BB4_4876 Depth=3
	s_or_b32 exec_lo, exec_lo, s17
	v_lshrrev_b16 v147, 8, v12
	s_mov_b32 s13, 0
	s_mov_b32 s30, exec_lo
                                        ; implicit-def: $sgpr17
	s_delay_alu instid0(VALU_DEP_1)
	v_cmpx_lt_i16_e64 0x7f, v147
	s_xor_b32 s30, exec_lo, s30
	s_cbranch_execnz .LBB4_5919
; %bb.5290:                             ;   in Loop: Header=BB4_4876 Depth=3
	s_or_saveexec_b32 s30, s30
	v_mov_b32_e32 v56, s17
	s_xor_b32 exec_lo, exec_lo, s30
	s_cbranch_execnz .LBB4_5922
.LBB4_5291:                             ;   in Loop: Header=BB4_4876 Depth=3
	s_or_b32 exec_lo, exec_lo, s30
	s_and_saveexec_b32 s17, s13
	s_cbranch_execz .LBB4_5293
.LBB4_5292:                             ;   in Loop: Header=BB4_4876 Depth=3
	v_and_b32_e32 v56, 0xffff, v147
	v_lshlrev_b32_e32 v147, 24, v147
	s_delay_alu instid0(VALU_DEP_2) | instskip(NEXT) | instid1(VALU_DEP_2)
	v_and_b32_e32 v57, 3, v56
	v_and_b32_e32 v147, 0x80000000, v147
	s_delay_alu instid0(VALU_DEP_2) | instskip(NEXT) | instid1(VALU_DEP_1)
	v_clz_i32_u32_e32 v58, v57
	v_min_u32_e32 v58, 32, v58
	s_delay_alu instid0(VALU_DEP_1) | instskip(SKIP_1) | instid1(VALU_DEP_2)
	v_subrev_nc_u32_e32 v59, 29, v58
	v_sub_nc_u32_e32 v58, 30, v58
	v_lshlrev_b32_e32 v59, v59, v56
	v_bfe_u32 v56, v56, 2, 5
	s_delay_alu instid0(VALU_DEP_2) | instskip(NEXT) | instid1(VALU_DEP_2)
	v_and_b32_e32 v59, 3, v59
	v_cmp_eq_u32_e32 vcc_lo, 0, v56
	s_delay_alu instid0(VALU_DEP_2) | instskip(NEXT) | instid1(VALU_DEP_1)
	v_dual_cndmask_b32 v56, v56, v58 :: v_dual_cndmask_b32 v57, v57, v59
	v_lshl_add_u32 v56, v56, 23, 0x37800000
	s_delay_alu instid0(VALU_DEP_2) | instskip(NEXT) | instid1(VALU_DEP_1)
	v_lshlrev_b32_e32 v57, 21, v57
	v_or3_b32 v56, v147, v56, v57
.LBB4_5293:                             ;   in Loop: Header=BB4_4876 Depth=3
	s_or_b32 exec_lo, exec_lo, s17
	s_delay_alu instid0(VALU_DEP_1) | instskip(NEXT) | instid1(VALU_DEP_1)
	v_add_f32_e32 v47, v47, v56
	v_and_b32_e32 v147, 0x7f800000, v47
	s_delay_alu instid0(VALU_DEP_1)
	v_cmp_ne_u32_e32 vcc_lo, 0x7f800000, v147
	v_mov_b32_e32 v147, 0x80
	s_and_saveexec_b32 s17, vcc_lo
	s_cbranch_execz .LBB4_5301
; %bb.5294:                             ;   in Loop: Header=BB4_4876 Depth=3
	v_mov_b32_e32 v147, 0
	s_mov_b32 s30, exec_lo
	v_cmpx_ne_u32_e32 0, v47
	s_cbranch_execz .LBB4_5300
; %bb.5295:                             ;   in Loop: Header=BB4_4876 Depth=3
	v_bfe_u32 v147, v47, 23, 8
	s_delay_alu instid0(VALU_DEP_1) | instskip(SKIP_1) | instid1(VALU_DEP_2)
	v_sub_nc_u32_e32 v57, 0x70, v147
	v_cmp_gt_u32_e32 vcc_lo, 0x71, v147
	v_dual_cndmask_b32 v57, 0, v57 :: v_dual_and_b32 v56, 0x7fffff, v47
	s_delay_alu instid0(VALU_DEP_1) | instskip(SKIP_2) | instid1(VALU_DEP_4)
	v_or_b32_e32 v58, 0x800000, v56
	v_cmp_eq_u32_e32 vcc_lo, 0, v147
	v_add_nc_u32_e32 v147, 0xffffff91, v147
	v_cndmask_b32_e64 v57, v57, 0x6f, vcc_lo
	s_delay_alu instid0(VALU_DEP_4) | instskip(NEXT) | instid1(VALU_DEP_3)
	v_cndmask_b32_e32 v56, v58, v56, vcc_lo
	v_cndmask_b32_e64 v147, v147, 0xffffff92, vcc_lo
	s_delay_alu instid0(VALU_DEP_3) | instskip(NEXT) | instid1(VALU_DEP_3)
	v_lshl_add_u32 v58, 0x200000, v57, -1
	v_lshrrev_b32_e32 v59, v57, v56
	v_lshlrev_b32_e64 v61, v57, 0x100000
	s_delay_alu instid0(VALU_DEP_4) | instskip(NEXT) | instid1(VALU_DEP_4)
	v_add_nc_u32_e32 v57, v57, v147
	v_and_b32_e32 v56, v58, v56
	s_delay_alu instid0(VALU_DEP_4) | instskip(NEXT) | instid1(VALU_DEP_2)
	v_bfe_u32 v60, v59, 21, 1
	v_cmp_eq_u32_e64 s13, v56, v61
	s_delay_alu instid0(VALU_DEP_2) | instskip(NEXT) | instid1(VALU_DEP_1)
	v_add_nc_u32_e32 v58, -1, v60
	v_cndmask_b32_e64 v56, 0, v58, s13
	v_lshrrev_b32_e32 v58, 23, v59
	s_mov_b32 s13, exec_lo
	s_delay_alu instid0(VALU_DEP_2) | instskip(NEXT) | instid1(VALU_DEP_2)
	v_add_nc_u32_e32 v56, v56, v59
	v_xor_b32_e32 v58, 1, v58
	s_delay_alu instid0(VALU_DEP_2) | instskip(NEXT) | instid1(VALU_DEP_1)
	v_and_b32_e32 v147, 0x1fffff, v56
	v_add_nc_u32_e32 v56, v147, v59
                                        ; implicit-def: $vgpr147
	s_delay_alu instid0(VALU_DEP_3)
	v_cmpx_ne_u32_e64 v57, v58
	s_xor_b32 s13, exec_lo, s13
; %bb.5296:                             ;   in Loop: Header=BB4_4876 Depth=3
	s_delay_alu instid0(VALU_DEP_2) | instskip(SKIP_2) | instid1(VALU_DEP_2)
	v_cmp_lt_u32_e32 vcc_lo, 0xffffff, v56
	v_sub_nc_u32_e32 v147, v57, v58
	v_cndmask_b32_e64 v57, 0, 1, vcc_lo
	v_add_co_ci_u32_e32 v147, vcc_lo, 0, v147, vcc_lo
	s_delay_alu instid0(VALU_DEP_2)
	v_lshrrev_b32_e32 v56, v57, v56
; %bb.5297:                             ;   in Loop: Header=BB4_4876 Depth=3
	s_and_not1_saveexec_b32 s13, s13
; %bb.5298:                             ;   in Loop: Header=BB4_4876 Depth=3
	s_delay_alu instid0(VALU_DEP_1)
	v_bfe_u32 v147, v56, 23, 1
; %bb.5299:                             ;   in Loop: Header=BB4_4876 Depth=3
	s_or_b32 exec_lo, exec_lo, s13
	v_lshrrev_b32_e32 v56, 21, v56
	s_delay_alu instid0(VALU_DEP_2) | instskip(SKIP_2) | instid1(VALU_DEP_2)
	v_cmp_gt_i32_e32 vcc_lo, 32, v147
	v_lshrrev_b32_e32 v47, 24, v47
	v_min_i32_e32 v57, 31, v147
	v_dual_cndmask_b32 v56, 3, v56 :: v_dual_and_b32 v47, 0x80, v47
	s_delay_alu instid0(VALU_DEP_2) | instskip(NEXT) | instid1(VALU_DEP_2)
	v_lshlrev_b32_e32 v57, 2, v57
	v_or_b32_e32 v147, v147, v56
	s_delay_alu instid0(VALU_DEP_1) | instskip(SKIP_1) | instid1(VALU_DEP_1)
	v_cmp_ne_u32_e32 vcc_lo, 0, v147
	v_and_b32_e32 v58, 3, v56
	v_or3_b32 v47, v57, v47, v58
	s_delay_alu instid0(VALU_DEP_1)
	v_cndmask_b32_e32 v147, 0, v47, vcc_lo
.LBB4_5300:                             ;   in Loop: Header=BB4_4876 Depth=3
	s_or_b32 exec_lo, exec_lo, s30
.LBB4_5301:                             ;   in Loop: Header=BB4_4876 Depth=3
	s_delay_alu instid0(SALU_CYCLE_1) | instskip(SKIP_3) | instid1(VALU_DEP_1)
	s_or_b32 exec_lo, exec_lo, s17
	v_and_b32_e32 v56, 0xff, v161
	s_mov_b32 s13, 0
	s_mov_b32 s30, exec_lo
                                        ; implicit-def: $sgpr17
	v_cmpx_lt_i16_e32 0x7f, v56
	s_xor_b32 s30, exec_lo, s30
	s_cbranch_execnz .LBB4_5923
; %bb.5302:                             ;   in Loop: Header=BB4_4876 Depth=3
	s_or_saveexec_b32 s30, s30
	v_mov_b32_e32 v47, s17
	s_xor_b32 exec_lo, exec_lo, s30
	s_cbranch_execnz .LBB4_5926
.LBB4_5303:                             ;   in Loop: Header=BB4_4876 Depth=3
	s_or_b32 exec_lo, exec_lo, s30
	s_and_saveexec_b32 s17, s13
	s_cbranch_execz .LBB4_5305
.LBB4_5304:                             ;   in Loop: Header=BB4_4876 Depth=3
	v_bfe_u32 v58, v161, 2, 5
	s_delay_alu instid0(VALU_DEP_1) | instskip(SKIP_1) | instid1(VALU_DEP_1)
	v_cmp_eq_u32_e32 vcc_lo, 0, v58
	v_and_b32_e32 v47, 3, v161
	v_clz_i32_u32_e32 v56, v47
	s_delay_alu instid0(VALU_DEP_1) | instskip(NEXT) | instid1(VALU_DEP_1)
	v_min_u32_e32 v56, 32, v56
	v_subrev_nc_u32_e32 v57, 29, v56
	v_sub_nc_u32_e32 v56, 30, v56
	s_delay_alu instid0(VALU_DEP_1) | instskip(SKIP_1) | instid1(VALU_DEP_2)
	v_dual_cndmask_b32 v56, v58, v56 :: v_dual_lshlrev_b32 v57, v57, v161
	v_lshlrev_b32_e32 v161, 24, v161
	v_and_b32_e32 v57, 3, v57
	s_delay_alu instid0(VALU_DEP_3) | instskip(NEXT) | instid1(VALU_DEP_3)
	v_lshl_add_u32 v56, v56, 23, 0x37800000
	v_and_b32_e32 v161, 0x80000000, v161
	s_delay_alu instid0(VALU_DEP_3) | instskip(NEXT) | instid1(VALU_DEP_1)
	v_cndmask_b32_e32 v47, v47, v57, vcc_lo
	v_lshlrev_b32_e32 v47, 21, v47
	s_delay_alu instid0(VALU_DEP_1)
	v_or3_b32 v47, v161, v56, v47
.LBB4_5305:                             ;   in Loop: Header=BB4_4876 Depth=3
	s_or_b32 exec_lo, exec_lo, s17
	v_lshrrev_b32_e32 v161, 16, v12
	s_mov_b32 s13, 0
	s_mov_b32 s30, exec_lo
                                        ; implicit-def: $sgpr17
	s_delay_alu instid0(VALU_DEP_1) | instskip(NEXT) | instid1(VALU_DEP_1)
	v_and_b32_e32 v57, 0xff, v161
	v_cmpx_lt_i16_e32 0x7f, v57
	s_xor_b32 s30, exec_lo, s30
	s_cbranch_execnz .LBB4_5927
; %bb.5306:                             ;   in Loop: Header=BB4_4876 Depth=3
	s_or_saveexec_b32 s30, s30
	v_mov_b32_e32 v56, s17
	s_xor_b32 exec_lo, exec_lo, s30
	s_cbranch_execnz .LBB4_5930
.LBB4_5307:                             ;   in Loop: Header=BB4_4876 Depth=3
	s_or_b32 exec_lo, exec_lo, s30
	s_and_saveexec_b32 s17, s13
	s_cbranch_execz .LBB4_5309
.LBB4_5308:                             ;   in Loop: Header=BB4_4876 Depth=3
	v_bfe_u32 v56, v12, 16, 2
	v_lshlrev_b32_e32 v59, 8, v12
	s_delay_alu instid0(VALU_DEP_2) | instskip(NEXT) | instid1(VALU_DEP_1)
	v_clz_i32_u32_e32 v57, v56
	v_min_u32_e32 v57, 32, v57
	s_delay_alu instid0(VALU_DEP_1) | instskip(SKIP_1) | instid1(VALU_DEP_2)
	v_subrev_nc_u32_e32 v58, 29, v57
	v_sub_nc_u32_e32 v57, 30, v57
	v_lshlrev_b32_e32 v161, v58, v161
	v_bfe_u32 v58, v12, 18, 5
	s_delay_alu instid0(VALU_DEP_2) | instskip(NEXT) | instid1(VALU_DEP_2)
	v_and_b32_e32 v161, 3, v161
	v_cmp_eq_u32_e32 vcc_lo, 0, v58
	v_cndmask_b32_e32 v57, v58, v57, vcc_lo
	s_delay_alu instid0(VALU_DEP_3) | instskip(NEXT) | instid1(VALU_DEP_2)
	v_dual_cndmask_b32 v161, v56, v161 :: v_dual_and_b32 v56, 0x80000000, v59
	v_lshl_add_u32 v57, v57, 23, 0x37800000
	s_delay_alu instid0(VALU_DEP_2) | instskip(NEXT) | instid1(VALU_DEP_1)
	v_lshlrev_b32_e32 v161, 21, v161
	v_or3_b32 v56, v56, v57, v161
.LBB4_5309:                             ;   in Loop: Header=BB4_4876 Depth=3
	s_or_b32 exec_lo, exec_lo, s17
	s_delay_alu instid0(VALU_DEP_1) | instskip(NEXT) | instid1(VALU_DEP_1)
	v_add_f32_e32 v47, v47, v56
	v_and_b32_e32 v161, 0x7f800000, v47
	s_delay_alu instid0(VALU_DEP_1)
	v_cmp_ne_u32_e32 vcc_lo, 0x7f800000, v161
	v_mov_b32_e32 v161, 0x80
	s_and_saveexec_b32 s17, vcc_lo
	s_cbranch_execz .LBB4_5317
; %bb.5310:                             ;   in Loop: Header=BB4_4876 Depth=3
	v_mov_b32_e32 v161, 0
	s_mov_b32 s30, exec_lo
	v_cmpx_ne_u32_e32 0, v47
	s_cbranch_execz .LBB4_5316
; %bb.5311:                             ;   in Loop: Header=BB4_4876 Depth=3
	v_bfe_u32 v161, v47, 23, 8
	s_delay_alu instid0(VALU_DEP_1) | instskip(SKIP_1) | instid1(VALU_DEP_2)
	v_sub_nc_u32_e32 v57, 0x70, v161
	v_cmp_gt_u32_e32 vcc_lo, 0x71, v161
	v_dual_cndmask_b32 v57, 0, v57 :: v_dual_and_b32 v56, 0x7fffff, v47
	s_delay_alu instid0(VALU_DEP_1) | instskip(SKIP_2) | instid1(VALU_DEP_4)
	v_or_b32_e32 v58, 0x800000, v56
	v_cmp_eq_u32_e32 vcc_lo, 0, v161
	v_add_nc_u32_e32 v161, 0xffffff91, v161
	v_cndmask_b32_e64 v57, v57, 0x6f, vcc_lo
	s_delay_alu instid0(VALU_DEP_4) | instskip(NEXT) | instid1(VALU_DEP_3)
	v_cndmask_b32_e32 v56, v58, v56, vcc_lo
	v_cndmask_b32_e64 v161, v161, 0xffffff92, vcc_lo
	s_delay_alu instid0(VALU_DEP_3) | instskip(NEXT) | instid1(VALU_DEP_3)
	v_lshl_add_u32 v58, 0x200000, v57, -1
	v_lshrrev_b32_e32 v59, v57, v56
	v_lshlrev_b32_e64 v61, v57, 0x100000
	s_delay_alu instid0(VALU_DEP_4) | instskip(NEXT) | instid1(VALU_DEP_4)
	v_add_nc_u32_e32 v57, v57, v161
	v_and_b32_e32 v56, v58, v56
	s_delay_alu instid0(VALU_DEP_4) | instskip(NEXT) | instid1(VALU_DEP_2)
	v_bfe_u32 v60, v59, 21, 1
	v_cmp_eq_u32_e64 s13, v56, v61
	s_delay_alu instid0(VALU_DEP_2) | instskip(NEXT) | instid1(VALU_DEP_1)
	v_add_nc_u32_e32 v58, -1, v60
	v_cndmask_b32_e64 v56, 0, v58, s13
	v_lshrrev_b32_e32 v58, 23, v59
	s_mov_b32 s13, exec_lo
	s_delay_alu instid0(VALU_DEP_2) | instskip(NEXT) | instid1(VALU_DEP_2)
	v_add_nc_u32_e32 v56, v56, v59
	v_xor_b32_e32 v58, 1, v58
	s_delay_alu instid0(VALU_DEP_2) | instskip(NEXT) | instid1(VALU_DEP_1)
	v_and_b32_e32 v161, 0x1fffff, v56
	v_add_nc_u32_e32 v56, v161, v59
                                        ; implicit-def: $vgpr161
	s_delay_alu instid0(VALU_DEP_3)
	v_cmpx_ne_u32_e64 v57, v58
	s_xor_b32 s13, exec_lo, s13
; %bb.5312:                             ;   in Loop: Header=BB4_4876 Depth=3
	s_delay_alu instid0(VALU_DEP_2) | instskip(SKIP_2) | instid1(VALU_DEP_2)
	v_cmp_lt_u32_e32 vcc_lo, 0xffffff, v56
	v_sub_nc_u32_e32 v161, v57, v58
	v_cndmask_b32_e64 v57, 0, 1, vcc_lo
	v_add_co_ci_u32_e32 v161, vcc_lo, 0, v161, vcc_lo
	s_delay_alu instid0(VALU_DEP_2)
	v_lshrrev_b32_e32 v56, v57, v56
; %bb.5313:                             ;   in Loop: Header=BB4_4876 Depth=3
	s_and_not1_saveexec_b32 s13, s13
; %bb.5314:                             ;   in Loop: Header=BB4_4876 Depth=3
	s_delay_alu instid0(VALU_DEP_1)
	v_bfe_u32 v161, v56, 23, 1
; %bb.5315:                             ;   in Loop: Header=BB4_4876 Depth=3
	s_or_b32 exec_lo, exec_lo, s13
	v_lshrrev_b32_e32 v56, 21, v56
	s_delay_alu instid0(VALU_DEP_2) | instskip(SKIP_2) | instid1(VALU_DEP_2)
	v_cmp_gt_i32_e32 vcc_lo, 32, v161
	v_lshrrev_b32_e32 v47, 24, v47
	v_min_i32_e32 v57, 31, v161
	v_dual_cndmask_b32 v56, 3, v56 :: v_dual_and_b32 v47, 0x80, v47
	s_delay_alu instid0(VALU_DEP_2) | instskip(NEXT) | instid1(VALU_DEP_2)
	v_lshlrev_b32_e32 v57, 2, v57
	v_or_b32_e32 v161, v161, v56
	s_delay_alu instid0(VALU_DEP_1) | instskip(SKIP_1) | instid1(VALU_DEP_1)
	v_cmp_ne_u32_e32 vcc_lo, 0, v161
	v_and_b32_e32 v58, 3, v56
	v_or3_b32 v47, v57, v47, v58
	s_delay_alu instid0(VALU_DEP_1)
	v_cndmask_b32_e32 v161, 0, v47, vcc_lo
.LBB4_5316:                             ;   in Loop: Header=BB4_4876 Depth=3
	s_or_b32 exec_lo, exec_lo, s30
.LBB4_5317:                             ;   in Loop: Header=BB4_4876 Depth=3
	s_delay_alu instid0(SALU_CYCLE_1) | instskip(SKIP_3) | instid1(VALU_DEP_1)
	s_or_b32 exec_lo, exec_lo, s17
	v_and_b32_e32 v56, 0xff, v179
	s_mov_b32 s13, 0
	s_mov_b32 s30, exec_lo
                                        ; implicit-def: $sgpr17
	v_cmpx_lt_i16_e32 0x7f, v56
	s_xor_b32 s30, exec_lo, s30
	s_cbranch_execnz .LBB4_5931
; %bb.5318:                             ;   in Loop: Header=BB4_4876 Depth=3
	s_or_saveexec_b32 s30, s30
	v_mov_b32_e32 v47, s17
	s_xor_b32 exec_lo, exec_lo, s30
	s_cbranch_execnz .LBB4_5934
.LBB4_5319:                             ;   in Loop: Header=BB4_4876 Depth=3
	s_or_b32 exec_lo, exec_lo, s30
	s_and_saveexec_b32 s17, s13
	s_cbranch_execz .LBB4_5321
.LBB4_5320:                             ;   in Loop: Header=BB4_4876 Depth=3
	v_lshlrev_b32_e32 v179, 8, v179
	s_delay_alu instid0(VALU_DEP_1) | instskip(SKIP_1) | instid1(VALU_DEP_2)
	v_and_b32_e32 v47, 0xff00, v179
	v_bfe_u32 v179, v179, 10, 5
	v_bfe_u32 v57, v47, 8, 2
	s_delay_alu instid0(VALU_DEP_2) | instskip(SKIP_1) | instid1(VALU_DEP_3)
	v_cmp_eq_u32_e32 vcc_lo, 0, v179
	v_lshlrev_b32_e32 v47, 16, v47
	v_clz_i32_u32_e32 v58, v57
	s_delay_alu instid0(VALU_DEP_2) | instskip(NEXT) | instid1(VALU_DEP_2)
	v_and_b32_e32 v47, 0x80000000, v47
	v_min_u32_e32 v58, 32, v58
	s_delay_alu instid0(VALU_DEP_1) | instskip(SKIP_1) | instid1(VALU_DEP_2)
	v_subrev_nc_u32_e32 v59, 29, v58
	v_sub_nc_u32_e32 v58, 30, v58
	v_lshlrev_b32_e32 v56, v59, v56
	s_delay_alu instid0(VALU_DEP_1) | instskip(NEXT) | instid1(VALU_DEP_1)
	v_dual_cndmask_b32 v179, v179, v58 :: v_dual_and_b32 v56, 3, v56
	v_lshl_add_u32 v179, v179, 23, 0x37800000
	s_delay_alu instid0(VALU_DEP_2) | instskip(NEXT) | instid1(VALU_DEP_1)
	v_cndmask_b32_e32 v56, v57, v56, vcc_lo
	v_lshlrev_b32_e32 v56, 21, v56
	s_delay_alu instid0(VALU_DEP_1)
	v_or3_b32 v47, v47, v179, v56
.LBB4_5321:                             ;   in Loop: Header=BB4_4876 Depth=3
	s_or_b32 exec_lo, exec_lo, s17
	v_lshrrev_b32_e32 v179, 24, v12
	s_mov_b32 s13, 0
	s_mov_b32 s30, exec_lo
                                        ; implicit-def: $sgpr17
	s_delay_alu instid0(VALU_DEP_1)
	v_cmpx_lt_i16_e64 0x7f, v179
	s_xor_b32 s30, exec_lo, s30
	s_cbranch_execnz .LBB4_5935
; %bb.5322:                             ;   in Loop: Header=BB4_4876 Depth=3
	s_or_saveexec_b32 s30, s30
	v_mov_b32_e32 v56, s17
	s_xor_b32 exec_lo, exec_lo, s30
	s_cbranch_execnz .LBB4_5938
.LBB4_5323:                             ;   in Loop: Header=BB4_4876 Depth=3
	s_or_b32 exec_lo, exec_lo, s30
	s_and_saveexec_b32 s17, s13
	s_cbranch_execz .LBB4_5325
.LBB4_5324:                             ;   in Loop: Header=BB4_4876 Depth=3
	v_bfe_u32 v56, v12, 24, 2
	s_delay_alu instid0(VALU_DEP_1) | instskip(NEXT) | instid1(VALU_DEP_1)
	v_clz_i32_u32_e32 v57, v56
	v_min_u32_e32 v57, 32, v57
	s_delay_alu instid0(VALU_DEP_1) | instskip(SKIP_1) | instid1(VALU_DEP_2)
	v_subrev_nc_u32_e32 v58, 29, v57
	v_sub_nc_u32_e32 v57, 30, v57
	v_lshlrev_b32_e32 v179, v58, v179
	v_bfe_u32 v58, v12, 26, 5
	v_and_b32_e32 v12, 0x80000000, v12
	s_delay_alu instid0(VALU_DEP_3) | instskip(NEXT) | instid1(VALU_DEP_3)
	v_and_b32_e32 v179, 3, v179
	v_cmp_eq_u32_e32 vcc_lo, 0, v58
	v_cndmask_b32_e32 v57, v58, v57, vcc_lo
	s_delay_alu instid0(VALU_DEP_3) | instskip(NEXT) | instid1(VALU_DEP_2)
	v_cndmask_b32_e32 v179, v56, v179, vcc_lo
	v_lshl_add_u32 v56, v57, 23, 0x37800000
	s_delay_alu instid0(VALU_DEP_2) | instskip(NEXT) | instid1(VALU_DEP_1)
	v_lshlrev_b32_e32 v179, 21, v179
	v_or3_b32 v56, v12, v56, v179
.LBB4_5325:                             ;   in Loop: Header=BB4_4876 Depth=3
	s_or_b32 exec_lo, exec_lo, s17
	s_delay_alu instid0(VALU_DEP_1) | instskip(NEXT) | instid1(VALU_DEP_1)
	v_add_f32_e32 v179, v47, v56
	v_and_b32_e32 v12, 0x7f800000, v179
	s_delay_alu instid0(VALU_DEP_1)
	v_cmp_ne_u32_e32 vcc_lo, 0x7f800000, v12
	v_mov_b32_e32 v12, 0x80
	s_and_saveexec_b32 s17, vcc_lo
	s_cbranch_execz .LBB4_5333
; %bb.5326:                             ;   in Loop: Header=BB4_4876 Depth=3
	v_mov_b32_e32 v12, 0
	s_mov_b32 s30, exec_lo
	v_cmpx_ne_u32_e32 0, v179
	s_cbranch_execz .LBB4_5332
; %bb.5327:                             ;   in Loop: Header=BB4_4876 Depth=3
	v_bfe_u32 v12, v179, 23, 8
	s_delay_alu instid0(VALU_DEP_1) | instskip(SKIP_1) | instid1(VALU_DEP_2)
	v_sub_nc_u32_e32 v56, 0x70, v12
	v_cmp_gt_u32_e32 vcc_lo, 0x71, v12
	v_dual_cndmask_b32 v56, 0, v56 :: v_dual_and_b32 v47, 0x7fffff, v179
	s_delay_alu instid0(VALU_DEP_1) | instskip(SKIP_2) | instid1(VALU_DEP_4)
	v_or_b32_e32 v57, 0x800000, v47
	v_cmp_eq_u32_e32 vcc_lo, 0, v12
	v_add_nc_u32_e32 v12, 0xffffff91, v12
	v_cndmask_b32_e64 v56, v56, 0x6f, vcc_lo
	s_delay_alu instid0(VALU_DEP_4) | instskip(NEXT) | instid1(VALU_DEP_3)
	v_cndmask_b32_e32 v47, v57, v47, vcc_lo
	v_cndmask_b32_e64 v12, v12, 0xffffff92, vcc_lo
	s_delay_alu instid0(VALU_DEP_3) | instskip(NEXT) | instid1(VALU_DEP_3)
	v_lshl_add_u32 v57, 0x200000, v56, -1
	v_lshrrev_b32_e32 v58, v56, v47
	v_lshlrev_b32_e64 v60, v56, 0x100000
	s_delay_alu instid0(VALU_DEP_4) | instskip(NEXT) | instid1(VALU_DEP_4)
	v_add_nc_u32_e32 v56, v56, v12
	v_and_b32_e32 v47, v57, v47
	s_delay_alu instid0(VALU_DEP_4) | instskip(NEXT) | instid1(VALU_DEP_2)
	v_bfe_u32 v59, v58, 21, 1
	v_cmp_eq_u32_e64 s13, v47, v60
	s_delay_alu instid0(VALU_DEP_2) | instskip(NEXT) | instid1(VALU_DEP_1)
	v_add_nc_u32_e32 v57, -1, v59
	v_cndmask_b32_e64 v47, 0, v57, s13
	v_lshrrev_b32_e32 v57, 23, v58
	s_mov_b32 s13, exec_lo
	s_delay_alu instid0(VALU_DEP_2) | instskip(NEXT) | instid1(VALU_DEP_2)
	v_add_nc_u32_e32 v47, v47, v58
	v_xor_b32_e32 v57, 1, v57
	s_delay_alu instid0(VALU_DEP_2) | instskip(NEXT) | instid1(VALU_DEP_1)
	v_and_b32_e32 v12, 0x1fffff, v47
	v_add_nc_u32_e32 v47, v12, v58
                                        ; implicit-def: $vgpr12
	s_delay_alu instid0(VALU_DEP_3)
	v_cmpx_ne_u32_e64 v56, v57
	s_xor_b32 s13, exec_lo, s13
; %bb.5328:                             ;   in Loop: Header=BB4_4876 Depth=3
	s_delay_alu instid0(VALU_DEP_2) | instskip(SKIP_2) | instid1(VALU_DEP_2)
	v_cmp_lt_u32_e32 vcc_lo, 0xffffff, v47
	v_sub_nc_u32_e32 v12, v56, v57
	v_cndmask_b32_e64 v56, 0, 1, vcc_lo
	v_add_co_ci_u32_e32 v12, vcc_lo, 0, v12, vcc_lo
	s_delay_alu instid0(VALU_DEP_2)
	v_lshrrev_b32_e32 v47, v56, v47
; %bb.5329:                             ;   in Loop: Header=BB4_4876 Depth=3
	s_and_not1_saveexec_b32 s13, s13
; %bb.5330:                             ;   in Loop: Header=BB4_4876 Depth=3
	s_delay_alu instid0(VALU_DEP_1)
	v_bfe_u32 v12, v47, 23, 1
; %bb.5331:                             ;   in Loop: Header=BB4_4876 Depth=3
	s_or_b32 exec_lo, exec_lo, s13
	v_lshrrev_b32_e32 v47, 21, v47
	s_delay_alu instid0(VALU_DEP_2) | instskip(SKIP_2) | instid1(VALU_DEP_4)
	v_cmp_gt_i32_e32 vcc_lo, 32, v12
	v_lshrrev_b32_e32 v179, 24, v179
	v_min_i32_e32 v56, 31, v12
	v_cndmask_b32_e32 v47, 3, v47, vcc_lo
	s_delay_alu instid0(VALU_DEP_3) | instskip(NEXT) | instid1(VALU_DEP_3)
	v_and_b32_e32 v179, 0x80, v179
	v_lshlrev_b32_e32 v56, 2, v56
	s_delay_alu instid0(VALU_DEP_3) | instskip(SKIP_1) | instid1(VALU_DEP_2)
	v_and_b32_e32 v57, 3, v47
	v_or_b32_e32 v12, v12, v47
	v_or3_b32 v179, v56, v179, v57
	s_delay_alu instid0(VALU_DEP_2) | instskip(NEXT) | instid1(VALU_DEP_2)
	v_cmp_ne_u32_e32 vcc_lo, 0, v12
	v_cndmask_b32_e32 v12, 0, v179, vcc_lo
.LBB4_5332:                             ;   in Loop: Header=BB4_4876 Depth=3
	s_or_b32 exec_lo, exec_lo, s30
.LBB4_5333:                             ;   in Loop: Header=BB4_4876 Depth=3
	s_delay_alu instid0(SALU_CYCLE_1) | instskip(SKIP_3) | instid1(VALU_DEP_1)
	s_or_b32 exec_lo, exec_lo, s17
	v_or_b32_e32 v46, v46, v176
	s_mov_b32 s13, 0
	s_mov_b32 s30, exec_lo
                                        ; implicit-def: $sgpr17
	v_and_b32_e32 v179, 0xff, v46
	s_delay_alu instid0(VALU_DEP_1)
	v_cmpx_lt_i16_e64 0x7f, v179
	s_xor_b32 s30, exec_lo, s30
	s_cbranch_execnz .LBB4_5939
; %bb.5334:                             ;   in Loop: Header=BB4_4876 Depth=3
	s_or_saveexec_b32 s30, s30
	v_mov_b32_e32 v176, s17
	s_xor_b32 exec_lo, exec_lo, s30
	s_cbranch_execnz .LBB4_5942
.LBB4_5335:                             ;   in Loop: Header=BB4_4876 Depth=3
	s_or_b32 exec_lo, exec_lo, s30
	s_and_saveexec_b32 s17, s13
	s_cbranch_execz .LBB4_5337
.LBB4_5336:                             ;   in Loop: Header=BB4_4876 Depth=3
	v_bfe_u32 v56, v46, 2, 5
	s_delay_alu instid0(VALU_DEP_1) | instskip(SKIP_1) | instid1(VALU_DEP_1)
	v_cmp_eq_u32_e32 vcc_lo, 0, v56
	v_and_b32_e32 v176, 3, v46
	v_clz_i32_u32_e32 v179, v176
	s_delay_alu instid0(VALU_DEP_1) | instskip(NEXT) | instid1(VALU_DEP_1)
	v_min_u32_e32 v179, 32, v179
	v_subrev_nc_u32_e32 v47, 29, v179
	v_sub_nc_u32_e32 v179, 30, v179
	s_delay_alu instid0(VALU_DEP_2) | instskip(NEXT) | instid1(VALU_DEP_2)
	v_lshlrev_b32_e32 v47, v47, v46
	v_cndmask_b32_e32 v179, v56, v179, vcc_lo
	s_delay_alu instid0(VALU_DEP_2) | instskip(SKIP_1) | instid1(VALU_DEP_3)
	v_and_b32_e32 v47, 3, v47
	v_lshlrev_b32_e32 v57, 24, v46
	v_lshl_add_u32 v179, v179, 23, 0x37800000
	s_delay_alu instid0(VALU_DEP_2) | instskip(NEXT) | instid1(VALU_DEP_1)
	v_dual_cndmask_b32 v176, v176, v47 :: v_dual_and_b32 v47, 0x80000000, v57
	v_lshlrev_b32_e32 v176, 21, v176
	s_delay_alu instid0(VALU_DEP_1)
	v_or3_b32 v176, v47, v179, v176
.LBB4_5337:                             ;   in Loop: Header=BB4_4876 Depth=3
	s_or_b32 exec_lo, exec_lo, s17
	v_and_b32_e32 v47, 0xff, v13
	s_mov_b32 s13, 0
	s_mov_b32 s30, exec_lo
                                        ; implicit-def: $sgpr17
	s_delay_alu instid0(VALU_DEP_1)
	v_cmpx_lt_i16_e32 0x7f, v47
	s_xor_b32 s30, exec_lo, s30
	s_cbranch_execnz .LBB4_5943
; %bb.5338:                             ;   in Loop: Header=BB4_4876 Depth=3
	s_or_saveexec_b32 s30, s30
	v_mov_b32_e32 v179, s17
	s_xor_b32 exec_lo, exec_lo, s30
	s_cbranch_execnz .LBB4_5946
.LBB4_5339:                             ;   in Loop: Header=BB4_4876 Depth=3
	s_or_b32 exec_lo, exec_lo, s30
	s_and_saveexec_b32 s17, s13
	s_cbranch_execz .LBB4_5341
.LBB4_5340:                             ;   in Loop: Header=BB4_4876 Depth=3
	v_and_b32_e32 v179, 3, v13
	v_bfe_u32 v57, v13, 2, 5
	s_delay_alu instid0(VALU_DEP_2) | instskip(NEXT) | instid1(VALU_DEP_2)
	v_clz_i32_u32_e32 v47, v179
	v_cmp_eq_u32_e32 vcc_lo, 0, v57
	s_delay_alu instid0(VALU_DEP_2) | instskip(NEXT) | instid1(VALU_DEP_1)
	v_min_u32_e32 v47, 32, v47
	v_subrev_nc_u32_e32 v56, 29, v47
	v_sub_nc_u32_e32 v47, 30, v47
	s_delay_alu instid0(VALU_DEP_1) | instskip(NEXT) | instid1(VALU_DEP_1)
	v_dual_cndmask_b32 v47, v57, v47 :: v_dual_lshlrev_b32 v56, v56, v13
	v_and_b32_e32 v56, 3, v56
	v_lshlrev_b32_e32 v58, 24, v13
	s_delay_alu instid0(VALU_DEP_3) | instskip(NEXT) | instid1(VALU_DEP_2)
	v_lshl_add_u32 v47, v47, 23, 0x37800000
	v_dual_cndmask_b32 v179, v179, v56 :: v_dual_and_b32 v56, 0x80000000, v58
	s_delay_alu instid0(VALU_DEP_1) | instskip(NEXT) | instid1(VALU_DEP_1)
	v_lshlrev_b32_e32 v179, 21, v179
	v_or3_b32 v179, v56, v47, v179
.LBB4_5341:                             ;   in Loop: Header=BB4_4876 Depth=3
	s_or_b32 exec_lo, exec_lo, s17
	s_delay_alu instid0(VALU_DEP_1) | instskip(NEXT) | instid1(VALU_DEP_1)
	v_add_f32_e32 v179, v176, v179
	v_and_b32_e32 v176, 0x7f800000, v179
	s_delay_alu instid0(VALU_DEP_1)
	v_cmp_ne_u32_e32 vcc_lo, 0x7f800000, v176
	v_mov_b32_e32 v176, 0x80
	s_and_saveexec_b32 s17, vcc_lo
	s_cbranch_execz .LBB4_5349
; %bb.5342:                             ;   in Loop: Header=BB4_4876 Depth=3
	v_mov_b32_e32 v176, 0
	s_mov_b32 s30, exec_lo
	v_cmpx_ne_u32_e32 0, v179
	s_cbranch_execz .LBB4_5348
; %bb.5343:                             ;   in Loop: Header=BB4_4876 Depth=3
	v_bfe_u32 v176, v179, 23, 8
	s_delay_alu instid0(VALU_DEP_1) | instskip(SKIP_1) | instid1(VALU_DEP_2)
	v_sub_nc_u32_e32 v56, 0x70, v176
	v_cmp_gt_u32_e32 vcc_lo, 0x71, v176
	v_dual_cndmask_b32 v56, 0, v56 :: v_dual_and_b32 v47, 0x7fffff, v179
	s_delay_alu instid0(VALU_DEP_1) | instskip(SKIP_2) | instid1(VALU_DEP_4)
	v_or_b32_e32 v57, 0x800000, v47
	v_cmp_eq_u32_e32 vcc_lo, 0, v176
	v_add_nc_u32_e32 v176, 0xffffff91, v176
	v_cndmask_b32_e64 v56, v56, 0x6f, vcc_lo
	s_delay_alu instid0(VALU_DEP_4) | instskip(NEXT) | instid1(VALU_DEP_3)
	v_cndmask_b32_e32 v47, v57, v47, vcc_lo
	v_cndmask_b32_e64 v176, v176, 0xffffff92, vcc_lo
	s_delay_alu instid0(VALU_DEP_3) | instskip(NEXT) | instid1(VALU_DEP_3)
	v_lshl_add_u32 v57, 0x200000, v56, -1
	v_lshrrev_b32_e32 v58, v56, v47
	v_lshlrev_b32_e64 v60, v56, 0x100000
	s_delay_alu instid0(VALU_DEP_4) | instskip(NEXT) | instid1(VALU_DEP_4)
	v_add_nc_u32_e32 v56, v56, v176
	v_and_b32_e32 v47, v57, v47
	s_delay_alu instid0(VALU_DEP_4) | instskip(NEXT) | instid1(VALU_DEP_2)
	v_bfe_u32 v59, v58, 21, 1
	v_cmp_eq_u32_e64 s13, v47, v60
	s_delay_alu instid0(VALU_DEP_2) | instskip(NEXT) | instid1(VALU_DEP_1)
	v_add_nc_u32_e32 v57, -1, v59
	v_cndmask_b32_e64 v47, 0, v57, s13
	v_lshrrev_b32_e32 v57, 23, v58
	s_mov_b32 s13, exec_lo
	s_delay_alu instid0(VALU_DEP_2) | instskip(NEXT) | instid1(VALU_DEP_2)
	v_add_nc_u32_e32 v47, v47, v58
	v_xor_b32_e32 v57, 1, v57
	s_delay_alu instid0(VALU_DEP_2) | instskip(NEXT) | instid1(VALU_DEP_1)
	v_and_b32_e32 v176, 0x1fffff, v47
	v_add_nc_u32_e32 v47, v176, v58
                                        ; implicit-def: $vgpr176
	s_delay_alu instid0(VALU_DEP_3)
	v_cmpx_ne_u32_e64 v56, v57
	s_xor_b32 s13, exec_lo, s13
; %bb.5344:                             ;   in Loop: Header=BB4_4876 Depth=3
	s_delay_alu instid0(VALU_DEP_2) | instskip(SKIP_2) | instid1(VALU_DEP_2)
	v_cmp_lt_u32_e32 vcc_lo, 0xffffff, v47
	v_sub_nc_u32_e32 v176, v56, v57
	v_cndmask_b32_e64 v56, 0, 1, vcc_lo
	v_add_co_ci_u32_e32 v176, vcc_lo, 0, v176, vcc_lo
	s_delay_alu instid0(VALU_DEP_2)
	v_lshrrev_b32_e32 v47, v56, v47
; %bb.5345:                             ;   in Loop: Header=BB4_4876 Depth=3
	s_and_not1_saveexec_b32 s13, s13
; %bb.5346:                             ;   in Loop: Header=BB4_4876 Depth=3
	s_delay_alu instid0(VALU_DEP_1)
	v_bfe_u32 v176, v47, 23, 1
; %bb.5347:                             ;   in Loop: Header=BB4_4876 Depth=3
	s_or_b32 exec_lo, exec_lo, s13
	v_lshrrev_b32_e32 v47, 21, v47
	s_delay_alu instid0(VALU_DEP_2) | instskip(SKIP_2) | instid1(VALU_DEP_4)
	v_cmp_gt_i32_e32 vcc_lo, 32, v176
	v_lshrrev_b32_e32 v179, 24, v179
	v_min_i32_e32 v56, 31, v176
	v_cndmask_b32_e32 v47, 3, v47, vcc_lo
	s_delay_alu instid0(VALU_DEP_3) | instskip(NEXT) | instid1(VALU_DEP_3)
	v_and_b32_e32 v179, 0x80, v179
	v_lshlrev_b32_e32 v56, 2, v56
	s_delay_alu instid0(VALU_DEP_3) | instskip(SKIP_1) | instid1(VALU_DEP_2)
	v_and_b32_e32 v57, 3, v47
	v_or_b32_e32 v176, v176, v47
	v_or3_b32 v179, v56, v179, v57
	s_delay_alu instid0(VALU_DEP_2) | instskip(NEXT) | instid1(VALU_DEP_2)
	v_cmp_ne_u32_e32 vcc_lo, 0, v176
	v_cndmask_b32_e32 v176, 0, v179, vcc_lo
.LBB4_5348:                             ;   in Loop: Header=BB4_4876 Depth=3
	s_or_b32 exec_lo, exec_lo, s30
.LBB4_5349:                             ;   in Loop: Header=BB4_4876 Depth=3
	s_delay_alu instid0(SALU_CYCLE_1) | instskip(SKIP_3) | instid1(VALU_DEP_1)
	s_or_b32 exec_lo, exec_lo, s17
	v_lshrrev_b16 v47, 8, v46
	s_mov_b32 s13, 0
	s_mov_b32 s30, exec_lo
                                        ; implicit-def: $sgpr17
	v_cmpx_lt_i16_e32 0x7f, v47
	s_xor_b32 s30, exec_lo, s30
	s_cbranch_execnz .LBB4_5947
; %bb.5350:                             ;   in Loop: Header=BB4_4876 Depth=3
	s_or_saveexec_b32 s30, s30
	v_mov_b32_e32 v179, s17
	s_xor_b32 exec_lo, exec_lo, s30
	s_cbranch_execnz .LBB4_5950
.LBB4_5351:                             ;   in Loop: Header=BB4_4876 Depth=3
	s_or_b32 exec_lo, exec_lo, s30
	s_and_saveexec_b32 s17, s13
	s_cbranch_execz .LBB4_5353
.LBB4_5352:                             ;   in Loop: Header=BB4_4876 Depth=3
	v_and_b32_e32 v179, 0xffff, v47
	v_lshlrev_b32_e32 v47, 24, v47
	s_delay_alu instid0(VALU_DEP_2) | instskip(NEXT) | instid1(VALU_DEP_2)
	v_and_b32_e32 v56, 3, v179
	v_and_b32_e32 v47, 0x80000000, v47
	s_delay_alu instid0(VALU_DEP_2) | instskip(NEXT) | instid1(VALU_DEP_1)
	v_clz_i32_u32_e32 v57, v56
	v_min_u32_e32 v57, 32, v57
	s_delay_alu instid0(VALU_DEP_1) | instskip(SKIP_1) | instid1(VALU_DEP_2)
	v_subrev_nc_u32_e32 v58, 29, v57
	v_sub_nc_u32_e32 v57, 30, v57
	v_lshlrev_b32_e32 v58, v58, v179
	v_bfe_u32 v179, v179, 2, 5
	s_delay_alu instid0(VALU_DEP_2) | instskip(NEXT) | instid1(VALU_DEP_2)
	v_and_b32_e32 v58, 3, v58
	v_cmp_eq_u32_e32 vcc_lo, 0, v179
	s_delay_alu instid0(VALU_DEP_2) | instskip(NEXT) | instid1(VALU_DEP_1)
	v_dual_cndmask_b32 v179, v179, v57 :: v_dual_cndmask_b32 v56, v56, v58
	v_lshl_add_u32 v179, v179, 23, 0x37800000
	s_delay_alu instid0(VALU_DEP_2) | instskip(NEXT) | instid1(VALU_DEP_1)
	v_lshlrev_b32_e32 v56, 21, v56
	v_or3_b32 v179, v47, v179, v56
.LBB4_5353:                             ;   in Loop: Header=BB4_4876 Depth=3
	s_or_b32 exec_lo, exec_lo, s17
	v_lshrrev_b16 v47, 8, v13
	s_mov_b32 s13, 0
	s_mov_b32 s30, exec_lo
                                        ; implicit-def: $sgpr17
	s_delay_alu instid0(VALU_DEP_1)
	v_cmpx_lt_i16_e32 0x7f, v47
	s_xor_b32 s30, exec_lo, s30
	s_cbranch_execnz .LBB4_5951
; %bb.5354:                             ;   in Loop: Header=BB4_4876 Depth=3
	s_or_saveexec_b32 s30, s30
	v_mov_b32_e32 v56, s17
	s_xor_b32 exec_lo, exec_lo, s30
	s_cbranch_execnz .LBB4_5954
.LBB4_5355:                             ;   in Loop: Header=BB4_4876 Depth=3
	s_or_b32 exec_lo, exec_lo, s30
	s_and_saveexec_b32 s17, s13
	s_cbranch_execz .LBB4_5357
.LBB4_5356:                             ;   in Loop: Header=BB4_4876 Depth=3
	v_and_b32_e32 v56, 0xffff, v47
	v_lshlrev_b32_e32 v47, 24, v47
	s_delay_alu instid0(VALU_DEP_2) | instskip(NEXT) | instid1(VALU_DEP_2)
	v_and_b32_e32 v57, 3, v56
	v_and_b32_e32 v47, 0x80000000, v47
	s_delay_alu instid0(VALU_DEP_2) | instskip(NEXT) | instid1(VALU_DEP_1)
	v_clz_i32_u32_e32 v58, v57
	v_min_u32_e32 v58, 32, v58
	s_delay_alu instid0(VALU_DEP_1) | instskip(SKIP_1) | instid1(VALU_DEP_2)
	v_subrev_nc_u32_e32 v59, 29, v58
	v_sub_nc_u32_e32 v58, 30, v58
	v_lshlrev_b32_e32 v59, v59, v56
	v_bfe_u32 v56, v56, 2, 5
	s_delay_alu instid0(VALU_DEP_2) | instskip(NEXT) | instid1(VALU_DEP_2)
	v_and_b32_e32 v59, 3, v59
	v_cmp_eq_u32_e32 vcc_lo, 0, v56
	s_delay_alu instid0(VALU_DEP_2) | instskip(NEXT) | instid1(VALU_DEP_1)
	v_dual_cndmask_b32 v56, v56, v58 :: v_dual_cndmask_b32 v57, v57, v59
	v_lshl_add_u32 v56, v56, 23, 0x37800000
	s_delay_alu instid0(VALU_DEP_2) | instskip(NEXT) | instid1(VALU_DEP_1)
	v_lshlrev_b32_e32 v57, 21, v57
	v_or3_b32 v56, v47, v56, v57
.LBB4_5357:                             ;   in Loop: Header=BB4_4876 Depth=3
	s_or_b32 exec_lo, exec_lo, s17
	s_delay_alu instid0(VALU_DEP_1) | instskip(NEXT) | instid1(VALU_DEP_1)
	v_add_f32_e32 v47, v179, v56
	v_and_b32_e32 v179, 0x7f800000, v47
	s_delay_alu instid0(VALU_DEP_1)
	v_cmp_ne_u32_e32 vcc_lo, 0x7f800000, v179
	v_mov_b32_e32 v179, 0x8000
	s_and_saveexec_b32 s17, vcc_lo
	s_cbranch_execz .LBB4_5365
; %bb.5358:                             ;   in Loop: Header=BB4_4876 Depth=3
	v_mov_b32_e32 v179, 0
	s_mov_b32 s30, exec_lo
	v_cmpx_ne_u32_e32 0, v47
	s_cbranch_execz .LBB4_5364
; %bb.5359:                             ;   in Loop: Header=BB4_4876 Depth=3
	v_bfe_u32 v179, v47, 23, 8
	s_delay_alu instid0(VALU_DEP_1) | instskip(SKIP_1) | instid1(VALU_DEP_2)
	v_sub_nc_u32_e32 v57, 0x70, v179
	v_cmp_gt_u32_e32 vcc_lo, 0x71, v179
	v_dual_cndmask_b32 v57, 0, v57 :: v_dual_and_b32 v56, 0x7fffff, v47
	s_delay_alu instid0(VALU_DEP_1) | instskip(SKIP_2) | instid1(VALU_DEP_4)
	v_or_b32_e32 v58, 0x800000, v56
	v_cmp_eq_u32_e32 vcc_lo, 0, v179
	v_add_nc_u32_e32 v179, 0xffffff91, v179
	v_cndmask_b32_e64 v57, v57, 0x6f, vcc_lo
	s_delay_alu instid0(VALU_DEP_4) | instskip(NEXT) | instid1(VALU_DEP_3)
	v_cndmask_b32_e32 v56, v58, v56, vcc_lo
	v_cndmask_b32_e64 v179, v179, 0xffffff92, vcc_lo
	s_delay_alu instid0(VALU_DEP_3) | instskip(NEXT) | instid1(VALU_DEP_3)
	v_lshl_add_u32 v58, 0x200000, v57, -1
	v_lshrrev_b32_e32 v59, v57, v56
	v_lshlrev_b32_e64 v61, v57, 0x100000
	s_delay_alu instid0(VALU_DEP_4) | instskip(NEXT) | instid1(VALU_DEP_4)
	v_add_nc_u32_e32 v57, v57, v179
	v_and_b32_e32 v56, v58, v56
	s_delay_alu instid0(VALU_DEP_4) | instskip(NEXT) | instid1(VALU_DEP_2)
	v_bfe_u32 v60, v59, 21, 1
	v_cmp_eq_u32_e64 s13, v56, v61
	s_delay_alu instid0(VALU_DEP_2) | instskip(NEXT) | instid1(VALU_DEP_1)
	v_add_nc_u32_e32 v58, -1, v60
	v_cndmask_b32_e64 v56, 0, v58, s13
	v_lshrrev_b32_e32 v58, 23, v59
	s_mov_b32 s13, exec_lo
	s_delay_alu instid0(VALU_DEP_2) | instskip(NEXT) | instid1(VALU_DEP_2)
	v_add_nc_u32_e32 v56, v56, v59
	v_xor_b32_e32 v58, 1, v58
	s_delay_alu instid0(VALU_DEP_2) | instskip(NEXT) | instid1(VALU_DEP_1)
	v_and_b32_e32 v179, 0x1fffff, v56
	v_add_nc_u32_e32 v56, v179, v59
                                        ; implicit-def: $vgpr179
	s_delay_alu instid0(VALU_DEP_3)
	v_cmpx_ne_u32_e64 v57, v58
	s_xor_b32 s13, exec_lo, s13
; %bb.5360:                             ;   in Loop: Header=BB4_4876 Depth=3
	s_delay_alu instid0(VALU_DEP_2) | instskip(SKIP_2) | instid1(VALU_DEP_2)
	v_cmp_lt_u32_e32 vcc_lo, 0xffffff, v56
	v_sub_nc_u32_e32 v179, v57, v58
	v_cndmask_b32_e64 v57, 0, 1, vcc_lo
	v_add_co_ci_u32_e32 v179, vcc_lo, 0, v179, vcc_lo
	s_delay_alu instid0(VALU_DEP_2)
	v_lshrrev_b32_e32 v56, v57, v56
; %bb.5361:                             ;   in Loop: Header=BB4_4876 Depth=3
	s_and_not1_saveexec_b32 s13, s13
; %bb.5362:                             ;   in Loop: Header=BB4_4876 Depth=3
	s_delay_alu instid0(VALU_DEP_1)
	v_bfe_u32 v179, v56, 23, 1
; %bb.5363:                             ;   in Loop: Header=BB4_4876 Depth=3
	s_or_b32 exec_lo, exec_lo, s13
	v_lshrrev_b32_e32 v56, 21, v56
	s_delay_alu instid0(VALU_DEP_2) | instskip(SKIP_2) | instid1(VALU_DEP_2)
	v_cmp_gt_i32_e32 vcc_lo, 32, v179
	v_min_i32_e32 v57, 31, v179
	v_lshrrev_b32_e32 v47, 24, v47
	v_dual_cndmask_b32 v56, 3, v56 :: v_dual_lshlrev_b32 v57, 2, v57
	s_delay_alu instid0(VALU_DEP_2) | instskip(NEXT) | instid1(VALU_DEP_2)
	v_and_b32_e32 v47, 0x80, v47
	v_or_b32_e32 v179, v179, v56
	s_delay_alu instid0(VALU_DEP_3) | instskip(NEXT) | instid1(VALU_DEP_2)
	v_and_b32_e32 v57, 0xfc, v57
	v_cmp_ne_u32_e32 vcc_lo, 0, v179
	v_and_b32_e32 v58, 3, v56
	s_delay_alu instid0(VALU_DEP_1) | instskip(NEXT) | instid1(VALU_DEP_1)
	v_or3_b32 v47, v47, v57, v58
	v_lshlrev_b32_e32 v47, 8, v47
	s_delay_alu instid0(VALU_DEP_1)
	v_cndmask_b32_e32 v179, 0, v47, vcc_lo
.LBB4_5364:                             ;   in Loop: Header=BB4_4876 Depth=3
	s_or_b32 exec_lo, exec_lo, s30
.LBB4_5365:                             ;   in Loop: Header=BB4_4876 Depth=3
	s_delay_alu instid0(SALU_CYCLE_1) | instskip(SKIP_3) | instid1(VALU_DEP_1)
	s_or_b32 exec_lo, exec_lo, s17
	v_or_b32_e32 v45, v45, v40
	s_mov_b32 s13, 0
	s_mov_b32 s30, exec_lo
                                        ; implicit-def: $sgpr17
	v_and_b32_e32 v47, 0xff, v45
	s_delay_alu instid0(VALU_DEP_1)
	v_cmpx_lt_i16_e32 0x7f, v47
	s_xor_b32 s30, exec_lo, s30
	s_cbranch_execnz .LBB4_5955
; %bb.5366:                             ;   in Loop: Header=BB4_4876 Depth=3
	s_or_saveexec_b32 s30, s30
	v_mov_b32_e32 v40, s17
	s_xor_b32 exec_lo, exec_lo, s30
	s_cbranch_execnz .LBB4_5958
.LBB4_5367:                             ;   in Loop: Header=BB4_4876 Depth=3
	s_or_b32 exec_lo, exec_lo, s30
	v_lshl_or_b32 v45, v45, 16, v46
	s_and_saveexec_b32 s17, s13
	s_cbranch_execz .LBB4_5369
.LBB4_5368:                             ;   in Loop: Header=BB4_4876 Depth=3
	s_delay_alu instid0(VALU_DEP_1) | instskip(SKIP_1) | instid1(VALU_DEP_2)
	v_bfe_u32 v40, v45, 16, 2
	v_lshrrev_b32_e32 v47, 16, v45
	v_clz_i32_u32_e32 v46, v40
	s_delay_alu instid0(VALU_DEP_1) | instskip(NEXT) | instid1(VALU_DEP_1)
	v_min_u32_e32 v46, 32, v46
	v_subrev_nc_u32_e32 v56, 29, v46
	v_sub_nc_u32_e32 v46, 30, v46
	s_delay_alu instid0(VALU_DEP_2) | instskip(SKIP_1) | instid1(VALU_DEP_1)
	v_lshlrev_b32_e32 v47, v56, v47
	v_bfe_u32 v56, v45, 18, 5
	v_cmp_eq_u32_e32 vcc_lo, 0, v56
	s_delay_alu instid0(VALU_DEP_3) | instskip(NEXT) | instid1(VALU_DEP_1)
	v_dual_cndmask_b32 v46, v56, v46 :: v_dual_and_b32 v47, 3, v47
	v_dual_cndmask_b32 v40, v40, v47 :: v_dual_lshlrev_b32 v57, 8, v45
	s_delay_alu instid0(VALU_DEP_2) | instskip(NEXT) | instid1(VALU_DEP_2)
	v_lshl_add_u32 v46, v46, 23, 0x37800000
	v_and_b32_e32 v47, 0x80000000, v57
	s_delay_alu instid0(VALU_DEP_3) | instskip(NEXT) | instid1(VALU_DEP_1)
	v_lshlrev_b32_e32 v40, 21, v40
	v_or3_b32 v40, v47, v46, v40
.LBB4_5369:                             ;   in Loop: Header=BB4_4876 Depth=3
	s_or_b32 exec_lo, exec_lo, s17
	v_lshrrev_b32_e32 v46, 16, v13
	s_mov_b32 s13, 0
	s_mov_b32 s30, exec_lo
                                        ; implicit-def: $sgpr17
	s_delay_alu instid0(VALU_DEP_1) | instskip(NEXT) | instid1(VALU_DEP_1)
	v_and_b32_e32 v56, 0xff, v46
	v_cmpx_lt_i16_e32 0x7f, v56
	s_xor_b32 s30, exec_lo, s30
	s_cbranch_execnz .LBB4_5959
; %bb.5370:                             ;   in Loop: Header=BB4_4876 Depth=3
	s_or_saveexec_b32 s30, s30
	v_mov_b32_e32 v47, s17
	s_xor_b32 exec_lo, exec_lo, s30
	s_cbranch_execnz .LBB4_5962
.LBB4_5371:                             ;   in Loop: Header=BB4_4876 Depth=3
	s_or_b32 exec_lo, exec_lo, s30
	s_and_saveexec_b32 s17, s13
	s_cbranch_execz .LBB4_5373
.LBB4_5372:                             ;   in Loop: Header=BB4_4876 Depth=3
	v_bfe_u32 v47, v13, 16, 2
	v_lshlrev_b32_e32 v58, 8, v13
	s_delay_alu instid0(VALU_DEP_2) | instskip(NEXT) | instid1(VALU_DEP_1)
	v_clz_i32_u32_e32 v56, v47
	v_min_u32_e32 v56, 32, v56
	s_delay_alu instid0(VALU_DEP_1) | instskip(SKIP_1) | instid1(VALU_DEP_2)
	v_subrev_nc_u32_e32 v57, 29, v56
	v_sub_nc_u32_e32 v56, 30, v56
	v_lshlrev_b32_e32 v46, v57, v46
	v_bfe_u32 v57, v13, 18, 5
	s_delay_alu instid0(VALU_DEP_2) | instskip(NEXT) | instid1(VALU_DEP_2)
	v_and_b32_e32 v46, 3, v46
	v_cmp_eq_u32_e32 vcc_lo, 0, v57
	v_cndmask_b32_e32 v56, v57, v56, vcc_lo
	s_delay_alu instid0(VALU_DEP_3) | instskip(SKIP_1) | instid1(VALU_DEP_3)
	v_cndmask_b32_e32 v46, v47, v46, vcc_lo
	v_and_b32_e32 v47, 0x80000000, v58
	v_lshl_add_u32 v56, v56, 23, 0x37800000
	s_delay_alu instid0(VALU_DEP_3) | instskip(NEXT) | instid1(VALU_DEP_1)
	v_lshlrev_b32_e32 v46, 21, v46
	v_or3_b32 v47, v47, v56, v46
.LBB4_5373:                             ;   in Loop: Header=BB4_4876 Depth=3
	s_or_b32 exec_lo, exec_lo, s17
	s_delay_alu instid0(VALU_DEP_1) | instskip(NEXT) | instid1(VALU_DEP_1)
	v_add_f32_e32 v46, v40, v47
	v_and_b32_e32 v40, 0x7f800000, v46
	s_delay_alu instid0(VALU_DEP_1)
	v_cmp_ne_u32_e32 vcc_lo, 0x7f800000, v40
	v_mov_b32_e32 v40, 0x80
	s_and_saveexec_b32 s17, vcc_lo
	s_cbranch_execz .LBB4_5381
; %bb.5374:                             ;   in Loop: Header=BB4_4876 Depth=3
	v_mov_b32_e32 v40, 0
	s_mov_b32 s30, exec_lo
	v_cmpx_ne_u32_e32 0, v46
	s_cbranch_execz .LBB4_5380
; %bb.5375:                             ;   in Loop: Header=BB4_4876 Depth=3
	v_bfe_u32 v40, v46, 23, 8
	s_delay_alu instid0(VALU_DEP_1) | instskip(SKIP_1) | instid1(VALU_DEP_2)
	v_sub_nc_u32_e32 v56, 0x70, v40
	v_cmp_gt_u32_e32 vcc_lo, 0x71, v40
	v_dual_cndmask_b32 v56, 0, v56 :: v_dual_and_b32 v47, 0x7fffff, v46
	s_delay_alu instid0(VALU_DEP_1) | instskip(SKIP_2) | instid1(VALU_DEP_4)
	v_or_b32_e32 v57, 0x800000, v47
	v_cmp_eq_u32_e32 vcc_lo, 0, v40
	v_add_nc_u32_e32 v40, 0xffffff91, v40
	v_cndmask_b32_e64 v56, v56, 0x6f, vcc_lo
	s_delay_alu instid0(VALU_DEP_4) | instskip(NEXT) | instid1(VALU_DEP_3)
	v_cndmask_b32_e32 v47, v57, v47, vcc_lo
	v_cndmask_b32_e64 v40, v40, 0xffffff92, vcc_lo
	s_delay_alu instid0(VALU_DEP_3) | instskip(NEXT) | instid1(VALU_DEP_3)
	v_lshl_add_u32 v57, 0x200000, v56, -1
	v_lshrrev_b32_e32 v58, v56, v47
	v_lshlrev_b32_e64 v60, v56, 0x100000
	s_delay_alu instid0(VALU_DEP_4) | instskip(NEXT) | instid1(VALU_DEP_4)
	v_add_nc_u32_e32 v56, v56, v40
	v_and_b32_e32 v47, v57, v47
	s_delay_alu instid0(VALU_DEP_4) | instskip(NEXT) | instid1(VALU_DEP_2)
	v_bfe_u32 v59, v58, 21, 1
	v_cmp_eq_u32_e64 s13, v47, v60
	s_delay_alu instid0(VALU_DEP_2) | instskip(NEXT) | instid1(VALU_DEP_1)
	v_add_nc_u32_e32 v57, -1, v59
	v_cndmask_b32_e64 v47, 0, v57, s13
	v_lshrrev_b32_e32 v57, 23, v58
	s_mov_b32 s13, exec_lo
	s_delay_alu instid0(VALU_DEP_2) | instskip(NEXT) | instid1(VALU_DEP_2)
	v_add_nc_u32_e32 v47, v47, v58
	v_xor_b32_e32 v57, 1, v57
	s_delay_alu instid0(VALU_DEP_2) | instskip(NEXT) | instid1(VALU_DEP_1)
	v_and_b32_e32 v40, 0x1fffff, v47
	v_add_nc_u32_e32 v47, v40, v58
                                        ; implicit-def: $vgpr40
	s_delay_alu instid0(VALU_DEP_3)
	v_cmpx_ne_u32_e64 v56, v57
	s_xor_b32 s13, exec_lo, s13
; %bb.5376:                             ;   in Loop: Header=BB4_4876 Depth=3
	s_delay_alu instid0(VALU_DEP_2) | instskip(SKIP_2) | instid1(VALU_DEP_2)
	v_cmp_lt_u32_e32 vcc_lo, 0xffffff, v47
	v_sub_nc_u32_e32 v40, v56, v57
	v_cndmask_b32_e64 v56, 0, 1, vcc_lo
	v_add_co_ci_u32_e32 v40, vcc_lo, 0, v40, vcc_lo
	s_delay_alu instid0(VALU_DEP_2)
	v_lshrrev_b32_e32 v47, v56, v47
; %bb.5377:                             ;   in Loop: Header=BB4_4876 Depth=3
	s_and_not1_saveexec_b32 s13, s13
; %bb.5378:                             ;   in Loop: Header=BB4_4876 Depth=3
	s_delay_alu instid0(VALU_DEP_1)
	v_bfe_u32 v40, v47, 23, 1
; %bb.5379:                             ;   in Loop: Header=BB4_4876 Depth=3
	s_or_b32 exec_lo, exec_lo, s13
	v_lshrrev_b32_e32 v47, 21, v47
	s_delay_alu instid0(VALU_DEP_2) | instskip(SKIP_2) | instid1(VALU_DEP_2)
	v_cmp_gt_i32_e32 vcc_lo, 32, v40
	v_min_i32_e32 v56, 31, v40
	v_lshrrev_b32_e32 v46, 24, v46
	v_dual_cndmask_b32 v47, 3, v47 :: v_dual_lshlrev_b32 v56, 2, v56
	s_delay_alu instid0(VALU_DEP_2) | instskip(NEXT) | instid1(VALU_DEP_2)
	v_and_b32_e32 v46, 0x80, v46
	v_or_b32_e32 v40, v40, v47
	s_delay_alu instid0(VALU_DEP_3) | instskip(NEXT) | instid1(VALU_DEP_2)
	v_and_b32_e32 v56, 0xfc, v56
	v_cmp_ne_u32_e32 vcc_lo, 0, v40
	v_and_b32_e32 v57, 3, v47
	s_delay_alu instid0(VALU_DEP_1) | instskip(NEXT) | instid1(VALU_DEP_1)
	v_or3_b32 v46, v56, v46, v57
	v_cndmask_b32_e32 v40, 0, v46, vcc_lo
.LBB4_5380:                             ;   in Loop: Header=BB4_4876 Depth=3
	s_or_b32 exec_lo, exec_lo, s30
.LBB4_5381:                             ;   in Loop: Header=BB4_4876 Depth=3
	s_delay_alu instid0(SALU_CYCLE_1) | instskip(SKIP_3) | instid1(VALU_DEP_1)
	s_or_b32 exec_lo, exec_lo, s17
	v_lshrrev_b32_e32 v47, 24, v45
	s_mov_b32 s13, 0
	s_mov_b32 s30, exec_lo
                                        ; implicit-def: $sgpr17
	v_cmpx_lt_i16_e32 0x7f, v47
	s_xor_b32 s30, exec_lo, s30
	s_cbranch_execnz .LBB4_5963
; %bb.5382:                             ;   in Loop: Header=BB4_4876 Depth=3
	s_or_saveexec_b32 s30, s30
	v_mov_b32_e32 v46, s17
	s_xor_b32 exec_lo, exec_lo, s30
	s_cbranch_execnz .LBB4_5966
.LBB4_5383:                             ;   in Loop: Header=BB4_4876 Depth=3
	s_or_b32 exec_lo, exec_lo, s30
	s_and_saveexec_b32 s17, s13
	s_cbranch_execz .LBB4_5385
.LBB4_5384:                             ;   in Loop: Header=BB4_4876 Depth=3
	v_bfe_u32 v46, v45, 24, 2
	s_delay_alu instid0(VALU_DEP_1) | instskip(NEXT) | instid1(VALU_DEP_1)
	v_clz_i32_u32_e32 v56, v46
	v_min_u32_e32 v56, 32, v56
	s_delay_alu instid0(VALU_DEP_1) | instskip(SKIP_1) | instid1(VALU_DEP_2)
	v_subrev_nc_u32_e32 v57, 29, v56
	v_sub_nc_u32_e32 v56, 30, v56
	v_lshlrev_b32_e32 v47, v57, v47
	v_bfe_u32 v57, v45, 26, 5
	v_and_b32_e32 v45, 0x80000000, v45
	s_delay_alu instid0(VALU_DEP_2) | instskip(NEXT) | instid1(VALU_DEP_4)
	v_cmp_eq_u32_e32 vcc_lo, 0, v57
	v_dual_cndmask_b32 v56, v57, v56 :: v_dual_and_b32 v47, 3, v47
	s_delay_alu instid0(VALU_DEP_1) | instskip(NEXT) | instid1(VALU_DEP_2)
	v_cndmask_b32_e32 v46, v46, v47, vcc_lo
	v_lshl_add_u32 v47, v56, 23, 0x37800000
	s_delay_alu instid0(VALU_DEP_2) | instskip(NEXT) | instid1(VALU_DEP_1)
	v_lshlrev_b32_e32 v46, 21, v46
	v_or3_b32 v46, v45, v47, v46
.LBB4_5385:                             ;   in Loop: Header=BB4_4876 Depth=3
	s_or_b32 exec_lo, exec_lo, s17
	v_lshrrev_b32_e32 v45, 24, v13
	s_mov_b32 s13, 0
	s_mov_b32 s30, exec_lo
                                        ; implicit-def: $sgpr17
	s_delay_alu instid0(VALU_DEP_1)
	v_cmpx_lt_i16_e32 0x7f, v45
	s_xor_b32 s30, exec_lo, s30
	s_cbranch_execnz .LBB4_5967
; %bb.5386:                             ;   in Loop: Header=BB4_4876 Depth=3
	s_or_saveexec_b32 s30, s30
	v_mov_b32_e32 v47, s17
	s_xor_b32 exec_lo, exec_lo, s30
	s_cbranch_execnz .LBB4_5970
.LBB4_5387:                             ;   in Loop: Header=BB4_4876 Depth=3
	s_or_b32 exec_lo, exec_lo, s30
	s_and_saveexec_b32 s17, s13
	s_cbranch_execz .LBB4_5389
.LBB4_5388:                             ;   in Loop: Header=BB4_4876 Depth=3
	v_bfe_u32 v47, v13, 24, 2
	s_delay_alu instid0(VALU_DEP_1) | instskip(NEXT) | instid1(VALU_DEP_1)
	v_clz_i32_u32_e32 v56, v47
	v_min_u32_e32 v56, 32, v56
	s_delay_alu instid0(VALU_DEP_1) | instskip(SKIP_1) | instid1(VALU_DEP_2)
	v_subrev_nc_u32_e32 v57, 29, v56
	v_sub_nc_u32_e32 v56, 30, v56
	v_lshlrev_b32_e32 v45, v57, v45
	v_bfe_u32 v57, v13, 26, 5
	v_and_b32_e32 v13, 0x80000000, v13
	s_delay_alu instid0(VALU_DEP_2) | instskip(NEXT) | instid1(VALU_DEP_4)
	v_cmp_eq_u32_e32 vcc_lo, 0, v57
	v_dual_cndmask_b32 v56, v57, v56 :: v_dual_and_b32 v45, 3, v45
	s_delay_alu instid0(VALU_DEP_1) | instskip(NEXT) | instid1(VALU_DEP_2)
	v_cndmask_b32_e32 v45, v47, v45, vcc_lo
	v_lshl_add_u32 v47, v56, 23, 0x37800000
	s_delay_alu instid0(VALU_DEP_2) | instskip(NEXT) | instid1(VALU_DEP_1)
	v_lshlrev_b32_e32 v45, 21, v45
	v_or3_b32 v47, v13, v47, v45
.LBB4_5389:                             ;   in Loop: Header=BB4_4876 Depth=3
	s_or_b32 exec_lo, exec_lo, s17
	s_delay_alu instid0(VALU_DEP_1) | instskip(NEXT) | instid1(VALU_DEP_1)
	v_add_f32_e32 v45, v46, v47
	v_and_b32_e32 v13, 0x7f800000, v45
	s_delay_alu instid0(VALU_DEP_1)
	v_cmp_ne_u32_e32 vcc_lo, 0x7f800000, v13
	v_mov_b32_e32 v13, 0x8000
	s_and_saveexec_b32 s17, vcc_lo
	s_cbranch_execz .LBB4_5397
; %bb.5390:                             ;   in Loop: Header=BB4_4876 Depth=3
	v_mov_b32_e32 v13, 0
	s_mov_b32 s30, exec_lo
	v_cmpx_ne_u32_e32 0, v45
	s_cbranch_execz .LBB4_5396
; %bb.5391:                             ;   in Loop: Header=BB4_4876 Depth=3
	v_bfe_u32 v13, v45, 23, 8
	s_delay_alu instid0(VALU_DEP_1) | instskip(SKIP_1) | instid1(VALU_DEP_2)
	v_sub_nc_u32_e32 v47, 0x70, v13
	v_cmp_gt_u32_e32 vcc_lo, 0x71, v13
	v_dual_cndmask_b32 v47, 0, v47 :: v_dual_and_b32 v46, 0x7fffff, v45
	s_delay_alu instid0(VALU_DEP_1) | instskip(SKIP_2) | instid1(VALU_DEP_4)
	v_or_b32_e32 v56, 0x800000, v46
	v_cmp_eq_u32_e32 vcc_lo, 0, v13
	v_add_nc_u32_e32 v13, 0xffffff91, v13
	v_cndmask_b32_e64 v47, v47, 0x6f, vcc_lo
	s_delay_alu instid0(VALU_DEP_4) | instskip(NEXT) | instid1(VALU_DEP_3)
	v_cndmask_b32_e32 v46, v56, v46, vcc_lo
	v_cndmask_b32_e64 v13, v13, 0xffffff92, vcc_lo
	s_delay_alu instid0(VALU_DEP_3) | instskip(NEXT) | instid1(VALU_DEP_3)
	v_lshl_add_u32 v56, 0x200000, v47, -1
	v_lshrrev_b32_e32 v57, v47, v46
	v_lshlrev_b32_e64 v59, v47, 0x100000
	s_delay_alu instid0(VALU_DEP_4) | instskip(NEXT) | instid1(VALU_DEP_4)
	v_add_nc_u32_e32 v47, v47, v13
	v_and_b32_e32 v46, v56, v46
	s_delay_alu instid0(VALU_DEP_4) | instskip(NEXT) | instid1(VALU_DEP_2)
	v_bfe_u32 v58, v57, 21, 1
	v_cmp_eq_u32_e64 s13, v46, v59
	s_delay_alu instid0(VALU_DEP_2) | instskip(NEXT) | instid1(VALU_DEP_1)
	v_add_nc_u32_e32 v56, -1, v58
	v_cndmask_b32_e64 v46, 0, v56, s13
	v_lshrrev_b32_e32 v56, 23, v57
	s_mov_b32 s13, exec_lo
	s_delay_alu instid0(VALU_DEP_2) | instskip(NEXT) | instid1(VALU_DEP_2)
	v_add_nc_u32_e32 v46, v46, v57
	v_xor_b32_e32 v56, 1, v56
	s_delay_alu instid0(VALU_DEP_2) | instskip(NEXT) | instid1(VALU_DEP_1)
	v_and_b32_e32 v13, 0x1fffff, v46
	v_add_nc_u32_e32 v46, v13, v57
                                        ; implicit-def: $vgpr13
	s_delay_alu instid0(VALU_DEP_3)
	v_cmpx_ne_u32_e64 v47, v56
	s_xor_b32 s13, exec_lo, s13
; %bb.5392:                             ;   in Loop: Header=BB4_4876 Depth=3
	s_delay_alu instid0(VALU_DEP_2) | instskip(SKIP_2) | instid1(VALU_DEP_2)
	v_cmp_lt_u32_e32 vcc_lo, 0xffffff, v46
	v_sub_nc_u32_e32 v13, v47, v56
	v_cndmask_b32_e64 v47, 0, 1, vcc_lo
	v_add_co_ci_u32_e32 v13, vcc_lo, 0, v13, vcc_lo
	s_delay_alu instid0(VALU_DEP_2)
	v_lshrrev_b32_e32 v46, v47, v46
; %bb.5393:                             ;   in Loop: Header=BB4_4876 Depth=3
	s_and_not1_saveexec_b32 s13, s13
; %bb.5394:                             ;   in Loop: Header=BB4_4876 Depth=3
	s_delay_alu instid0(VALU_DEP_1)
	v_bfe_u32 v13, v46, 23, 1
; %bb.5395:                             ;   in Loop: Header=BB4_4876 Depth=3
	s_or_b32 exec_lo, exec_lo, s13
	v_lshrrev_b32_e32 v46, 21, v46
	s_delay_alu instid0(VALU_DEP_2) | instskip(SKIP_2) | instid1(VALU_DEP_2)
	v_cmp_gt_i32_e32 vcc_lo, 32, v13
	v_min_i32_e32 v47, 31, v13
	v_lshrrev_b32_e32 v45, 24, v45
	v_dual_cndmask_b32 v46, 3, v46 :: v_dual_lshlrev_b32 v47, 2, v47
	s_delay_alu instid0(VALU_DEP_2) | instskip(NEXT) | instid1(VALU_DEP_2)
	v_and_b32_e32 v45, 0x80, v45
	v_or_b32_e32 v13, v13, v46
	s_delay_alu instid0(VALU_DEP_3) | instskip(NEXT) | instid1(VALU_DEP_2)
	v_and_b32_e32 v47, 0xfc, v47
	v_cmp_ne_u32_e32 vcc_lo, 0, v13
	v_and_b32_e32 v56, 3, v46
	s_delay_alu instid0(VALU_DEP_1) | instskip(NEXT) | instid1(VALU_DEP_1)
	v_or3_b32 v45, v45, v47, v56
	v_lshlrev_b32_e32 v45, 8, v45
	s_delay_alu instid0(VALU_DEP_1)
	v_cndmask_b32_e32 v13, 0, v45, vcc_lo
.LBB4_5396:                             ;   in Loop: Header=BB4_4876 Depth=3
	s_or_b32 exec_lo, exec_lo, s30
.LBB4_5397:                             ;   in Loop: Header=BB4_4876 Depth=3
	s_delay_alu instid0(SALU_CYCLE_1) | instskip(SKIP_3) | instid1(VALU_DEP_1)
	s_or_b32 exec_lo, exec_lo, s17
	v_and_b32_e32 v46, 0xff, v44
	s_mov_b32 s13, 0
	s_mov_b32 s30, exec_lo
                                        ; implicit-def: $sgpr17
	v_cmpx_lt_i16_e32 0x7f, v46
	s_xor_b32 s30, exec_lo, s30
	s_cbranch_execnz .LBB4_5971
; %bb.5398:                             ;   in Loop: Header=BB4_4876 Depth=3
	s_or_saveexec_b32 s30, s30
	v_mov_b32_e32 v45, s17
	s_xor_b32 exec_lo, exec_lo, s30
	s_cbranch_execnz .LBB4_5974
.LBB4_5399:                             ;   in Loop: Header=BB4_4876 Depth=3
	s_or_b32 exec_lo, exec_lo, s30
	s_and_saveexec_b32 s17, s13
	s_cbranch_execz .LBB4_5401
.LBB4_5400:                             ;   in Loop: Header=BB4_4876 Depth=3
	v_bfe_u32 v56, v44, 2, 5
	s_delay_alu instid0(VALU_DEP_1) | instskip(SKIP_1) | instid1(VALU_DEP_1)
	v_cmp_eq_u32_e32 vcc_lo, 0, v56
	v_and_b32_e32 v45, 3, v44
	v_clz_i32_u32_e32 v46, v45
	s_delay_alu instid0(VALU_DEP_1) | instskip(NEXT) | instid1(VALU_DEP_1)
	v_min_u32_e32 v46, 32, v46
	v_subrev_nc_u32_e32 v47, 29, v46
	v_sub_nc_u32_e32 v46, 30, v46
	s_delay_alu instid0(VALU_DEP_1) | instskip(NEXT) | instid1(VALU_DEP_1)
	v_dual_cndmask_b32 v46, v56, v46 :: v_dual_lshlrev_b32 v47, v47, v44
	v_and_b32_e32 v47, 3, v47
	v_lshlrev_b32_e32 v44, 24, v44
	s_delay_alu instid0(VALU_DEP_3) | instskip(NEXT) | instid1(VALU_DEP_2)
	v_lshl_add_u32 v46, v46, 23, 0x37800000
	v_dual_cndmask_b32 v45, v45, v47 :: v_dual_and_b32 v44, 0x80000000, v44
	s_delay_alu instid0(VALU_DEP_1) | instskip(NEXT) | instid1(VALU_DEP_1)
	v_lshlrev_b32_e32 v45, 21, v45
	v_or3_b32 v45, v44, v46, v45
.LBB4_5401:                             ;   in Loop: Header=BB4_4876 Depth=3
	s_or_b32 exec_lo, exec_lo, s17
	v_and_b32_e32 v46, 0xff, v14
	s_mov_b32 s13, 0
	s_mov_b32 s30, exec_lo
                                        ; implicit-def: $sgpr17
	s_delay_alu instid0(VALU_DEP_1)
	v_cmpx_lt_i16_e32 0x7f, v46
	s_xor_b32 s30, exec_lo, s30
	s_cbranch_execnz .LBB4_5975
; %bb.5402:                             ;   in Loop: Header=BB4_4876 Depth=3
	s_or_saveexec_b32 s30, s30
	v_mov_b32_e32 v44, s17
	s_xor_b32 exec_lo, exec_lo, s30
	s_cbranch_execnz .LBB4_5978
.LBB4_5403:                             ;   in Loop: Header=BB4_4876 Depth=3
	s_or_b32 exec_lo, exec_lo, s30
	s_and_saveexec_b32 s17, s13
	s_cbranch_execz .LBB4_5405
.LBB4_5404:                             ;   in Loop: Header=BB4_4876 Depth=3
	v_and_b32_e32 v44, 3, v14
	v_bfe_u32 v56, v14, 2, 5
	s_delay_alu instid0(VALU_DEP_2) | instskip(NEXT) | instid1(VALU_DEP_2)
	v_clz_i32_u32_e32 v46, v44
	v_cmp_eq_u32_e32 vcc_lo, 0, v56
	s_delay_alu instid0(VALU_DEP_2) | instskip(NEXT) | instid1(VALU_DEP_1)
	v_min_u32_e32 v46, 32, v46
	v_subrev_nc_u32_e32 v47, 29, v46
	v_sub_nc_u32_e32 v46, 30, v46
	s_delay_alu instid0(VALU_DEP_2) | instskip(NEXT) | instid1(VALU_DEP_1)
	v_lshlrev_b32_e32 v47, v47, v14
	v_dual_cndmask_b32 v46, v56, v46 :: v_dual_and_b32 v47, 3, v47
	v_lshlrev_b32_e32 v57, 24, v14
	s_delay_alu instid0(VALU_DEP_2) | instskip(NEXT) | instid1(VALU_DEP_2)
	v_lshl_add_u32 v46, v46, 23, 0x37800000
	v_dual_cndmask_b32 v44, v44, v47 :: v_dual_and_b32 v47, 0x80000000, v57
	s_delay_alu instid0(VALU_DEP_1) | instskip(NEXT) | instid1(VALU_DEP_1)
	v_lshlrev_b32_e32 v44, 21, v44
	v_or3_b32 v44, v47, v46, v44
.LBB4_5405:                             ;   in Loop: Header=BB4_4876 Depth=3
	s_or_b32 exec_lo, exec_lo, s17
	s_delay_alu instid0(VALU_DEP_1) | instskip(NEXT) | instid1(VALU_DEP_1)
	v_add_f32_e32 v45, v45, v44
	v_and_b32_e32 v44, 0x7f800000, v45
	s_delay_alu instid0(VALU_DEP_1)
	v_cmp_ne_u32_e32 vcc_lo, 0x7f800000, v44
	v_mov_b32_e32 v44, 0x80
	s_and_saveexec_b32 s17, vcc_lo
	s_cbranch_execz .LBB4_5413
; %bb.5406:                             ;   in Loop: Header=BB4_4876 Depth=3
	v_mov_b32_e32 v44, 0
	s_mov_b32 s30, exec_lo
	v_cmpx_ne_u32_e32 0, v45
	s_cbranch_execz .LBB4_5412
; %bb.5407:                             ;   in Loop: Header=BB4_4876 Depth=3
	v_bfe_u32 v44, v45, 23, 8
	s_delay_alu instid0(VALU_DEP_1) | instskip(SKIP_1) | instid1(VALU_DEP_2)
	v_sub_nc_u32_e32 v47, 0x70, v44
	v_cmp_gt_u32_e32 vcc_lo, 0x71, v44
	v_dual_cndmask_b32 v47, 0, v47 :: v_dual_and_b32 v46, 0x7fffff, v45
	s_delay_alu instid0(VALU_DEP_1) | instskip(SKIP_2) | instid1(VALU_DEP_4)
	v_or_b32_e32 v56, 0x800000, v46
	v_cmp_eq_u32_e32 vcc_lo, 0, v44
	v_add_nc_u32_e32 v44, 0xffffff91, v44
	v_cndmask_b32_e64 v47, v47, 0x6f, vcc_lo
	s_delay_alu instid0(VALU_DEP_2) | instskip(SKIP_1) | instid1(VALU_DEP_3)
	v_cndmask_b32_e64 v44, v44, 0xffffff92, vcc_lo
	v_cndmask_b32_e32 v46, v56, v46, vcc_lo
	v_lshl_add_u32 v56, 0x200000, v47, -1
	v_lshlrev_b32_e64 v59, v47, 0x100000
	s_delay_alu instid0(VALU_DEP_3) | instskip(SKIP_1) | instid1(VALU_DEP_4)
	v_lshrrev_b32_e32 v57, v47, v46
	v_add_nc_u32_e32 v47, v47, v44
	v_and_b32_e32 v46, v56, v46
	s_delay_alu instid0(VALU_DEP_3) | instskip(NEXT) | instid1(VALU_DEP_2)
	v_bfe_u32 v58, v57, 21, 1
	v_cmp_eq_u32_e64 s13, v46, v59
	s_delay_alu instid0(VALU_DEP_2) | instskip(NEXT) | instid1(VALU_DEP_1)
	v_add_nc_u32_e32 v56, -1, v58
	v_cndmask_b32_e64 v46, 0, v56, s13
	v_lshrrev_b32_e32 v56, 23, v57
	s_mov_b32 s13, exec_lo
	s_delay_alu instid0(VALU_DEP_2) | instskip(NEXT) | instid1(VALU_DEP_2)
	v_add_nc_u32_e32 v46, v46, v57
	v_xor_b32_e32 v56, 1, v56
	s_delay_alu instid0(VALU_DEP_2) | instskip(NEXT) | instid1(VALU_DEP_1)
	v_and_b32_e32 v44, 0x1fffff, v46
	v_add_nc_u32_e32 v46, v44, v57
                                        ; implicit-def: $vgpr44
	s_delay_alu instid0(VALU_DEP_3)
	v_cmpx_ne_u32_e64 v47, v56
	s_xor_b32 s13, exec_lo, s13
; %bb.5408:                             ;   in Loop: Header=BB4_4876 Depth=3
	s_delay_alu instid0(VALU_DEP_2) | instskip(SKIP_2) | instid1(VALU_DEP_2)
	v_cmp_lt_u32_e32 vcc_lo, 0xffffff, v46
	v_sub_nc_u32_e32 v44, v47, v56
	v_cndmask_b32_e64 v47, 0, 1, vcc_lo
	v_add_co_ci_u32_e32 v44, vcc_lo, 0, v44, vcc_lo
	s_delay_alu instid0(VALU_DEP_2)
	v_lshrrev_b32_e32 v46, v47, v46
; %bb.5409:                             ;   in Loop: Header=BB4_4876 Depth=3
	s_and_not1_saveexec_b32 s13, s13
; %bb.5410:                             ;   in Loop: Header=BB4_4876 Depth=3
	s_delay_alu instid0(VALU_DEP_1)
	v_bfe_u32 v44, v46, 23, 1
; %bb.5411:                             ;   in Loop: Header=BB4_4876 Depth=3
	s_or_b32 exec_lo, exec_lo, s13
	v_lshrrev_b32_e32 v46, 21, v46
	s_delay_alu instid0(VALU_DEP_2) | instskip(SKIP_2) | instid1(VALU_DEP_2)
	v_cmp_gt_i32_e32 vcc_lo, 32, v44
	v_lshrrev_b32_e32 v45, 24, v45
	v_min_i32_e32 v47, 31, v44
	v_dual_cndmask_b32 v46, 3, v46 :: v_dual_and_b32 v45, 0x80, v45
	s_delay_alu instid0(VALU_DEP_1) | instskip(SKIP_1) | instid1(VALU_DEP_2)
	v_or_b32_e32 v44, v44, v46
	v_and_b32_e32 v56, 3, v46
	v_cmp_ne_u32_e32 vcc_lo, 0, v44
	v_lshlrev_b32_e32 v47, 2, v47
	s_delay_alu instid0(VALU_DEP_1) | instskip(NEXT) | instid1(VALU_DEP_1)
	v_or3_b32 v45, v47, v45, v56
	v_cndmask_b32_e32 v44, 0, v45, vcc_lo
.LBB4_5412:                             ;   in Loop: Header=BB4_4876 Depth=3
	s_or_b32 exec_lo, exec_lo, s30
.LBB4_5413:                             ;   in Loop: Header=BB4_4876 Depth=3
	s_delay_alu instid0(SALU_CYCLE_1) | instskip(SKIP_3) | instid1(VALU_DEP_1)
	s_or_b32 exec_lo, exec_lo, s17
	v_and_b32_e32 v46, 0xff, v42
	s_mov_b32 s13, 0
	s_mov_b32 s30, exec_lo
                                        ; implicit-def: $sgpr17
	v_cmpx_lt_i16_e32 0x7f, v46
	s_xor_b32 s30, exec_lo, s30
	s_cbranch_execnz .LBB4_5979
; %bb.5414:                             ;   in Loop: Header=BB4_4876 Depth=3
	s_or_saveexec_b32 s30, s30
	v_mov_b32_e32 v45, s17
	s_xor_b32 exec_lo, exec_lo, s30
	s_cbranch_execnz .LBB4_5982
.LBB4_5415:                             ;   in Loop: Header=BB4_4876 Depth=3
	s_or_b32 exec_lo, exec_lo, s30
	s_and_saveexec_b32 s17, s13
	s_cbranch_execz .LBB4_5417
.LBB4_5416:                             ;   in Loop: Header=BB4_4876 Depth=3
	v_and_b32_e32 v45, 3, v42
	v_bfe_u32 v56, v42, 2, 5
	s_delay_alu instid0(VALU_DEP_2) | instskip(NEXT) | instid1(VALU_DEP_2)
	v_clz_i32_u32_e32 v46, v45
	v_cmp_eq_u32_e32 vcc_lo, 0, v56
	s_delay_alu instid0(VALU_DEP_2) | instskip(NEXT) | instid1(VALU_DEP_1)
	v_min_u32_e32 v46, 32, v46
	v_subrev_nc_u32_e32 v47, 29, v46
	v_sub_nc_u32_e32 v46, 30, v46
	s_delay_alu instid0(VALU_DEP_2) | instskip(NEXT) | instid1(VALU_DEP_1)
	v_lshlrev_b32_e32 v47, v47, v42
	v_dual_cndmask_b32 v46, v56, v46 :: v_dual_and_b32 v47, 3, v47
	v_lshlrev_b32_e32 v42, 24, v42
	s_delay_alu instid0(VALU_DEP_2) | instskip(NEXT) | instid1(VALU_DEP_2)
	v_lshl_add_u32 v46, v46, 23, 0x37800000
	v_dual_cndmask_b32 v45, v45, v47 :: v_dual_and_b32 v42, 0x80000000, v42
	s_delay_alu instid0(VALU_DEP_1) | instskip(NEXT) | instid1(VALU_DEP_1)
	v_lshlrev_b32_e32 v45, 21, v45
	v_or3_b32 v45, v42, v46, v45
.LBB4_5417:                             ;   in Loop: Header=BB4_4876 Depth=3
	s_or_b32 exec_lo, exec_lo, s17
	v_lshrrev_b16 v42, 8, v14
	s_mov_b32 s13, 0
	s_mov_b32 s30, exec_lo
                                        ; implicit-def: $sgpr17
	s_delay_alu instid0(VALU_DEP_1)
	v_cmpx_lt_i16_e32 0x7f, v42
	s_xor_b32 s30, exec_lo, s30
	s_cbranch_execnz .LBB4_5983
; %bb.5418:                             ;   in Loop: Header=BB4_4876 Depth=3
	s_or_saveexec_b32 s30, s30
	v_mov_b32_e32 v46, s17
	s_xor_b32 exec_lo, exec_lo, s30
	s_cbranch_execnz .LBB4_5986
.LBB4_5419:                             ;   in Loop: Header=BB4_4876 Depth=3
	s_or_b32 exec_lo, exec_lo, s30
	s_and_saveexec_b32 s17, s13
	s_cbranch_execz .LBB4_5421
.LBB4_5420:                             ;   in Loop: Header=BB4_4876 Depth=3
	v_and_b32_e32 v46, 0xffff, v42
	v_lshlrev_b32_e32 v42, 24, v42
	s_delay_alu instid0(VALU_DEP_2) | instskip(NEXT) | instid1(VALU_DEP_2)
	v_and_b32_e32 v47, 3, v46
	v_and_b32_e32 v42, 0x80000000, v42
	s_delay_alu instid0(VALU_DEP_2) | instskip(NEXT) | instid1(VALU_DEP_1)
	v_clz_i32_u32_e32 v56, v47
	v_min_u32_e32 v56, 32, v56
	s_delay_alu instid0(VALU_DEP_1) | instskip(SKIP_1) | instid1(VALU_DEP_2)
	v_subrev_nc_u32_e32 v57, 29, v56
	v_sub_nc_u32_e32 v56, 30, v56
	v_lshlrev_b32_e32 v57, v57, v46
	v_bfe_u32 v46, v46, 2, 5
	s_delay_alu instid0(VALU_DEP_2) | instskip(NEXT) | instid1(VALU_DEP_2)
	v_and_b32_e32 v57, 3, v57
	v_cmp_eq_u32_e32 vcc_lo, 0, v46
	s_delay_alu instid0(VALU_DEP_2) | instskip(NEXT) | instid1(VALU_DEP_1)
	v_dual_cndmask_b32 v46, v46, v56 :: v_dual_cndmask_b32 v47, v47, v57
	v_lshl_add_u32 v46, v46, 23, 0x37800000
	s_delay_alu instid0(VALU_DEP_2) | instskip(NEXT) | instid1(VALU_DEP_1)
	v_lshlrev_b32_e32 v47, 21, v47
	v_or3_b32 v46, v42, v46, v47
.LBB4_5421:                             ;   in Loop: Header=BB4_4876 Depth=3
	s_or_b32 exec_lo, exec_lo, s17
	s_delay_alu instid0(VALU_DEP_1) | instskip(NEXT) | instid1(VALU_DEP_1)
	v_add_f32_e32 v45, v45, v46
	v_and_b32_e32 v42, 0x7f800000, v45
	s_delay_alu instid0(VALU_DEP_1)
	v_cmp_ne_u32_e32 vcc_lo, 0x7f800000, v42
	v_mov_b32_e32 v42, 0x80
	s_and_saveexec_b32 s17, vcc_lo
	s_cbranch_execz .LBB4_5429
; %bb.5422:                             ;   in Loop: Header=BB4_4876 Depth=3
	v_mov_b32_e32 v42, 0
	s_mov_b32 s30, exec_lo
	v_cmpx_ne_u32_e32 0, v45
	s_cbranch_execz .LBB4_5428
; %bb.5423:                             ;   in Loop: Header=BB4_4876 Depth=3
	v_bfe_u32 v42, v45, 23, 8
	s_delay_alu instid0(VALU_DEP_1) | instskip(SKIP_1) | instid1(VALU_DEP_2)
	v_sub_nc_u32_e32 v47, 0x70, v42
	v_cmp_gt_u32_e32 vcc_lo, 0x71, v42
	v_dual_cndmask_b32 v47, 0, v47 :: v_dual_and_b32 v46, 0x7fffff, v45
	s_delay_alu instid0(VALU_DEP_1) | instskip(SKIP_2) | instid1(VALU_DEP_4)
	v_or_b32_e32 v56, 0x800000, v46
	v_cmp_eq_u32_e32 vcc_lo, 0, v42
	v_add_nc_u32_e32 v42, 0xffffff91, v42
	v_cndmask_b32_e64 v47, v47, 0x6f, vcc_lo
	s_delay_alu instid0(VALU_DEP_4) | instskip(NEXT) | instid1(VALU_DEP_3)
	v_cndmask_b32_e32 v46, v56, v46, vcc_lo
	v_cndmask_b32_e64 v42, v42, 0xffffff92, vcc_lo
	s_delay_alu instid0(VALU_DEP_3) | instskip(NEXT) | instid1(VALU_DEP_3)
	v_lshl_add_u32 v56, 0x200000, v47, -1
	v_lshrrev_b32_e32 v57, v47, v46
	v_lshlrev_b32_e64 v59, v47, 0x100000
	s_delay_alu instid0(VALU_DEP_4) | instskip(NEXT) | instid1(VALU_DEP_4)
	v_add_nc_u32_e32 v47, v47, v42
	v_and_b32_e32 v46, v56, v46
	s_delay_alu instid0(VALU_DEP_4) | instskip(NEXT) | instid1(VALU_DEP_2)
	v_bfe_u32 v58, v57, 21, 1
	v_cmp_eq_u32_e64 s13, v46, v59
	s_delay_alu instid0(VALU_DEP_2) | instskip(NEXT) | instid1(VALU_DEP_1)
	v_add_nc_u32_e32 v56, -1, v58
	v_cndmask_b32_e64 v46, 0, v56, s13
	v_lshrrev_b32_e32 v56, 23, v57
	s_mov_b32 s13, exec_lo
	s_delay_alu instid0(VALU_DEP_2) | instskip(NEXT) | instid1(VALU_DEP_2)
	v_add_nc_u32_e32 v46, v46, v57
	v_xor_b32_e32 v56, 1, v56
	s_delay_alu instid0(VALU_DEP_2) | instskip(NEXT) | instid1(VALU_DEP_1)
	v_and_b32_e32 v42, 0x1fffff, v46
	v_add_nc_u32_e32 v46, v42, v57
                                        ; implicit-def: $vgpr42
	s_delay_alu instid0(VALU_DEP_3)
	v_cmpx_ne_u32_e64 v47, v56
	s_xor_b32 s13, exec_lo, s13
; %bb.5424:                             ;   in Loop: Header=BB4_4876 Depth=3
	s_delay_alu instid0(VALU_DEP_2) | instskip(SKIP_2) | instid1(VALU_DEP_2)
	v_cmp_lt_u32_e32 vcc_lo, 0xffffff, v46
	v_sub_nc_u32_e32 v42, v47, v56
	v_cndmask_b32_e64 v47, 0, 1, vcc_lo
	v_add_co_ci_u32_e32 v42, vcc_lo, 0, v42, vcc_lo
	s_delay_alu instid0(VALU_DEP_2)
	v_lshrrev_b32_e32 v46, v47, v46
; %bb.5425:                             ;   in Loop: Header=BB4_4876 Depth=3
	s_and_not1_saveexec_b32 s13, s13
; %bb.5426:                             ;   in Loop: Header=BB4_4876 Depth=3
	s_delay_alu instid0(VALU_DEP_1)
	v_bfe_u32 v42, v46, 23, 1
; %bb.5427:                             ;   in Loop: Header=BB4_4876 Depth=3
	s_or_b32 exec_lo, exec_lo, s13
	v_lshrrev_b32_e32 v46, 21, v46
	s_delay_alu instid0(VALU_DEP_2) | instskip(SKIP_2) | instid1(VALU_DEP_2)
	v_cmp_gt_i32_e32 vcc_lo, 32, v42
	v_lshrrev_b32_e32 v45, 24, v45
	v_min_i32_e32 v47, 31, v42
	v_dual_cndmask_b32 v46, 3, v46 :: v_dual_and_b32 v45, 0x80, v45
	s_delay_alu instid0(VALU_DEP_1) | instskip(SKIP_1) | instid1(VALU_DEP_2)
	v_or_b32_e32 v42, v42, v46
	v_and_b32_e32 v56, 3, v46
	v_cmp_ne_u32_e32 vcc_lo, 0, v42
	v_lshlrev_b32_e32 v47, 2, v47
	s_delay_alu instid0(VALU_DEP_1) | instskip(NEXT) | instid1(VALU_DEP_1)
	v_or3_b32 v45, v47, v45, v56
	v_cndmask_b32_e32 v42, 0, v45, vcc_lo
.LBB4_5428:                             ;   in Loop: Header=BB4_4876 Depth=3
	s_or_b32 exec_lo, exec_lo, s30
.LBB4_5429:                             ;   in Loop: Header=BB4_4876 Depth=3
	s_delay_alu instid0(SALU_CYCLE_1) | instskip(SKIP_3) | instid1(VALU_DEP_1)
	s_or_b32 exec_lo, exec_lo, s17
	v_and_b32_e32 v46, 0xff, v41
	s_mov_b32 s13, 0
	s_mov_b32 s30, exec_lo
                                        ; implicit-def: $sgpr17
	v_cmpx_lt_i16_e32 0x7f, v46
	s_xor_b32 s30, exec_lo, s30
	s_cbranch_execnz .LBB4_5987
; %bb.5430:                             ;   in Loop: Header=BB4_4876 Depth=3
	s_or_saveexec_b32 s30, s30
	v_mov_b32_e32 v45, s17
	s_xor_b32 exec_lo, exec_lo, s30
	s_cbranch_execnz .LBB4_5990
.LBB4_5431:                             ;   in Loop: Header=BB4_4876 Depth=3
	s_or_b32 exec_lo, exec_lo, s30
	s_and_saveexec_b32 s17, s13
	s_cbranch_execz .LBB4_5433
.LBB4_5432:                             ;   in Loop: Header=BB4_4876 Depth=3
	v_bfe_u32 v56, v41, 2, 5
	s_delay_alu instid0(VALU_DEP_1) | instskip(SKIP_1) | instid1(VALU_DEP_1)
	v_cmp_eq_u32_e32 vcc_lo, 0, v56
	v_and_b32_e32 v45, 3, v41
	v_clz_i32_u32_e32 v46, v45
	s_delay_alu instid0(VALU_DEP_1) | instskip(NEXT) | instid1(VALU_DEP_1)
	v_min_u32_e32 v46, 32, v46
	v_subrev_nc_u32_e32 v47, 29, v46
	v_sub_nc_u32_e32 v46, 30, v46
	s_delay_alu instid0(VALU_DEP_1) | instskip(SKIP_1) | instid1(VALU_DEP_2)
	v_dual_cndmask_b32 v46, v56, v46 :: v_dual_lshlrev_b32 v47, v47, v41
	v_lshlrev_b32_e32 v41, 24, v41
	v_and_b32_e32 v47, 3, v47
	s_delay_alu instid0(VALU_DEP_3) | instskip(NEXT) | instid1(VALU_DEP_3)
	v_lshl_add_u32 v46, v46, 23, 0x37800000
	v_and_b32_e32 v41, 0x80000000, v41
	s_delay_alu instid0(VALU_DEP_3) | instskip(NEXT) | instid1(VALU_DEP_1)
	v_cndmask_b32_e32 v45, v45, v47, vcc_lo
	v_lshlrev_b32_e32 v45, 21, v45
	s_delay_alu instid0(VALU_DEP_1)
	v_or3_b32 v45, v41, v46, v45
.LBB4_5433:                             ;   in Loop: Header=BB4_4876 Depth=3
	s_or_b32 exec_lo, exec_lo, s17
	v_lshrrev_b32_e32 v41, 16, v14
	s_mov_b32 s13, 0
	s_mov_b32 s30, exec_lo
                                        ; implicit-def: $sgpr17
	s_delay_alu instid0(VALU_DEP_1) | instskip(NEXT) | instid1(VALU_DEP_1)
	v_and_b32_e32 v47, 0xff, v41
	v_cmpx_lt_i16_e32 0x7f, v47
	s_xor_b32 s30, exec_lo, s30
	s_cbranch_execnz .LBB4_5991
; %bb.5434:                             ;   in Loop: Header=BB4_4876 Depth=3
	s_or_saveexec_b32 s30, s30
	v_mov_b32_e32 v46, s17
	s_xor_b32 exec_lo, exec_lo, s30
	s_cbranch_execnz .LBB4_5994
.LBB4_5435:                             ;   in Loop: Header=BB4_4876 Depth=3
	s_or_b32 exec_lo, exec_lo, s30
	s_and_saveexec_b32 s17, s13
	s_cbranch_execz .LBB4_5437
.LBB4_5436:                             ;   in Loop: Header=BB4_4876 Depth=3
	v_bfe_u32 v46, v14, 16, 2
	v_lshlrev_b32_e32 v57, 8, v14
	s_delay_alu instid0(VALU_DEP_2) | instskip(NEXT) | instid1(VALU_DEP_1)
	v_clz_i32_u32_e32 v47, v46
	v_min_u32_e32 v47, 32, v47
	s_delay_alu instid0(VALU_DEP_1) | instskip(SKIP_1) | instid1(VALU_DEP_2)
	v_subrev_nc_u32_e32 v56, 29, v47
	v_sub_nc_u32_e32 v47, 30, v47
	v_lshlrev_b32_e32 v41, v56, v41
	v_bfe_u32 v56, v14, 18, 5
	s_delay_alu instid0(VALU_DEP_2) | instskip(NEXT) | instid1(VALU_DEP_2)
	v_and_b32_e32 v41, 3, v41
	v_cmp_eq_u32_e32 vcc_lo, 0, v56
	v_cndmask_b32_e32 v47, v56, v47, vcc_lo
	s_delay_alu instid0(VALU_DEP_3) | instskip(SKIP_1) | instid1(VALU_DEP_3)
	v_cndmask_b32_e32 v41, v46, v41, vcc_lo
	v_and_b32_e32 v46, 0x80000000, v57
	v_lshl_add_u32 v47, v47, 23, 0x37800000
	s_delay_alu instid0(VALU_DEP_3) | instskip(NEXT) | instid1(VALU_DEP_1)
	v_lshlrev_b32_e32 v41, 21, v41
	v_or3_b32 v46, v46, v47, v41
.LBB4_5437:                             ;   in Loop: Header=BB4_4876 Depth=3
	s_or_b32 exec_lo, exec_lo, s17
	s_delay_alu instid0(VALU_DEP_1) | instskip(NEXT) | instid1(VALU_DEP_1)
	v_add_f32_e32 v45, v45, v46
	v_and_b32_e32 v41, 0x7f800000, v45
	s_delay_alu instid0(VALU_DEP_1)
	v_cmp_ne_u32_e32 vcc_lo, 0x7f800000, v41
	v_mov_b32_e32 v41, 0x80
	s_and_saveexec_b32 s17, vcc_lo
	s_cbranch_execz .LBB4_5445
; %bb.5438:                             ;   in Loop: Header=BB4_4876 Depth=3
	v_mov_b32_e32 v41, 0
	s_mov_b32 s30, exec_lo
	v_cmpx_ne_u32_e32 0, v45
	s_cbranch_execz .LBB4_5444
; %bb.5439:                             ;   in Loop: Header=BB4_4876 Depth=3
	v_bfe_u32 v41, v45, 23, 8
	s_delay_alu instid0(VALU_DEP_1) | instskip(SKIP_1) | instid1(VALU_DEP_2)
	v_sub_nc_u32_e32 v47, 0x70, v41
	v_cmp_gt_u32_e32 vcc_lo, 0x71, v41
	v_dual_cndmask_b32 v47, 0, v47 :: v_dual_and_b32 v46, 0x7fffff, v45
	s_delay_alu instid0(VALU_DEP_1) | instskip(SKIP_2) | instid1(VALU_DEP_4)
	v_or_b32_e32 v56, 0x800000, v46
	v_cmp_eq_u32_e32 vcc_lo, 0, v41
	v_add_nc_u32_e32 v41, 0xffffff91, v41
	v_cndmask_b32_e64 v47, v47, 0x6f, vcc_lo
	s_delay_alu instid0(VALU_DEP_4) | instskip(NEXT) | instid1(VALU_DEP_3)
	v_cndmask_b32_e32 v46, v56, v46, vcc_lo
	v_cndmask_b32_e64 v41, v41, 0xffffff92, vcc_lo
	s_delay_alu instid0(VALU_DEP_3) | instskip(NEXT) | instid1(VALU_DEP_3)
	v_lshl_add_u32 v56, 0x200000, v47, -1
	v_lshrrev_b32_e32 v57, v47, v46
	v_lshlrev_b32_e64 v59, v47, 0x100000
	s_delay_alu instid0(VALU_DEP_4) | instskip(NEXT) | instid1(VALU_DEP_4)
	v_add_nc_u32_e32 v47, v47, v41
	v_and_b32_e32 v46, v56, v46
	s_delay_alu instid0(VALU_DEP_4) | instskip(NEXT) | instid1(VALU_DEP_2)
	v_bfe_u32 v58, v57, 21, 1
	v_cmp_eq_u32_e64 s13, v46, v59
	s_delay_alu instid0(VALU_DEP_2) | instskip(NEXT) | instid1(VALU_DEP_1)
	v_add_nc_u32_e32 v56, -1, v58
	v_cndmask_b32_e64 v46, 0, v56, s13
	v_lshrrev_b32_e32 v56, 23, v57
	s_mov_b32 s13, exec_lo
	s_delay_alu instid0(VALU_DEP_2) | instskip(NEXT) | instid1(VALU_DEP_2)
	v_add_nc_u32_e32 v46, v46, v57
	v_xor_b32_e32 v56, 1, v56
	s_delay_alu instid0(VALU_DEP_2) | instskip(NEXT) | instid1(VALU_DEP_1)
	v_and_b32_e32 v41, 0x1fffff, v46
	v_add_nc_u32_e32 v46, v41, v57
                                        ; implicit-def: $vgpr41
	s_delay_alu instid0(VALU_DEP_3)
	v_cmpx_ne_u32_e64 v47, v56
	s_xor_b32 s13, exec_lo, s13
; %bb.5440:                             ;   in Loop: Header=BB4_4876 Depth=3
	s_delay_alu instid0(VALU_DEP_2) | instskip(SKIP_2) | instid1(VALU_DEP_2)
	v_cmp_lt_u32_e32 vcc_lo, 0xffffff, v46
	v_sub_nc_u32_e32 v41, v47, v56
	v_cndmask_b32_e64 v47, 0, 1, vcc_lo
	v_add_co_ci_u32_e32 v41, vcc_lo, 0, v41, vcc_lo
	s_delay_alu instid0(VALU_DEP_2)
	v_lshrrev_b32_e32 v46, v47, v46
; %bb.5441:                             ;   in Loop: Header=BB4_4876 Depth=3
	s_and_not1_saveexec_b32 s13, s13
; %bb.5442:                             ;   in Loop: Header=BB4_4876 Depth=3
	s_delay_alu instid0(VALU_DEP_1)
	v_bfe_u32 v41, v46, 23, 1
; %bb.5443:                             ;   in Loop: Header=BB4_4876 Depth=3
	s_or_b32 exec_lo, exec_lo, s13
	v_lshrrev_b32_e32 v46, 21, v46
	s_delay_alu instid0(VALU_DEP_2) | instskip(SKIP_2) | instid1(VALU_DEP_2)
	v_cmp_gt_i32_e32 vcc_lo, 32, v41
	v_lshrrev_b32_e32 v45, 24, v45
	v_min_i32_e32 v47, 31, v41
	v_dual_cndmask_b32 v46, 3, v46 :: v_dual_and_b32 v45, 0x80, v45
	s_delay_alu instid0(VALU_DEP_2) | instskip(NEXT) | instid1(VALU_DEP_2)
	v_lshlrev_b32_e32 v47, 2, v47
	v_or_b32_e32 v41, v41, v46
	s_delay_alu instid0(VALU_DEP_1) | instskip(SKIP_1) | instid1(VALU_DEP_1)
	v_cmp_ne_u32_e32 vcc_lo, 0, v41
	v_and_b32_e32 v56, 3, v46
	v_or3_b32 v45, v47, v45, v56
	s_delay_alu instid0(VALU_DEP_1)
	v_cndmask_b32_e32 v41, 0, v45, vcc_lo
.LBB4_5444:                             ;   in Loop: Header=BB4_4876 Depth=3
	s_or_b32 exec_lo, exec_lo, s30
.LBB4_5445:                             ;   in Loop: Header=BB4_4876 Depth=3
	s_delay_alu instid0(SALU_CYCLE_1) | instskip(SKIP_3) | instid1(VALU_DEP_1)
	s_or_b32 exec_lo, exec_lo, s17
	v_and_b32_e32 v46, 0xff, v182
	s_mov_b32 s13, 0
	s_mov_b32 s30, exec_lo
                                        ; implicit-def: $sgpr17
	v_cmpx_lt_i16_e32 0x7f, v46
	s_xor_b32 s30, exec_lo, s30
	s_cbranch_execnz .LBB4_5995
; %bb.5446:                             ;   in Loop: Header=BB4_4876 Depth=3
	s_or_saveexec_b32 s30, s30
	v_mov_b32_e32 v45, s17
	s_xor_b32 exec_lo, exec_lo, s30
	s_cbranch_execnz .LBB4_5998
.LBB4_5447:                             ;   in Loop: Header=BB4_4876 Depth=3
	s_or_b32 exec_lo, exec_lo, s30
	s_and_saveexec_b32 s17, s13
	s_cbranch_execz .LBB4_5449
.LBB4_5448:                             ;   in Loop: Header=BB4_4876 Depth=3
	v_lshlrev_b32_e32 v182, 8, v182
	s_delay_alu instid0(VALU_DEP_1) | instskip(SKIP_1) | instid1(VALU_DEP_2)
	v_and_b32_e32 v45, 0xff00, v182
	v_bfe_u32 v182, v182, 10, 5
	v_bfe_u32 v47, v45, 8, 2
	s_delay_alu instid0(VALU_DEP_2) | instskip(NEXT) | instid1(VALU_DEP_2)
	v_cmp_eq_u32_e32 vcc_lo, 0, v182
	v_clz_i32_u32_e32 v56, v47
	s_delay_alu instid0(VALU_DEP_1) | instskip(NEXT) | instid1(VALU_DEP_1)
	v_min_u32_e32 v56, 32, v56
	v_subrev_nc_u32_e32 v57, 29, v56
	v_sub_nc_u32_e32 v56, 30, v56
	s_delay_alu instid0(VALU_DEP_2) | instskip(NEXT) | instid1(VALU_DEP_2)
	v_lshlrev_b32_e32 v46, v57, v46
	v_cndmask_b32_e32 v182, v182, v56, vcc_lo
	s_delay_alu instid0(VALU_DEP_2) | instskip(SKIP_1) | instid1(VALU_DEP_3)
	v_and_b32_e32 v46, 3, v46
	v_lshlrev_b32_e32 v45, 16, v45
	v_lshl_add_u32 v182, v182, 23, 0x37800000
	s_delay_alu instid0(VALU_DEP_2) | instskip(NEXT) | instid1(VALU_DEP_1)
	v_dual_cndmask_b32 v46, v47, v46 :: v_dual_and_b32 v45, 0x80000000, v45
	v_lshlrev_b32_e32 v46, 21, v46
	s_delay_alu instid0(VALU_DEP_1)
	v_or3_b32 v45, v45, v182, v46
.LBB4_5449:                             ;   in Loop: Header=BB4_4876 Depth=3
	s_or_b32 exec_lo, exec_lo, s17
	v_lshrrev_b32_e32 v182, 24, v14
	s_mov_b32 s13, 0
	s_mov_b32 s30, exec_lo
                                        ; implicit-def: $sgpr17
	s_delay_alu instid0(VALU_DEP_1)
	v_cmpx_lt_i16_e64 0x7f, v182
	s_xor_b32 s30, exec_lo, s30
	s_cbranch_execnz .LBB4_5999
; %bb.5450:                             ;   in Loop: Header=BB4_4876 Depth=3
	s_or_saveexec_b32 s30, s30
	v_mov_b32_e32 v46, s17
	s_xor_b32 exec_lo, exec_lo, s30
	s_cbranch_execnz .LBB4_6002
.LBB4_5451:                             ;   in Loop: Header=BB4_4876 Depth=3
	s_or_b32 exec_lo, exec_lo, s30
	s_and_saveexec_b32 s17, s13
	s_cbranch_execz .LBB4_5453
.LBB4_5452:                             ;   in Loop: Header=BB4_4876 Depth=3
	v_bfe_u32 v46, v14, 24, 2
	s_delay_alu instid0(VALU_DEP_1) | instskip(NEXT) | instid1(VALU_DEP_1)
	v_clz_i32_u32_e32 v47, v46
	v_min_u32_e32 v47, 32, v47
	s_delay_alu instid0(VALU_DEP_1) | instskip(SKIP_1) | instid1(VALU_DEP_2)
	v_subrev_nc_u32_e32 v56, 29, v47
	v_sub_nc_u32_e32 v47, 30, v47
	v_lshlrev_b32_e32 v182, v56, v182
	v_bfe_u32 v56, v14, 26, 5
	v_and_b32_e32 v14, 0x80000000, v14
	s_delay_alu instid0(VALU_DEP_2) | instskip(NEXT) | instid1(VALU_DEP_4)
	v_cmp_eq_u32_e32 vcc_lo, 0, v56
	v_dual_cndmask_b32 v47, v56, v47 :: v_dual_and_b32 v182, 3, v182
	s_delay_alu instid0(VALU_DEP_1) | instskip(NEXT) | instid1(VALU_DEP_2)
	v_cndmask_b32_e32 v182, v46, v182, vcc_lo
	v_lshl_add_u32 v46, v47, 23, 0x37800000
	s_delay_alu instid0(VALU_DEP_2) | instskip(NEXT) | instid1(VALU_DEP_1)
	v_lshlrev_b32_e32 v182, 21, v182
	v_or3_b32 v46, v14, v46, v182
.LBB4_5453:                             ;   in Loop: Header=BB4_4876 Depth=3
	s_or_b32 exec_lo, exec_lo, s17
	s_delay_alu instid0(VALU_DEP_1) | instskip(NEXT) | instid1(VALU_DEP_1)
	v_add_f32_e32 v182, v45, v46
	v_and_b32_e32 v14, 0x7f800000, v182
	s_delay_alu instid0(VALU_DEP_1)
	v_cmp_ne_u32_e32 vcc_lo, 0x7f800000, v14
	v_mov_b32_e32 v14, 0x80
	s_and_saveexec_b32 s17, vcc_lo
	s_cbranch_execz .LBB4_5461
; %bb.5454:                             ;   in Loop: Header=BB4_4876 Depth=3
	v_mov_b32_e32 v14, 0
	s_mov_b32 s30, exec_lo
	v_cmpx_ne_u32_e32 0, v182
	s_cbranch_execz .LBB4_5460
; %bb.5455:                             ;   in Loop: Header=BB4_4876 Depth=3
	v_bfe_u32 v14, v182, 23, 8
	v_and_b32_e32 v45, 0x7fffff, v182
	s_delay_alu instid0(VALU_DEP_2) | instskip(SKIP_1) | instid1(VALU_DEP_3)
	v_sub_nc_u32_e32 v46, 0x70, v14
	v_cmp_gt_u32_e32 vcc_lo, 0x71, v14
	v_or_b32_e32 v47, 0x800000, v45
	s_delay_alu instid0(VALU_DEP_3) | instskip(SKIP_1) | instid1(VALU_DEP_3)
	v_cndmask_b32_e32 v46, 0, v46, vcc_lo
	v_cmp_eq_u32_e32 vcc_lo, 0, v14
	v_dual_cndmask_b32 v45, v47, v45 :: v_dual_add_nc_u32 v14, 0xffffff91, v14
	s_delay_alu instid0(VALU_DEP_3) | instskip(NEXT) | instid1(VALU_DEP_2)
	v_cndmask_b32_e64 v46, v46, 0x6f, vcc_lo
	v_cndmask_b32_e64 v14, v14, 0xffffff92, vcc_lo
	s_delay_alu instid0(VALU_DEP_2) | instskip(SKIP_2) | instid1(VALU_DEP_4)
	v_lshrrev_b32_e32 v56, v46, v45
	v_lshl_add_u32 v47, 0x200000, v46, -1
	v_lshlrev_b32_e64 v58, v46, 0x100000
	v_add_nc_u32_e32 v46, v46, v14
	s_delay_alu instid0(VALU_DEP_4) | instskip(NEXT) | instid1(VALU_DEP_4)
	v_bfe_u32 v57, v56, 21, 1
	v_and_b32_e32 v45, v47, v45
	s_delay_alu instid0(VALU_DEP_2) | instskip(NEXT) | instid1(VALU_DEP_2)
	v_add_nc_u32_e32 v47, -1, v57
	v_cmp_eq_u32_e64 s13, v45, v58
	s_delay_alu instid0(VALU_DEP_1) | instskip(SKIP_2) | instid1(VALU_DEP_2)
	v_cndmask_b32_e64 v45, 0, v47, s13
	v_lshrrev_b32_e32 v47, 23, v56
	s_mov_b32 s13, exec_lo
	v_add_nc_u32_e32 v45, v45, v56
	s_delay_alu instid0(VALU_DEP_2) | instskip(NEXT) | instid1(VALU_DEP_2)
	v_xor_b32_e32 v47, 1, v47
	v_and_b32_e32 v14, 0x1fffff, v45
	s_delay_alu instid0(VALU_DEP_1) | instskip(NEXT) | instid1(VALU_DEP_3)
	v_add_nc_u32_e32 v45, v14, v56
                                        ; implicit-def: $vgpr14
	v_cmpx_ne_u32_e64 v46, v47
	s_xor_b32 s13, exec_lo, s13
; %bb.5456:                             ;   in Loop: Header=BB4_4876 Depth=3
	s_delay_alu instid0(VALU_DEP_2) | instskip(SKIP_2) | instid1(VALU_DEP_2)
	v_cmp_lt_u32_e32 vcc_lo, 0xffffff, v45
	v_sub_nc_u32_e32 v14, v46, v47
	v_cndmask_b32_e64 v46, 0, 1, vcc_lo
	v_add_co_ci_u32_e32 v14, vcc_lo, 0, v14, vcc_lo
	s_delay_alu instid0(VALU_DEP_2)
	v_lshrrev_b32_e32 v45, v46, v45
; %bb.5457:                             ;   in Loop: Header=BB4_4876 Depth=3
	s_and_not1_saveexec_b32 s13, s13
; %bb.5458:                             ;   in Loop: Header=BB4_4876 Depth=3
	s_delay_alu instid0(VALU_DEP_1)
	v_bfe_u32 v14, v45, 23, 1
; %bb.5459:                             ;   in Loop: Header=BB4_4876 Depth=3
	s_or_b32 exec_lo, exec_lo, s13
	v_lshrrev_b32_e32 v45, 21, v45
	s_delay_alu instid0(VALU_DEP_2) | instskip(SKIP_2) | instid1(VALU_DEP_2)
	v_cmp_gt_i32_e32 vcc_lo, 32, v14
	v_lshrrev_b32_e32 v182, 24, v182
	v_min_i32_e32 v46, 31, v14
	v_dual_cndmask_b32 v45, 3, v45 :: v_dual_and_b32 v182, 0x80, v182
	s_delay_alu instid0(VALU_DEP_2) | instskip(NEXT) | instid1(VALU_DEP_2)
	v_lshlrev_b32_e32 v46, 2, v46
	v_or_b32_e32 v14, v14, v45
	s_delay_alu instid0(VALU_DEP_1) | instskip(SKIP_1) | instid1(VALU_DEP_1)
	v_cmp_ne_u32_e32 vcc_lo, 0, v14
	v_and_b32_e32 v47, 3, v45
	v_or3_b32 v182, v46, v182, v47
	s_delay_alu instid0(VALU_DEP_1)
	v_cndmask_b32_e32 v14, 0, v182, vcc_lo
.LBB4_5460:                             ;   in Loop: Header=BB4_4876 Depth=3
	s_or_b32 exec_lo, exec_lo, s30
.LBB4_5461:                             ;   in Loop: Header=BB4_4876 Depth=3
	s_delay_alu instid0(SALU_CYCLE_1) | instskip(SKIP_3) | instid1(VALU_DEP_1)
	s_or_b32 exec_lo, exec_lo, s17
	v_or_b32_e32 v43, v43, v181
	s_mov_b32 s13, 0
	s_mov_b32 s30, exec_lo
                                        ; implicit-def: $sgpr17
	v_and_b32_e32 v182, 0xff, v43
	s_delay_alu instid0(VALU_DEP_1)
	v_cmpx_lt_i16_e64 0x7f, v182
	s_xor_b32 s30, exec_lo, s30
	s_cbranch_execnz .LBB4_6003
; %bb.5462:                             ;   in Loop: Header=BB4_4876 Depth=3
	s_or_saveexec_b32 s30, s30
	v_mov_b32_e32 v181, s17
	s_xor_b32 exec_lo, exec_lo, s30
	s_cbranch_execnz .LBB4_6006
.LBB4_5463:                             ;   in Loop: Header=BB4_4876 Depth=3
	s_or_b32 exec_lo, exec_lo, s30
	s_and_saveexec_b32 s17, s13
	s_cbranch_execz .LBB4_5465
.LBB4_5464:                             ;   in Loop: Header=BB4_4876 Depth=3
	v_bfe_u32 v46, v43, 2, 5
	v_lshlrev_b32_e32 v47, 24, v43
	s_delay_alu instid0(VALU_DEP_2) | instskip(SKIP_1) | instid1(VALU_DEP_1)
	v_cmp_eq_u32_e32 vcc_lo, 0, v46
	v_and_b32_e32 v181, 3, v43
	v_clz_i32_u32_e32 v182, v181
	s_delay_alu instid0(VALU_DEP_1) | instskip(NEXT) | instid1(VALU_DEP_1)
	v_min_u32_e32 v182, 32, v182
	v_subrev_nc_u32_e32 v45, 29, v182
	v_sub_nc_u32_e32 v182, 30, v182
	s_delay_alu instid0(VALU_DEP_1) | instskip(NEXT) | instid1(VALU_DEP_1)
	v_dual_cndmask_b32 v182, v46, v182 :: v_dual_lshlrev_b32 v45, v45, v43
	v_and_b32_e32 v45, 3, v45
	s_delay_alu instid0(VALU_DEP_2) | instskip(NEXT) | instid1(VALU_DEP_2)
	v_lshl_add_u32 v182, v182, 23, 0x37800000
	v_cndmask_b32_e32 v181, v181, v45, vcc_lo
	v_and_b32_e32 v45, 0x80000000, v47
	s_delay_alu instid0(VALU_DEP_2) | instskip(NEXT) | instid1(VALU_DEP_1)
	v_lshlrev_b32_e32 v181, 21, v181
	v_or3_b32 v181, v45, v182, v181
.LBB4_5465:                             ;   in Loop: Header=BB4_4876 Depth=3
	s_or_b32 exec_lo, exec_lo, s17
	v_and_b32_e32 v45, 0xff, v15
	s_mov_b32 s13, 0
	s_mov_b32 s30, exec_lo
                                        ; implicit-def: $sgpr17
	s_delay_alu instid0(VALU_DEP_1)
	v_cmpx_lt_i16_e32 0x7f, v45
	s_xor_b32 s30, exec_lo, s30
	s_cbranch_execnz .LBB4_6007
; %bb.5466:                             ;   in Loop: Header=BB4_4876 Depth=3
	s_or_saveexec_b32 s30, s30
	v_mov_b32_e32 v182, s17
	s_xor_b32 exec_lo, exec_lo, s30
	s_cbranch_execnz .LBB4_6010
.LBB4_5467:                             ;   in Loop: Header=BB4_4876 Depth=3
	s_or_b32 exec_lo, exec_lo, s30
	s_and_saveexec_b32 s17, s13
	s_cbranch_execz .LBB4_5469
.LBB4_5468:                             ;   in Loop: Header=BB4_4876 Depth=3
	v_bfe_u32 v47, v15, 2, 5
	v_lshlrev_b32_e32 v56, 24, v15
	s_delay_alu instid0(VALU_DEP_2) | instskip(SKIP_1) | instid1(VALU_DEP_1)
	v_cmp_eq_u32_e32 vcc_lo, 0, v47
	v_and_b32_e32 v182, 3, v15
	v_clz_i32_u32_e32 v45, v182
	s_delay_alu instid0(VALU_DEP_1) | instskip(NEXT) | instid1(VALU_DEP_1)
	v_min_u32_e32 v45, 32, v45
	v_subrev_nc_u32_e32 v46, 29, v45
	v_sub_nc_u32_e32 v45, 30, v45
	s_delay_alu instid0(VALU_DEP_1) | instskip(NEXT) | instid1(VALU_DEP_1)
	v_dual_cndmask_b32 v45, v47, v45 :: v_dual_lshlrev_b32 v46, v46, v15
	v_and_b32_e32 v46, 3, v46
	s_delay_alu instid0(VALU_DEP_2) | instskip(NEXT) | instid1(VALU_DEP_2)
	v_lshl_add_u32 v45, v45, 23, 0x37800000
	v_cndmask_b32_e32 v182, v182, v46, vcc_lo
	v_and_b32_e32 v46, 0x80000000, v56
	s_delay_alu instid0(VALU_DEP_2) | instskip(NEXT) | instid1(VALU_DEP_1)
	v_lshlrev_b32_e32 v182, 21, v182
	v_or3_b32 v182, v46, v45, v182
.LBB4_5469:                             ;   in Loop: Header=BB4_4876 Depth=3
	s_or_b32 exec_lo, exec_lo, s17
	s_delay_alu instid0(VALU_DEP_1) | instskip(NEXT) | instid1(VALU_DEP_1)
	v_add_f32_e32 v182, v181, v182
	v_and_b32_e32 v181, 0x7f800000, v182
	s_delay_alu instid0(VALU_DEP_1)
	v_cmp_ne_u32_e32 vcc_lo, 0x7f800000, v181
	v_mov_b32_e32 v181, 0x80
	s_and_saveexec_b32 s17, vcc_lo
	s_cbranch_execz .LBB4_5477
; %bb.5470:                             ;   in Loop: Header=BB4_4876 Depth=3
	v_mov_b32_e32 v181, 0
	s_mov_b32 s30, exec_lo
	v_cmpx_ne_u32_e32 0, v182
	s_cbranch_execz .LBB4_5476
; %bb.5471:                             ;   in Loop: Header=BB4_4876 Depth=3
	v_bfe_u32 v181, v182, 23, 8
	v_and_b32_e32 v45, 0x7fffff, v182
	s_delay_alu instid0(VALU_DEP_2) | instskip(SKIP_1) | instid1(VALU_DEP_3)
	v_sub_nc_u32_e32 v46, 0x70, v181
	v_cmp_gt_u32_e32 vcc_lo, 0x71, v181
	v_or_b32_e32 v47, 0x800000, v45
	s_delay_alu instid0(VALU_DEP_3) | instskip(SKIP_2) | instid1(VALU_DEP_4)
	v_cndmask_b32_e32 v46, 0, v46, vcc_lo
	v_cmp_eq_u32_e32 vcc_lo, 0, v181
	v_add_nc_u32_e32 v181, 0xffffff91, v181
	v_cndmask_b32_e32 v45, v47, v45, vcc_lo
	s_delay_alu instid0(VALU_DEP_4) | instskip(NEXT) | instid1(VALU_DEP_3)
	v_cndmask_b32_e64 v46, v46, 0x6f, vcc_lo
	v_cndmask_b32_e64 v181, v181, 0xffffff92, vcc_lo
	s_delay_alu instid0(VALU_DEP_2) | instskip(SKIP_2) | instid1(VALU_DEP_4)
	v_lshrrev_b32_e32 v56, v46, v45
	v_lshl_add_u32 v47, 0x200000, v46, -1
	v_lshlrev_b32_e64 v58, v46, 0x100000
	v_add_nc_u32_e32 v46, v46, v181
	s_delay_alu instid0(VALU_DEP_4) | instskip(NEXT) | instid1(VALU_DEP_4)
	v_bfe_u32 v57, v56, 21, 1
	v_and_b32_e32 v45, v47, v45
	s_delay_alu instid0(VALU_DEP_2) | instskip(NEXT) | instid1(VALU_DEP_2)
	v_add_nc_u32_e32 v47, -1, v57
	v_cmp_eq_u32_e64 s13, v45, v58
	s_delay_alu instid0(VALU_DEP_1) | instskip(SKIP_2) | instid1(VALU_DEP_2)
	v_cndmask_b32_e64 v45, 0, v47, s13
	v_lshrrev_b32_e32 v47, 23, v56
	s_mov_b32 s13, exec_lo
	v_add_nc_u32_e32 v45, v45, v56
	s_delay_alu instid0(VALU_DEP_2) | instskip(NEXT) | instid1(VALU_DEP_2)
	v_xor_b32_e32 v47, 1, v47
	v_and_b32_e32 v181, 0x1fffff, v45
	s_delay_alu instid0(VALU_DEP_1) | instskip(NEXT) | instid1(VALU_DEP_3)
	v_add_nc_u32_e32 v45, v181, v56
                                        ; implicit-def: $vgpr181
	v_cmpx_ne_u32_e64 v46, v47
	s_xor_b32 s13, exec_lo, s13
; %bb.5472:                             ;   in Loop: Header=BB4_4876 Depth=3
	s_delay_alu instid0(VALU_DEP_2) | instskip(SKIP_2) | instid1(VALU_DEP_2)
	v_cmp_lt_u32_e32 vcc_lo, 0xffffff, v45
	v_sub_nc_u32_e32 v181, v46, v47
	v_cndmask_b32_e64 v46, 0, 1, vcc_lo
	v_add_co_ci_u32_e32 v181, vcc_lo, 0, v181, vcc_lo
	s_delay_alu instid0(VALU_DEP_2)
	v_lshrrev_b32_e32 v45, v46, v45
; %bb.5473:                             ;   in Loop: Header=BB4_4876 Depth=3
	s_and_not1_saveexec_b32 s13, s13
; %bb.5474:                             ;   in Loop: Header=BB4_4876 Depth=3
	s_delay_alu instid0(VALU_DEP_1)
	v_bfe_u32 v181, v45, 23, 1
; %bb.5475:                             ;   in Loop: Header=BB4_4876 Depth=3
	s_or_b32 exec_lo, exec_lo, s13
	v_lshrrev_b32_e32 v45, 21, v45
	s_delay_alu instid0(VALU_DEP_2) | instskip(SKIP_2) | instid1(VALU_DEP_2)
	v_cmp_gt_i32_e32 vcc_lo, 32, v181
	v_lshrrev_b32_e32 v182, 24, v182
	v_min_i32_e32 v46, 31, v181
	v_dual_cndmask_b32 v45, 3, v45 :: v_dual_and_b32 v182, 0x80, v182
	s_delay_alu instid0(VALU_DEP_2) | instskip(NEXT) | instid1(VALU_DEP_2)
	v_lshlrev_b32_e32 v46, 2, v46
	v_and_b32_e32 v47, 3, v45
	v_or_b32_e32 v181, v181, v45
	s_delay_alu instid0(VALU_DEP_2) | instskip(NEXT) | instid1(VALU_DEP_2)
	v_or3_b32 v182, v46, v182, v47
	v_cmp_ne_u32_e32 vcc_lo, 0, v181
	s_delay_alu instid0(VALU_DEP_2)
	v_cndmask_b32_e32 v181, 0, v182, vcc_lo
.LBB4_5476:                             ;   in Loop: Header=BB4_4876 Depth=3
	s_or_b32 exec_lo, exec_lo, s30
.LBB4_5477:                             ;   in Loop: Header=BB4_4876 Depth=3
	s_delay_alu instid0(SALU_CYCLE_1) | instskip(SKIP_3) | instid1(VALU_DEP_1)
	s_or_b32 exec_lo, exec_lo, s17
	v_lshrrev_b16 v45, 8, v43
	s_mov_b32 s13, 0
	s_mov_b32 s30, exec_lo
                                        ; implicit-def: $sgpr17
	v_cmpx_lt_i16_e32 0x7f, v45
	s_xor_b32 s30, exec_lo, s30
	s_cbranch_execnz .LBB4_6011
; %bb.5478:                             ;   in Loop: Header=BB4_4876 Depth=3
	s_or_saveexec_b32 s30, s30
	v_mov_b32_e32 v182, s17
	s_xor_b32 exec_lo, exec_lo, s30
	s_cbranch_execnz .LBB4_6014
.LBB4_5479:                             ;   in Loop: Header=BB4_4876 Depth=3
	s_or_b32 exec_lo, exec_lo, s30
	s_and_saveexec_b32 s17, s13
	s_cbranch_execz .LBB4_5481
.LBB4_5480:                             ;   in Loop: Header=BB4_4876 Depth=3
	v_and_b32_e32 v182, 0xffff, v45
	s_delay_alu instid0(VALU_DEP_1) | instskip(NEXT) | instid1(VALU_DEP_1)
	v_and_b32_e32 v46, 3, v182
	v_clz_i32_u32_e32 v47, v46
	s_delay_alu instid0(VALU_DEP_1) | instskip(NEXT) | instid1(VALU_DEP_1)
	v_min_u32_e32 v47, 32, v47
	v_subrev_nc_u32_e32 v56, 29, v47
	v_sub_nc_u32_e32 v47, 30, v47
	s_delay_alu instid0(VALU_DEP_2) | instskip(SKIP_1) | instid1(VALU_DEP_2)
	v_lshlrev_b32_e32 v56, v56, v182
	v_bfe_u32 v182, v182, 2, 5
	v_and_b32_e32 v56, 3, v56
	s_delay_alu instid0(VALU_DEP_2) | instskip(SKIP_1) | instid1(VALU_DEP_1)
	v_cmp_eq_u32_e32 vcc_lo, 0, v182
	v_dual_cndmask_b32 v182, v182, v47 :: v_dual_lshlrev_b32 v45, 24, v45
	v_dual_cndmask_b32 v46, v46, v56 :: v_dual_and_b32 v45, 0x80000000, v45
	s_delay_alu instid0(VALU_DEP_2) | instskip(NEXT) | instid1(VALU_DEP_2)
	v_lshl_add_u32 v182, v182, 23, 0x37800000
	v_lshlrev_b32_e32 v46, 21, v46
	s_delay_alu instid0(VALU_DEP_1)
	v_or3_b32 v182, v45, v182, v46
.LBB4_5481:                             ;   in Loop: Header=BB4_4876 Depth=3
	s_or_b32 exec_lo, exec_lo, s17
	v_lshrrev_b16 v45, 8, v15
	s_mov_b32 s13, 0
	s_mov_b32 s30, exec_lo
                                        ; implicit-def: $sgpr17
	s_delay_alu instid0(VALU_DEP_1)
	v_cmpx_lt_i16_e32 0x7f, v45
	s_xor_b32 s30, exec_lo, s30
	s_cbranch_execnz .LBB4_6015
; %bb.5482:                             ;   in Loop: Header=BB4_4876 Depth=3
	s_or_saveexec_b32 s30, s30
	v_mov_b32_e32 v46, s17
	s_xor_b32 exec_lo, exec_lo, s30
	s_cbranch_execnz .LBB4_6018
.LBB4_5483:                             ;   in Loop: Header=BB4_4876 Depth=3
	s_or_b32 exec_lo, exec_lo, s30
	s_and_saveexec_b32 s17, s13
	s_cbranch_execz .LBB4_5485
.LBB4_5484:                             ;   in Loop: Header=BB4_4876 Depth=3
	v_and_b32_e32 v46, 0xffff, v45
	v_lshlrev_b32_e32 v45, 24, v45
	s_delay_alu instid0(VALU_DEP_2) | instskip(NEXT) | instid1(VALU_DEP_2)
	v_and_b32_e32 v47, 3, v46
	v_and_b32_e32 v45, 0x80000000, v45
	s_delay_alu instid0(VALU_DEP_2) | instskip(NEXT) | instid1(VALU_DEP_1)
	v_clz_i32_u32_e32 v56, v47
	v_min_u32_e32 v56, 32, v56
	s_delay_alu instid0(VALU_DEP_1) | instskip(SKIP_1) | instid1(VALU_DEP_2)
	v_subrev_nc_u32_e32 v57, 29, v56
	v_sub_nc_u32_e32 v56, 30, v56
	v_lshlrev_b32_e32 v57, v57, v46
	v_bfe_u32 v46, v46, 2, 5
	s_delay_alu instid0(VALU_DEP_2) | instskip(NEXT) | instid1(VALU_DEP_2)
	v_and_b32_e32 v57, 3, v57
	v_cmp_eq_u32_e32 vcc_lo, 0, v46
	s_delay_alu instid0(VALU_DEP_2) | instskip(NEXT) | instid1(VALU_DEP_1)
	v_dual_cndmask_b32 v46, v46, v56 :: v_dual_cndmask_b32 v47, v47, v57
	v_lshl_add_u32 v46, v46, 23, 0x37800000
	s_delay_alu instid0(VALU_DEP_2) | instskip(NEXT) | instid1(VALU_DEP_1)
	v_lshlrev_b32_e32 v47, 21, v47
	v_or3_b32 v46, v45, v46, v47
.LBB4_5485:                             ;   in Loop: Header=BB4_4876 Depth=3
	s_or_b32 exec_lo, exec_lo, s17
	s_delay_alu instid0(VALU_DEP_1) | instskip(NEXT) | instid1(VALU_DEP_1)
	v_add_f32_e32 v45, v182, v46
	v_and_b32_e32 v182, 0x7f800000, v45
	s_delay_alu instid0(VALU_DEP_1)
	v_cmp_ne_u32_e32 vcc_lo, 0x7f800000, v182
	v_mov_b32_e32 v182, 0x8000
	s_and_saveexec_b32 s17, vcc_lo
	s_cbranch_execz .LBB4_5493
; %bb.5486:                             ;   in Loop: Header=BB4_4876 Depth=3
	v_mov_b32_e32 v182, 0
	s_mov_b32 s30, exec_lo
	v_cmpx_ne_u32_e32 0, v45
	s_cbranch_execz .LBB4_5492
; %bb.5487:                             ;   in Loop: Header=BB4_4876 Depth=3
	v_bfe_u32 v182, v45, 23, 8
	s_delay_alu instid0(VALU_DEP_1) | instskip(SKIP_1) | instid1(VALU_DEP_2)
	v_sub_nc_u32_e32 v47, 0x70, v182
	v_cmp_gt_u32_e32 vcc_lo, 0x71, v182
	v_dual_cndmask_b32 v47, 0, v47 :: v_dual_and_b32 v46, 0x7fffff, v45
	s_delay_alu instid0(VALU_DEP_1) | instskip(SKIP_2) | instid1(VALU_DEP_4)
	v_or_b32_e32 v56, 0x800000, v46
	v_cmp_eq_u32_e32 vcc_lo, 0, v182
	v_add_nc_u32_e32 v182, 0xffffff91, v182
	v_cndmask_b32_e64 v47, v47, 0x6f, vcc_lo
	s_delay_alu instid0(VALU_DEP_4) | instskip(NEXT) | instid1(VALU_DEP_3)
	v_cndmask_b32_e32 v46, v56, v46, vcc_lo
	v_cndmask_b32_e64 v182, v182, 0xffffff92, vcc_lo
	s_delay_alu instid0(VALU_DEP_3) | instskip(NEXT) | instid1(VALU_DEP_3)
	v_lshl_add_u32 v56, 0x200000, v47, -1
	v_lshrrev_b32_e32 v57, v47, v46
	v_lshlrev_b32_e64 v59, v47, 0x100000
	s_delay_alu instid0(VALU_DEP_4) | instskip(NEXT) | instid1(VALU_DEP_4)
	v_add_nc_u32_e32 v47, v47, v182
	v_and_b32_e32 v46, v56, v46
	s_delay_alu instid0(VALU_DEP_4) | instskip(NEXT) | instid1(VALU_DEP_2)
	v_bfe_u32 v58, v57, 21, 1
	v_cmp_eq_u32_e64 s13, v46, v59
	s_delay_alu instid0(VALU_DEP_2) | instskip(NEXT) | instid1(VALU_DEP_1)
	v_add_nc_u32_e32 v56, -1, v58
	v_cndmask_b32_e64 v46, 0, v56, s13
	v_lshrrev_b32_e32 v56, 23, v57
	s_mov_b32 s13, exec_lo
	s_delay_alu instid0(VALU_DEP_2) | instskip(NEXT) | instid1(VALU_DEP_2)
	v_add_nc_u32_e32 v46, v46, v57
	v_xor_b32_e32 v56, 1, v56
	s_delay_alu instid0(VALU_DEP_2) | instskip(NEXT) | instid1(VALU_DEP_1)
	v_and_b32_e32 v182, 0x1fffff, v46
	v_add_nc_u32_e32 v46, v182, v57
                                        ; implicit-def: $vgpr182
	s_delay_alu instid0(VALU_DEP_3)
	v_cmpx_ne_u32_e64 v47, v56
	s_xor_b32 s13, exec_lo, s13
; %bb.5488:                             ;   in Loop: Header=BB4_4876 Depth=3
	s_delay_alu instid0(VALU_DEP_2) | instskip(SKIP_2) | instid1(VALU_DEP_2)
	v_cmp_lt_u32_e32 vcc_lo, 0xffffff, v46
	v_sub_nc_u32_e32 v182, v47, v56
	v_cndmask_b32_e64 v47, 0, 1, vcc_lo
	v_add_co_ci_u32_e32 v182, vcc_lo, 0, v182, vcc_lo
	s_delay_alu instid0(VALU_DEP_2)
	v_lshrrev_b32_e32 v46, v47, v46
; %bb.5489:                             ;   in Loop: Header=BB4_4876 Depth=3
	s_and_not1_saveexec_b32 s13, s13
; %bb.5490:                             ;   in Loop: Header=BB4_4876 Depth=3
	s_delay_alu instid0(VALU_DEP_1)
	v_bfe_u32 v182, v46, 23, 1
; %bb.5491:                             ;   in Loop: Header=BB4_4876 Depth=3
	s_or_b32 exec_lo, exec_lo, s13
	v_lshrrev_b32_e32 v46, 21, v46
	s_delay_alu instid0(VALU_DEP_2) | instskip(SKIP_2) | instid1(VALU_DEP_2)
	v_cmp_gt_i32_e32 vcc_lo, 32, v182
	v_min_i32_e32 v47, 31, v182
	v_lshrrev_b32_e32 v45, 24, v45
	v_dual_cndmask_b32 v46, 3, v46 :: v_dual_lshlrev_b32 v47, 2, v47
	s_delay_alu instid0(VALU_DEP_2) | instskip(NEXT) | instid1(VALU_DEP_2)
	v_and_b32_e32 v45, 0x80, v45
	v_or_b32_e32 v182, v182, v46
	v_and_b32_e32 v56, 3, v46
	s_delay_alu instid0(VALU_DEP_2) | instskip(SKIP_1) | instid1(VALU_DEP_1)
	v_cmp_ne_u32_e32 vcc_lo, 0, v182
	v_and_b32_e32 v47, 0xfc, v47
	v_or3_b32 v45, v45, v47, v56
	s_delay_alu instid0(VALU_DEP_1) | instskip(NEXT) | instid1(VALU_DEP_1)
	v_lshlrev_b32_e32 v45, 8, v45
	v_cndmask_b32_e32 v182, 0, v45, vcc_lo
.LBB4_5492:                             ;   in Loop: Header=BB4_4876 Depth=3
	s_or_b32 exec_lo, exec_lo, s30
.LBB4_5493:                             ;   in Loop: Header=BB4_4876 Depth=3
	s_delay_alu instid0(SALU_CYCLE_1) | instskip(SKIP_3) | instid1(VALU_DEP_1)
	s_or_b32 exec_lo, exec_lo, s17
	v_or_b32_e32 v183, v183, v180
	s_mov_b32 s13, 0
	s_mov_b32 s30, exec_lo
                                        ; implicit-def: $sgpr17
	v_and_b32_e32 v45, 0xff, v183
	s_delay_alu instid0(VALU_DEP_1)
	v_cmpx_lt_i16_e32 0x7f, v45
	s_xor_b32 s30, exec_lo, s30
	s_cbranch_execnz .LBB4_6019
; %bb.5494:                             ;   in Loop: Header=BB4_4876 Depth=3
	s_or_saveexec_b32 s30, s30
	v_mov_b32_e32 v180, s17
	s_xor_b32 exec_lo, exec_lo, s30
	s_cbranch_execnz .LBB4_6022
.LBB4_5495:                             ;   in Loop: Header=BB4_4876 Depth=3
	s_or_b32 exec_lo, exec_lo, s30
	v_lshl_or_b32 v183, v183, 16, v43
	s_and_saveexec_b32 s17, s13
	s_cbranch_execz .LBB4_5497
.LBB4_5496:                             ;   in Loop: Header=BB4_4876 Depth=3
	s_delay_alu instid0(VALU_DEP_1) | instskip(SKIP_1) | instid1(VALU_DEP_2)
	v_bfe_u32 v180, v183, 16, 2
	v_lshrrev_b32_e32 v45, 16, v183
	v_clz_i32_u32_e32 v43, v180
	s_delay_alu instid0(VALU_DEP_1) | instskip(NEXT) | instid1(VALU_DEP_1)
	v_min_u32_e32 v43, 32, v43
	v_subrev_nc_u32_e32 v46, 29, v43
	v_sub_nc_u32_e32 v43, 30, v43
	s_delay_alu instid0(VALU_DEP_2) | instskip(SKIP_1) | instid1(VALU_DEP_2)
	v_lshlrev_b32_e32 v45, v46, v45
	v_bfe_u32 v46, v183, 18, 5
	v_and_b32_e32 v45, 3, v45
	s_delay_alu instid0(VALU_DEP_2) | instskip(NEXT) | instid1(VALU_DEP_2)
	v_cmp_eq_u32_e32 vcc_lo, 0, v46
	v_dual_cndmask_b32 v180, v180, v45 :: v_dual_lshlrev_b32 v47, 8, v183
	v_cndmask_b32_e32 v43, v46, v43, vcc_lo
	s_delay_alu instid0(VALU_DEP_2) | instskip(NEXT) | instid1(VALU_DEP_3)
	v_and_b32_e32 v45, 0x80000000, v47
	v_lshlrev_b32_e32 v180, 21, v180
	s_delay_alu instid0(VALU_DEP_3) | instskip(NEXT) | instid1(VALU_DEP_1)
	v_lshl_add_u32 v43, v43, 23, 0x37800000
	v_or3_b32 v180, v45, v43, v180
.LBB4_5497:                             ;   in Loop: Header=BB4_4876 Depth=3
	s_or_b32 exec_lo, exec_lo, s17
	v_lshrrev_b32_e32 v43, 16, v15
	s_mov_b32 s13, 0
	s_mov_b32 s30, exec_lo
                                        ; implicit-def: $sgpr17
	s_delay_alu instid0(VALU_DEP_1) | instskip(NEXT) | instid1(VALU_DEP_1)
	v_and_b32_e32 v46, 0xff, v43
	v_cmpx_lt_i16_e32 0x7f, v46
	s_xor_b32 s30, exec_lo, s30
	s_cbranch_execnz .LBB4_6023
; %bb.5498:                             ;   in Loop: Header=BB4_4876 Depth=3
	s_or_saveexec_b32 s30, s30
	v_mov_b32_e32 v45, s17
	s_xor_b32 exec_lo, exec_lo, s30
	s_cbranch_execnz .LBB4_6026
.LBB4_5499:                             ;   in Loop: Header=BB4_4876 Depth=3
	s_or_b32 exec_lo, exec_lo, s30
	s_and_saveexec_b32 s17, s13
	s_cbranch_execz .LBB4_5501
.LBB4_5500:                             ;   in Loop: Header=BB4_4876 Depth=3
	v_bfe_u32 v45, v15, 16, 2
	v_lshlrev_b32_e32 v56, 8, v15
	s_delay_alu instid0(VALU_DEP_2) | instskip(NEXT) | instid1(VALU_DEP_1)
	v_clz_i32_u32_e32 v46, v45
	v_min_u32_e32 v46, 32, v46
	s_delay_alu instid0(VALU_DEP_1) | instskip(SKIP_1) | instid1(VALU_DEP_2)
	v_subrev_nc_u32_e32 v47, 29, v46
	v_sub_nc_u32_e32 v46, 30, v46
	v_lshlrev_b32_e32 v43, v47, v43
	v_bfe_u32 v47, v15, 18, 5
	s_delay_alu instid0(VALU_DEP_1) | instskip(NEXT) | instid1(VALU_DEP_3)
	v_cmp_eq_u32_e32 vcc_lo, 0, v47
	v_dual_cndmask_b32 v46, v47, v46 :: v_dual_and_b32 v43, 3, v43
	s_delay_alu instid0(VALU_DEP_1) | instskip(SKIP_1) | instid1(VALU_DEP_3)
	v_cndmask_b32_e32 v43, v45, v43, vcc_lo
	v_and_b32_e32 v45, 0x80000000, v56
	v_lshl_add_u32 v46, v46, 23, 0x37800000
	s_delay_alu instid0(VALU_DEP_3) | instskip(NEXT) | instid1(VALU_DEP_1)
	v_lshlrev_b32_e32 v43, 21, v43
	v_or3_b32 v45, v45, v46, v43
.LBB4_5501:                             ;   in Loop: Header=BB4_4876 Depth=3
	s_or_b32 exec_lo, exec_lo, s17
	s_delay_alu instid0(VALU_DEP_1) | instskip(NEXT) | instid1(VALU_DEP_1)
	v_add_f32_e32 v43, v180, v45
	v_and_b32_e32 v180, 0x7f800000, v43
	s_delay_alu instid0(VALU_DEP_1)
	v_cmp_ne_u32_e32 vcc_lo, 0x7f800000, v180
	v_mov_b32_e32 v180, 0x80
	s_and_saveexec_b32 s17, vcc_lo
	s_cbranch_execz .LBB4_5509
; %bb.5502:                             ;   in Loop: Header=BB4_4876 Depth=3
	v_mov_b32_e32 v180, 0
	s_mov_b32 s30, exec_lo
	v_cmpx_ne_u32_e32 0, v43
	s_cbranch_execz .LBB4_5508
; %bb.5503:                             ;   in Loop: Header=BB4_4876 Depth=3
	v_bfe_u32 v180, v43, 23, 8
	s_delay_alu instid0(VALU_DEP_1) | instskip(SKIP_1) | instid1(VALU_DEP_2)
	v_sub_nc_u32_e32 v46, 0x70, v180
	v_cmp_gt_u32_e32 vcc_lo, 0x71, v180
	v_dual_cndmask_b32 v46, 0, v46 :: v_dual_and_b32 v45, 0x7fffff, v43
	s_delay_alu instid0(VALU_DEP_1) | instskip(SKIP_2) | instid1(VALU_DEP_4)
	v_or_b32_e32 v47, 0x800000, v45
	v_cmp_eq_u32_e32 vcc_lo, 0, v180
	v_add_nc_u32_e32 v180, 0xffffff91, v180
	v_cndmask_b32_e64 v46, v46, 0x6f, vcc_lo
	s_delay_alu instid0(VALU_DEP_4) | instskip(NEXT) | instid1(VALU_DEP_3)
	v_cndmask_b32_e32 v45, v47, v45, vcc_lo
	v_cndmask_b32_e64 v180, v180, 0xffffff92, vcc_lo
	s_delay_alu instid0(VALU_DEP_3) | instskip(NEXT) | instid1(VALU_DEP_3)
	v_lshl_add_u32 v47, 0x200000, v46, -1
	v_lshrrev_b32_e32 v56, v46, v45
	v_lshlrev_b32_e64 v58, v46, 0x100000
	s_delay_alu instid0(VALU_DEP_4) | instskip(NEXT) | instid1(VALU_DEP_4)
	v_add_nc_u32_e32 v46, v46, v180
	v_and_b32_e32 v45, v47, v45
	s_delay_alu instid0(VALU_DEP_4) | instskip(NEXT) | instid1(VALU_DEP_2)
	v_bfe_u32 v57, v56, 21, 1
	v_cmp_eq_u32_e64 s13, v45, v58
	s_delay_alu instid0(VALU_DEP_2) | instskip(NEXT) | instid1(VALU_DEP_1)
	v_add_nc_u32_e32 v47, -1, v57
	v_cndmask_b32_e64 v45, 0, v47, s13
	v_lshrrev_b32_e32 v47, 23, v56
	s_mov_b32 s13, exec_lo
	s_delay_alu instid0(VALU_DEP_2) | instskip(NEXT) | instid1(VALU_DEP_2)
	v_add_nc_u32_e32 v45, v45, v56
	v_xor_b32_e32 v47, 1, v47
	s_delay_alu instid0(VALU_DEP_2) | instskip(NEXT) | instid1(VALU_DEP_1)
	v_and_b32_e32 v180, 0x1fffff, v45
	v_add_nc_u32_e32 v45, v180, v56
                                        ; implicit-def: $vgpr180
	s_delay_alu instid0(VALU_DEP_3)
	v_cmpx_ne_u32_e64 v46, v47
	s_xor_b32 s13, exec_lo, s13
; %bb.5504:                             ;   in Loop: Header=BB4_4876 Depth=3
	s_delay_alu instid0(VALU_DEP_2) | instskip(SKIP_2) | instid1(VALU_DEP_2)
	v_cmp_lt_u32_e32 vcc_lo, 0xffffff, v45
	v_sub_nc_u32_e32 v180, v46, v47
	v_cndmask_b32_e64 v46, 0, 1, vcc_lo
	v_add_co_ci_u32_e32 v180, vcc_lo, 0, v180, vcc_lo
	s_delay_alu instid0(VALU_DEP_2)
	v_lshrrev_b32_e32 v45, v46, v45
; %bb.5505:                             ;   in Loop: Header=BB4_4876 Depth=3
	s_and_not1_saveexec_b32 s13, s13
; %bb.5506:                             ;   in Loop: Header=BB4_4876 Depth=3
	s_delay_alu instid0(VALU_DEP_1)
	v_bfe_u32 v180, v45, 23, 1
; %bb.5507:                             ;   in Loop: Header=BB4_4876 Depth=3
	s_or_b32 exec_lo, exec_lo, s13
	v_lshrrev_b32_e32 v45, 21, v45
	s_delay_alu instid0(VALU_DEP_2) | instskip(SKIP_2) | instid1(VALU_DEP_2)
	v_cmp_gt_i32_e32 vcc_lo, 32, v180
	v_min_i32_e32 v46, 31, v180
	v_lshrrev_b32_e32 v43, 24, v43
	v_dual_cndmask_b32 v45, 3, v45 :: v_dual_lshlrev_b32 v46, 2, v46
	s_delay_alu instid0(VALU_DEP_2) | instskip(NEXT) | instid1(VALU_DEP_2)
	v_and_b32_e32 v43, 0x80, v43
	v_or_b32_e32 v180, v180, v45
	s_delay_alu instid0(VALU_DEP_3) | instskip(NEXT) | instid1(VALU_DEP_2)
	v_and_b32_e32 v46, 0xfc, v46
	v_cmp_ne_u32_e32 vcc_lo, 0, v180
	v_and_b32_e32 v47, 3, v45
	s_delay_alu instid0(VALU_DEP_1) | instskip(NEXT) | instid1(VALU_DEP_1)
	v_or3_b32 v43, v46, v43, v47
	v_cndmask_b32_e32 v180, 0, v43, vcc_lo
.LBB4_5508:                             ;   in Loop: Header=BB4_4876 Depth=3
	s_or_b32 exec_lo, exec_lo, s30
.LBB4_5509:                             ;   in Loop: Header=BB4_4876 Depth=3
	s_delay_alu instid0(SALU_CYCLE_1) | instskip(SKIP_3) | instid1(VALU_DEP_1)
	s_or_b32 exec_lo, exec_lo, s17
	v_lshrrev_b32_e32 v45, 24, v183
	s_mov_b32 s13, 0
	s_mov_b32 s30, exec_lo
                                        ; implicit-def: $sgpr17
	v_cmpx_lt_i16_e32 0x7f, v45
	s_xor_b32 s30, exec_lo, s30
	s_cbranch_execnz .LBB4_6027
; %bb.5510:                             ;   in Loop: Header=BB4_4876 Depth=3
	s_or_saveexec_b32 s30, s30
	v_mov_b32_e32 v43, s17
	s_xor_b32 exec_lo, exec_lo, s30
	s_cbranch_execnz .LBB4_6030
.LBB4_5511:                             ;   in Loop: Header=BB4_4876 Depth=3
	s_or_b32 exec_lo, exec_lo, s30
	s_and_saveexec_b32 s17, s13
	s_cbranch_execz .LBB4_5513
.LBB4_5512:                             ;   in Loop: Header=BB4_4876 Depth=3
	v_bfe_u32 v43, v183, 24, 2
	s_delay_alu instid0(VALU_DEP_1) | instskip(NEXT) | instid1(VALU_DEP_1)
	v_clz_i32_u32_e32 v46, v43
	v_min_u32_e32 v46, 32, v46
	s_delay_alu instid0(VALU_DEP_1) | instskip(SKIP_1) | instid1(VALU_DEP_2)
	v_subrev_nc_u32_e32 v47, 29, v46
	v_sub_nc_u32_e32 v46, 30, v46
	v_lshlrev_b32_e32 v45, v47, v45
	v_bfe_u32 v47, v183, 26, 5
	v_and_b32_e32 v183, 0x80000000, v183
	s_delay_alu instid0(VALU_DEP_2) | instskip(NEXT) | instid1(VALU_DEP_4)
	v_cmp_eq_u32_e32 vcc_lo, 0, v47
	v_dual_cndmask_b32 v46, v47, v46 :: v_dual_and_b32 v45, 3, v45
	s_delay_alu instid0(VALU_DEP_1) | instskip(NEXT) | instid1(VALU_DEP_2)
	v_cndmask_b32_e32 v43, v43, v45, vcc_lo
	v_lshl_add_u32 v45, v46, 23, 0x37800000
	s_delay_alu instid0(VALU_DEP_2) | instskip(NEXT) | instid1(VALU_DEP_1)
	v_lshlrev_b32_e32 v43, 21, v43
	v_or3_b32 v43, v183, v45, v43
.LBB4_5513:                             ;   in Loop: Header=BB4_4876 Depth=3
	s_or_b32 exec_lo, exec_lo, s17
	v_lshrrev_b32_e32 v183, 24, v15
	s_mov_b32 s13, 0
	s_mov_b32 s30, exec_lo
                                        ; implicit-def: $sgpr17
	s_delay_alu instid0(VALU_DEP_1)
	v_cmpx_lt_i16_e64 0x7f, v183
	s_xor_b32 s30, exec_lo, s30
	s_cbranch_execnz .LBB4_6031
; %bb.5514:                             ;   in Loop: Header=BB4_4876 Depth=3
	s_or_saveexec_b32 s30, s30
	v_mov_b32_e32 v45, s17
	s_xor_b32 exec_lo, exec_lo, s30
	s_cbranch_execnz .LBB4_6034
.LBB4_5515:                             ;   in Loop: Header=BB4_4876 Depth=3
	s_or_b32 exec_lo, exec_lo, s30
	s_and_saveexec_b32 s17, s13
	s_cbranch_execz .LBB4_5517
.LBB4_5516:                             ;   in Loop: Header=BB4_4876 Depth=3
	v_bfe_u32 v45, v15, 24, 2
	s_delay_alu instid0(VALU_DEP_1) | instskip(NEXT) | instid1(VALU_DEP_1)
	v_clz_i32_u32_e32 v46, v45
	v_min_u32_e32 v46, 32, v46
	s_delay_alu instid0(VALU_DEP_1) | instskip(SKIP_1) | instid1(VALU_DEP_2)
	v_subrev_nc_u32_e32 v47, 29, v46
	v_sub_nc_u32_e32 v46, 30, v46
	v_lshlrev_b32_e32 v183, v47, v183
	v_bfe_u32 v47, v15, 26, 5
	v_and_b32_e32 v15, 0x80000000, v15
	s_delay_alu instid0(VALU_DEP_2) | instskip(NEXT) | instid1(VALU_DEP_4)
	v_cmp_eq_u32_e32 vcc_lo, 0, v47
	v_dual_cndmask_b32 v46, v47, v46 :: v_dual_and_b32 v183, 3, v183
	s_delay_alu instid0(VALU_DEP_1) | instskip(NEXT) | instid1(VALU_DEP_2)
	v_cndmask_b32_e32 v183, v45, v183, vcc_lo
	v_lshl_add_u32 v45, v46, 23, 0x37800000
	s_delay_alu instid0(VALU_DEP_2) | instskip(NEXT) | instid1(VALU_DEP_1)
	v_lshlrev_b32_e32 v183, 21, v183
	v_or3_b32 v45, v15, v45, v183
.LBB4_5517:                             ;   in Loop: Header=BB4_4876 Depth=3
	s_or_b32 exec_lo, exec_lo, s17
	s_delay_alu instid0(VALU_DEP_1) | instskip(NEXT) | instid1(VALU_DEP_1)
	v_add_f32_e32 v183, v43, v45
	v_and_b32_e32 v15, 0x7f800000, v183
	s_delay_alu instid0(VALU_DEP_1)
	v_cmp_ne_u32_e32 vcc_lo, 0x7f800000, v15
	v_mov_b32_e32 v15, 0x8000
	s_and_saveexec_b32 s17, vcc_lo
	s_cbranch_execz .LBB4_5525
; %bb.5518:                             ;   in Loop: Header=BB4_4876 Depth=3
	v_mov_b32_e32 v15, 0
	s_mov_b32 s30, exec_lo
	v_cmpx_ne_u32_e32 0, v183
	s_cbranch_execz .LBB4_5524
; %bb.5519:                             ;   in Loop: Header=BB4_4876 Depth=3
	v_bfe_u32 v15, v183, 23, 8
	v_and_b32_e32 v43, 0x7fffff, v183
	s_delay_alu instid0(VALU_DEP_2) | instskip(SKIP_1) | instid1(VALU_DEP_3)
	v_sub_nc_u32_e32 v45, 0x70, v15
	v_cmp_gt_u32_e32 vcc_lo, 0x71, v15
	v_or_b32_e32 v46, 0x800000, v43
	s_delay_alu instid0(VALU_DEP_3) | instskip(SKIP_2) | instid1(VALU_DEP_3)
	v_cndmask_b32_e32 v45, 0, v45, vcc_lo
	v_cmp_eq_u32_e32 vcc_lo, 0, v15
	v_add_nc_u32_e32 v15, 0xffffff91, v15
	v_cndmask_b32_e64 v45, v45, 0x6f, vcc_lo
	v_cndmask_b32_e32 v43, v46, v43, vcc_lo
	s_delay_alu instid0(VALU_DEP_3) | instskip(NEXT) | instid1(VALU_DEP_3)
	v_cndmask_b32_e64 v15, v15, 0xffffff92, vcc_lo
	v_lshl_add_u32 v46, 0x200000, v45, -1
	s_delay_alu instid0(VALU_DEP_3) | instskip(SKIP_1) | instid1(VALU_DEP_4)
	v_lshrrev_b32_e32 v47, v45, v43
	v_lshlrev_b32_e64 v57, v45, 0x100000
	v_add_nc_u32_e32 v45, v45, v15
	s_delay_alu instid0(VALU_DEP_4) | instskip(NEXT) | instid1(VALU_DEP_4)
	v_and_b32_e32 v43, v46, v43
	v_bfe_u32 v56, v47, 21, 1
	s_delay_alu instid0(VALU_DEP_2) | instskip(NEXT) | instid1(VALU_DEP_2)
	v_cmp_eq_u32_e64 s13, v43, v57
	v_add_nc_u32_e32 v46, -1, v56
	s_delay_alu instid0(VALU_DEP_1) | instskip(SKIP_2) | instid1(VALU_DEP_2)
	v_cndmask_b32_e64 v43, 0, v46, s13
	v_lshrrev_b32_e32 v46, 23, v47
	s_mov_b32 s13, exec_lo
	v_add_nc_u32_e32 v43, v43, v47
	s_delay_alu instid0(VALU_DEP_2) | instskip(NEXT) | instid1(VALU_DEP_2)
	v_xor_b32_e32 v46, 1, v46
	v_and_b32_e32 v15, 0x1fffff, v43
	s_delay_alu instid0(VALU_DEP_1) | instskip(NEXT) | instid1(VALU_DEP_3)
	v_add_nc_u32_e32 v43, v15, v47
                                        ; implicit-def: $vgpr15
	v_cmpx_ne_u32_e64 v45, v46
	s_xor_b32 s13, exec_lo, s13
; %bb.5520:                             ;   in Loop: Header=BB4_4876 Depth=3
	s_delay_alu instid0(VALU_DEP_2) | instskip(SKIP_2) | instid1(VALU_DEP_2)
	v_cmp_lt_u32_e32 vcc_lo, 0xffffff, v43
	v_sub_nc_u32_e32 v15, v45, v46
	v_cndmask_b32_e64 v45, 0, 1, vcc_lo
	v_add_co_ci_u32_e32 v15, vcc_lo, 0, v15, vcc_lo
	s_delay_alu instid0(VALU_DEP_2)
	v_lshrrev_b32_e32 v43, v45, v43
; %bb.5521:                             ;   in Loop: Header=BB4_4876 Depth=3
	s_and_not1_saveexec_b32 s13, s13
; %bb.5522:                             ;   in Loop: Header=BB4_4876 Depth=3
	s_delay_alu instid0(VALU_DEP_1)
	v_bfe_u32 v15, v43, 23, 1
; %bb.5523:                             ;   in Loop: Header=BB4_4876 Depth=3
	s_or_b32 exec_lo, exec_lo, s13
	v_lshrrev_b32_e32 v43, 21, v43
	s_delay_alu instid0(VALU_DEP_2) | instskip(SKIP_2) | instid1(VALU_DEP_3)
	v_min_i32_e32 v45, 31, v15
	v_cmp_gt_i32_e32 vcc_lo, 32, v15
	v_lshrrev_b32_e32 v183, 24, v183
	v_lshlrev_b32_e32 v45, 2, v45
	v_cndmask_b32_e32 v43, 3, v43, vcc_lo
	s_delay_alu instid0(VALU_DEP_3) | instskip(NEXT) | instid1(VALU_DEP_3)
	v_and_b32_e32 v183, 0x80, v183
	v_and_b32_e32 v45, 0xfc, v45
	s_delay_alu instid0(VALU_DEP_3) | instskip(SKIP_1) | instid1(VALU_DEP_2)
	v_and_b32_e32 v46, 3, v43
	v_or_b32_e32 v15, v15, v43
	v_or3_b32 v183, v183, v45, v46
	s_delay_alu instid0(VALU_DEP_2) | instskip(NEXT) | instid1(VALU_DEP_2)
	v_cmp_ne_u32_e32 vcc_lo, 0, v15
	v_lshlrev_b32_e32 v183, 8, v183
	s_delay_alu instid0(VALU_DEP_1)
	v_cndmask_b32_e32 v15, 0, v183, vcc_lo
.LBB4_5524:                             ;   in Loop: Header=BB4_4876 Depth=3
	s_or_b32 exec_lo, exec_lo, s30
.LBB4_5525:                             ;   in Loop: Header=BB4_4876 Depth=3
	s_delay_alu instid0(SALU_CYCLE_1) | instskip(SKIP_3) | instid1(VALU_DEP_1)
	s_or_b32 exec_lo, exec_lo, s17
	v_and_b32_e32 v43, 0xff, v178
	s_mov_b32 s13, 0
	s_mov_b32 s30, exec_lo
                                        ; implicit-def: $sgpr17
	v_cmpx_lt_i16_e32 0x7f, v43
	s_xor_b32 s30, exec_lo, s30
	s_cbranch_execnz .LBB4_6035
; %bb.5526:                             ;   in Loop: Header=BB4_4876 Depth=3
	s_or_saveexec_b32 s30, s30
	v_mov_b32_e32 v183, s17
	s_xor_b32 exec_lo, exec_lo, s30
	s_cbranch_execnz .LBB4_6038
.LBB4_5527:                             ;   in Loop: Header=BB4_4876 Depth=3
	s_or_b32 exec_lo, exec_lo, s30
	s_and_saveexec_b32 s17, s13
	s_cbranch_execz .LBB4_5529
.LBB4_5528:                             ;   in Loop: Header=BB4_4876 Depth=3
	v_and_b32_e32 v183, 3, v178
	v_bfe_u32 v46, v178, 2, 5
	s_delay_alu instid0(VALU_DEP_2) | instskip(NEXT) | instid1(VALU_DEP_2)
	v_clz_i32_u32_e32 v43, v183
	v_cmp_eq_u32_e32 vcc_lo, 0, v46
	s_delay_alu instid0(VALU_DEP_2) | instskip(NEXT) | instid1(VALU_DEP_1)
	v_min_u32_e32 v43, 32, v43
	v_subrev_nc_u32_e32 v45, 29, v43
	v_sub_nc_u32_e32 v43, 30, v43
	s_delay_alu instid0(VALU_DEP_2) | instskip(NEXT) | instid1(VALU_DEP_2)
	v_lshlrev_b32_e32 v45, v45, v178
	v_dual_cndmask_b32 v43, v46, v43 :: v_dual_lshlrev_b32 v178, 24, v178
	s_delay_alu instid0(VALU_DEP_2) | instskip(NEXT) | instid1(VALU_DEP_2)
	v_and_b32_e32 v45, 3, v45
	v_and_b32_e32 v178, 0x80000000, v178
	s_delay_alu instid0(VALU_DEP_3) | instskip(NEXT) | instid1(VALU_DEP_3)
	v_lshl_add_u32 v43, v43, 23, 0x37800000
	v_cndmask_b32_e32 v183, v183, v45, vcc_lo
	s_delay_alu instid0(VALU_DEP_1) | instskip(NEXT) | instid1(VALU_DEP_1)
	v_lshlrev_b32_e32 v183, 21, v183
	v_or3_b32 v183, v178, v43, v183
.LBB4_5529:                             ;   in Loop: Header=BB4_4876 Depth=3
	s_or_b32 exec_lo, exec_lo, s17
	s_waitcnt vmcnt(0)
	v_and_b32_e32 v43, 0xff, v8
	s_mov_b32 s13, 0
	s_mov_b32 s30, exec_lo
                                        ; implicit-def: $sgpr17
	s_delay_alu instid0(VALU_DEP_1)
	v_cmpx_lt_i16_e32 0x7f, v43
	s_xor_b32 s30, exec_lo, s30
	s_cbranch_execnz .LBB4_6039
; %bb.5530:                             ;   in Loop: Header=BB4_4876 Depth=3
	s_or_saveexec_b32 s30, s30
	v_mov_b32_e32 v178, s17
	s_xor_b32 exec_lo, exec_lo, s30
	s_cbranch_execnz .LBB4_6042
.LBB4_5531:                             ;   in Loop: Header=BB4_4876 Depth=3
	s_or_b32 exec_lo, exec_lo, s30
	s_and_saveexec_b32 s17, s13
	s_cbranch_execz .LBB4_5533
.LBB4_5532:                             ;   in Loop: Header=BB4_4876 Depth=3
	v_bfe_u32 v46, v8, 2, 5
	s_delay_alu instid0(VALU_DEP_1) | instskip(SKIP_1) | instid1(VALU_DEP_1)
	v_cmp_eq_u32_e32 vcc_lo, 0, v46
	v_and_b32_e32 v178, 3, v8
	v_clz_i32_u32_e32 v43, v178
	s_delay_alu instid0(VALU_DEP_1) | instskip(NEXT) | instid1(VALU_DEP_1)
	v_min_u32_e32 v43, 32, v43
	v_subrev_nc_u32_e32 v45, 29, v43
	v_sub_nc_u32_e32 v43, 30, v43
	s_delay_alu instid0(VALU_DEP_2) | instskip(NEXT) | instid1(VALU_DEP_2)
	v_lshlrev_b32_e32 v45, v45, v8
	v_cndmask_b32_e32 v43, v46, v43, vcc_lo
	s_delay_alu instid0(VALU_DEP_2) | instskip(SKIP_1) | instid1(VALU_DEP_3)
	v_and_b32_e32 v45, 3, v45
	v_lshlrev_b32_e32 v47, 24, v8
	v_lshl_add_u32 v43, v43, 23, 0x37800000
	s_delay_alu instid0(VALU_DEP_2) | instskip(NEXT) | instid1(VALU_DEP_1)
	v_dual_cndmask_b32 v178, v178, v45 :: v_dual_and_b32 v45, 0x80000000, v47
	v_lshlrev_b32_e32 v178, 21, v178
	s_delay_alu instid0(VALU_DEP_1)
	v_or3_b32 v178, v45, v43, v178
.LBB4_5533:                             ;   in Loop: Header=BB4_4876 Depth=3
	s_or_b32 exec_lo, exec_lo, s17
	s_delay_alu instid0(VALU_DEP_1) | instskip(NEXT) | instid1(VALU_DEP_1)
	v_add_f32_e32 v183, v183, v178
	v_and_b32_e32 v178, 0x7f800000, v183
	s_delay_alu instid0(VALU_DEP_1)
	v_cmp_ne_u32_e32 vcc_lo, 0x7f800000, v178
	v_mov_b32_e32 v178, 0x80
	s_and_saveexec_b32 s17, vcc_lo
	s_cbranch_execz .LBB4_5541
; %bb.5534:                             ;   in Loop: Header=BB4_4876 Depth=3
	v_mov_b32_e32 v178, 0
	s_mov_b32 s30, exec_lo
	v_cmpx_ne_u32_e32 0, v183
	s_cbranch_execz .LBB4_5540
; %bb.5535:                             ;   in Loop: Header=BB4_4876 Depth=3
	v_bfe_u32 v178, v183, 23, 8
	v_and_b32_e32 v43, 0x7fffff, v183
	s_delay_alu instid0(VALU_DEP_2) | instskip(SKIP_1) | instid1(VALU_DEP_3)
	v_sub_nc_u32_e32 v45, 0x70, v178
	v_cmp_gt_u32_e32 vcc_lo, 0x71, v178
	v_or_b32_e32 v46, 0x800000, v43
	s_delay_alu instid0(VALU_DEP_3) | instskip(SKIP_2) | instid1(VALU_DEP_3)
	v_cndmask_b32_e32 v45, 0, v45, vcc_lo
	v_cmp_eq_u32_e32 vcc_lo, 0, v178
	v_add_nc_u32_e32 v178, 0xffffff91, v178
	v_cndmask_b32_e64 v45, v45, 0x6f, vcc_lo
	v_cndmask_b32_e32 v43, v46, v43, vcc_lo
	s_delay_alu instid0(VALU_DEP_3) | instskip(NEXT) | instid1(VALU_DEP_3)
	v_cndmask_b32_e64 v178, v178, 0xffffff92, vcc_lo
	v_lshl_add_u32 v46, 0x200000, v45, -1
	s_delay_alu instid0(VALU_DEP_3) | instskip(SKIP_1) | instid1(VALU_DEP_4)
	v_lshrrev_b32_e32 v47, v45, v43
	v_lshlrev_b32_e64 v57, v45, 0x100000
	v_add_nc_u32_e32 v45, v45, v178
	s_delay_alu instid0(VALU_DEP_4) | instskip(NEXT) | instid1(VALU_DEP_4)
	v_and_b32_e32 v43, v46, v43
	v_bfe_u32 v56, v47, 21, 1
	s_delay_alu instid0(VALU_DEP_2) | instskip(NEXT) | instid1(VALU_DEP_2)
	v_cmp_eq_u32_e64 s13, v43, v57
	v_add_nc_u32_e32 v46, -1, v56
	s_delay_alu instid0(VALU_DEP_1) | instskip(SKIP_2) | instid1(VALU_DEP_2)
	v_cndmask_b32_e64 v43, 0, v46, s13
	v_lshrrev_b32_e32 v46, 23, v47
	s_mov_b32 s13, exec_lo
	v_add_nc_u32_e32 v43, v43, v47
	s_delay_alu instid0(VALU_DEP_2) | instskip(NEXT) | instid1(VALU_DEP_2)
	v_xor_b32_e32 v46, 1, v46
	v_and_b32_e32 v178, 0x1fffff, v43
	s_delay_alu instid0(VALU_DEP_1) | instskip(NEXT) | instid1(VALU_DEP_3)
	v_add_nc_u32_e32 v43, v178, v47
                                        ; implicit-def: $vgpr178
	v_cmpx_ne_u32_e64 v45, v46
	s_xor_b32 s13, exec_lo, s13
; %bb.5536:                             ;   in Loop: Header=BB4_4876 Depth=3
	s_delay_alu instid0(VALU_DEP_2) | instskip(SKIP_2) | instid1(VALU_DEP_2)
	v_cmp_lt_u32_e32 vcc_lo, 0xffffff, v43
	v_sub_nc_u32_e32 v178, v45, v46
	v_cndmask_b32_e64 v45, 0, 1, vcc_lo
	v_add_co_ci_u32_e32 v178, vcc_lo, 0, v178, vcc_lo
	s_delay_alu instid0(VALU_DEP_2)
	v_lshrrev_b32_e32 v43, v45, v43
; %bb.5537:                             ;   in Loop: Header=BB4_4876 Depth=3
	s_and_not1_saveexec_b32 s13, s13
; %bb.5538:                             ;   in Loop: Header=BB4_4876 Depth=3
	s_delay_alu instid0(VALU_DEP_1)
	v_bfe_u32 v178, v43, 23, 1
; %bb.5539:                             ;   in Loop: Header=BB4_4876 Depth=3
	s_or_b32 exec_lo, exec_lo, s13
	v_lshrrev_b32_e32 v43, 21, v43
	s_delay_alu instid0(VALU_DEP_2) | instskip(SKIP_2) | instid1(VALU_DEP_4)
	v_cmp_gt_i32_e32 vcc_lo, 32, v178
	v_lshrrev_b32_e32 v183, 24, v183
	v_min_i32_e32 v45, 31, v178
	v_cndmask_b32_e32 v43, 3, v43, vcc_lo
	s_delay_alu instid0(VALU_DEP_3) | instskip(NEXT) | instid1(VALU_DEP_2)
	v_and_b32_e32 v183, 0x80, v183
	v_or_b32_e32 v178, v178, v43
	v_and_b32_e32 v46, 3, v43
	s_delay_alu instid0(VALU_DEP_2) | instskip(SKIP_1) | instid1(VALU_DEP_1)
	v_cmp_ne_u32_e32 vcc_lo, 0, v178
	v_lshlrev_b32_e32 v45, 2, v45
	v_or3_b32 v183, v45, v183, v46
	s_delay_alu instid0(VALU_DEP_1)
	v_cndmask_b32_e32 v178, 0, v183, vcc_lo
.LBB4_5540:                             ;   in Loop: Header=BB4_4876 Depth=3
	s_or_b32 exec_lo, exec_lo, s30
.LBB4_5541:                             ;   in Loop: Header=BB4_4876 Depth=3
	s_delay_alu instid0(SALU_CYCLE_1) | instskip(SKIP_3) | instid1(VALU_DEP_1)
	s_or_b32 exec_lo, exec_lo, s17
	v_and_b32_e32 v43, 0xff, v167
	s_mov_b32 s13, 0
	s_mov_b32 s30, exec_lo
                                        ; implicit-def: $sgpr17
	v_cmpx_lt_i16_e32 0x7f, v43
	s_xor_b32 s30, exec_lo, s30
	s_cbranch_execnz .LBB4_6043
; %bb.5542:                             ;   in Loop: Header=BB4_4876 Depth=3
	s_or_saveexec_b32 s30, s30
	v_mov_b32_e32 v183, s17
	s_xor_b32 exec_lo, exec_lo, s30
	s_cbranch_execnz .LBB4_6046
.LBB4_5543:                             ;   in Loop: Header=BB4_4876 Depth=3
	s_or_b32 exec_lo, exec_lo, s30
	s_and_saveexec_b32 s17, s13
	s_cbranch_execz .LBB4_5545
.LBB4_5544:                             ;   in Loop: Header=BB4_4876 Depth=3
	v_and_b32_e32 v183, 3, v167
	v_bfe_u32 v46, v167, 2, 5
	s_delay_alu instid0(VALU_DEP_2) | instskip(NEXT) | instid1(VALU_DEP_2)
	v_clz_i32_u32_e32 v43, v183
	v_cmp_eq_u32_e32 vcc_lo, 0, v46
	s_delay_alu instid0(VALU_DEP_2) | instskip(NEXT) | instid1(VALU_DEP_1)
	v_min_u32_e32 v43, 32, v43
	v_subrev_nc_u32_e32 v45, 29, v43
	v_sub_nc_u32_e32 v43, 30, v43
	s_delay_alu instid0(VALU_DEP_2) | instskip(SKIP_1) | instid1(VALU_DEP_3)
	v_lshlrev_b32_e32 v45, v45, v167
	v_lshlrev_b32_e32 v167, 24, v167
	v_cndmask_b32_e32 v43, v46, v43, vcc_lo
	s_delay_alu instid0(VALU_DEP_3) | instskip(NEXT) | instid1(VALU_DEP_3)
	v_and_b32_e32 v45, 3, v45
	v_and_b32_e32 v167, 0x80000000, v167
	s_delay_alu instid0(VALU_DEP_3) | instskip(NEXT) | instid1(VALU_DEP_3)
	v_lshl_add_u32 v43, v43, 23, 0x37800000
	v_cndmask_b32_e32 v183, v183, v45, vcc_lo
	s_delay_alu instid0(VALU_DEP_1) | instskip(NEXT) | instid1(VALU_DEP_1)
	v_lshlrev_b32_e32 v183, 21, v183
	v_or3_b32 v183, v167, v43, v183
.LBB4_5545:                             ;   in Loop: Header=BB4_4876 Depth=3
	s_or_b32 exec_lo, exec_lo, s17
	v_lshrrev_b16 v167, 8, v8
	s_mov_b32 s13, 0
	s_mov_b32 s30, exec_lo
                                        ; implicit-def: $sgpr17
	s_delay_alu instid0(VALU_DEP_1)
	v_cmpx_lt_i16_e64 0x7f, v167
	s_xor_b32 s30, exec_lo, s30
	s_cbranch_execnz .LBB4_6047
; %bb.5546:                             ;   in Loop: Header=BB4_4876 Depth=3
	s_or_saveexec_b32 s30, s30
	v_mov_b32_e32 v43, s17
	s_xor_b32 exec_lo, exec_lo, s30
	s_cbranch_execnz .LBB4_6050
.LBB4_5547:                             ;   in Loop: Header=BB4_4876 Depth=3
	s_or_b32 exec_lo, exec_lo, s30
	s_and_saveexec_b32 s17, s13
	s_cbranch_execz .LBB4_5549
.LBB4_5548:                             ;   in Loop: Header=BB4_4876 Depth=3
	v_and_b32_e32 v43, 0xffff, v167
	v_lshlrev_b32_e32 v167, 24, v167
	s_delay_alu instid0(VALU_DEP_2) | instskip(NEXT) | instid1(VALU_DEP_2)
	v_and_b32_e32 v45, 3, v43
	v_and_b32_e32 v167, 0x80000000, v167
	s_delay_alu instid0(VALU_DEP_2) | instskip(NEXT) | instid1(VALU_DEP_1)
	v_clz_i32_u32_e32 v46, v45
	v_min_u32_e32 v46, 32, v46
	s_delay_alu instid0(VALU_DEP_1) | instskip(SKIP_1) | instid1(VALU_DEP_2)
	v_subrev_nc_u32_e32 v47, 29, v46
	v_sub_nc_u32_e32 v46, 30, v46
	v_lshlrev_b32_e32 v47, v47, v43
	v_bfe_u32 v43, v43, 2, 5
	s_delay_alu instid0(VALU_DEP_2) | instskip(NEXT) | instid1(VALU_DEP_2)
	v_and_b32_e32 v47, 3, v47
	v_cmp_eq_u32_e32 vcc_lo, 0, v43
	v_cndmask_b32_e32 v43, v43, v46, vcc_lo
	s_delay_alu instid0(VALU_DEP_3) | instskip(NEXT) | instid1(VALU_DEP_2)
	v_cndmask_b32_e32 v45, v45, v47, vcc_lo
	v_lshl_add_u32 v43, v43, 23, 0x37800000
	s_delay_alu instid0(VALU_DEP_2) | instskip(NEXT) | instid1(VALU_DEP_1)
	v_lshlrev_b32_e32 v45, 21, v45
	v_or3_b32 v43, v167, v43, v45
.LBB4_5549:                             ;   in Loop: Header=BB4_4876 Depth=3
	s_or_b32 exec_lo, exec_lo, s17
	s_delay_alu instid0(VALU_DEP_1) | instskip(NEXT) | instid1(VALU_DEP_1)
	v_add_f32_e32 v183, v183, v43
	v_and_b32_e32 v167, 0x7f800000, v183
	s_delay_alu instid0(VALU_DEP_1)
	v_cmp_ne_u32_e32 vcc_lo, 0x7f800000, v167
	v_mov_b32_e32 v167, 0x80
	s_and_saveexec_b32 s17, vcc_lo
	s_cbranch_execz .LBB4_5557
; %bb.5550:                             ;   in Loop: Header=BB4_4876 Depth=3
	v_mov_b32_e32 v167, 0
	s_mov_b32 s30, exec_lo
	v_cmpx_ne_u32_e32 0, v183
	s_cbranch_execz .LBB4_5556
; %bb.5551:                             ;   in Loop: Header=BB4_4876 Depth=3
	v_bfe_u32 v167, v183, 23, 8
	v_and_b32_e32 v43, 0x7fffff, v183
	s_delay_alu instid0(VALU_DEP_2) | instskip(SKIP_1) | instid1(VALU_DEP_3)
	v_sub_nc_u32_e32 v45, 0x70, v167
	v_cmp_gt_u32_e32 vcc_lo, 0x71, v167
	v_or_b32_e32 v46, 0x800000, v43
	s_delay_alu instid0(VALU_DEP_3) | instskip(SKIP_2) | instid1(VALU_DEP_3)
	v_cndmask_b32_e32 v45, 0, v45, vcc_lo
	v_cmp_eq_u32_e32 vcc_lo, 0, v167
	v_add_nc_u32_e32 v167, 0xffffff91, v167
	v_cndmask_b32_e64 v45, v45, 0x6f, vcc_lo
	v_cndmask_b32_e32 v43, v46, v43, vcc_lo
	s_delay_alu instid0(VALU_DEP_3) | instskip(NEXT) | instid1(VALU_DEP_3)
	v_cndmask_b32_e64 v167, v167, 0xffffff92, vcc_lo
	v_lshl_add_u32 v46, 0x200000, v45, -1
	s_delay_alu instid0(VALU_DEP_3) | instskip(SKIP_1) | instid1(VALU_DEP_4)
	v_lshrrev_b32_e32 v47, v45, v43
	v_lshlrev_b32_e64 v57, v45, 0x100000
	v_add_nc_u32_e32 v45, v45, v167
	s_delay_alu instid0(VALU_DEP_4) | instskip(NEXT) | instid1(VALU_DEP_4)
	v_and_b32_e32 v43, v46, v43
	v_bfe_u32 v56, v47, 21, 1
	s_delay_alu instid0(VALU_DEP_2) | instskip(NEXT) | instid1(VALU_DEP_2)
	v_cmp_eq_u32_e64 s13, v43, v57
	v_add_nc_u32_e32 v46, -1, v56
	s_delay_alu instid0(VALU_DEP_1) | instskip(SKIP_2) | instid1(VALU_DEP_2)
	v_cndmask_b32_e64 v43, 0, v46, s13
	v_lshrrev_b32_e32 v46, 23, v47
	s_mov_b32 s13, exec_lo
	v_add_nc_u32_e32 v43, v43, v47
	s_delay_alu instid0(VALU_DEP_2) | instskip(NEXT) | instid1(VALU_DEP_2)
	v_xor_b32_e32 v46, 1, v46
	v_and_b32_e32 v167, 0x1fffff, v43
	s_delay_alu instid0(VALU_DEP_1) | instskip(NEXT) | instid1(VALU_DEP_3)
	v_add_nc_u32_e32 v43, v167, v47
                                        ; implicit-def: $vgpr167
	v_cmpx_ne_u32_e64 v45, v46
	s_xor_b32 s13, exec_lo, s13
; %bb.5552:                             ;   in Loop: Header=BB4_4876 Depth=3
	s_delay_alu instid0(VALU_DEP_2) | instskip(SKIP_2) | instid1(VALU_DEP_2)
	v_cmp_lt_u32_e32 vcc_lo, 0xffffff, v43
	v_sub_nc_u32_e32 v167, v45, v46
	v_cndmask_b32_e64 v45, 0, 1, vcc_lo
	v_add_co_ci_u32_e32 v167, vcc_lo, 0, v167, vcc_lo
	s_delay_alu instid0(VALU_DEP_2)
	v_lshrrev_b32_e32 v43, v45, v43
; %bb.5553:                             ;   in Loop: Header=BB4_4876 Depth=3
	s_and_not1_saveexec_b32 s13, s13
; %bb.5554:                             ;   in Loop: Header=BB4_4876 Depth=3
	s_delay_alu instid0(VALU_DEP_1)
	v_bfe_u32 v167, v43, 23, 1
; %bb.5555:                             ;   in Loop: Header=BB4_4876 Depth=3
	s_or_b32 exec_lo, exec_lo, s13
	v_lshrrev_b32_e32 v43, 21, v43
	s_delay_alu instid0(VALU_DEP_2) | instskip(SKIP_2) | instid1(VALU_DEP_4)
	v_cmp_gt_i32_e32 vcc_lo, 32, v167
	v_lshrrev_b32_e32 v183, 24, v183
	v_min_i32_e32 v45, 31, v167
	v_cndmask_b32_e32 v43, 3, v43, vcc_lo
	s_delay_alu instid0(VALU_DEP_3) | instskip(NEXT) | instid1(VALU_DEP_3)
	v_and_b32_e32 v183, 0x80, v183
	v_lshlrev_b32_e32 v45, 2, v45
	s_delay_alu instid0(VALU_DEP_3) | instskip(SKIP_1) | instid1(VALU_DEP_2)
	v_and_b32_e32 v46, 3, v43
	v_or_b32_e32 v167, v167, v43
	v_or3_b32 v183, v45, v183, v46
	s_delay_alu instid0(VALU_DEP_2) | instskip(NEXT) | instid1(VALU_DEP_2)
	v_cmp_ne_u32_e32 vcc_lo, 0, v167
	v_cndmask_b32_e32 v167, 0, v183, vcc_lo
.LBB4_5556:                             ;   in Loop: Header=BB4_4876 Depth=3
	s_or_b32 exec_lo, exec_lo, s30
.LBB4_5557:                             ;   in Loop: Header=BB4_4876 Depth=3
	s_delay_alu instid0(SALU_CYCLE_1) | instskip(SKIP_3) | instid1(VALU_DEP_1)
	s_or_b32 exec_lo, exec_lo, s17
	v_and_b32_e32 v43, 0xff, v166
	s_mov_b32 s13, 0
	s_mov_b32 s30, exec_lo
                                        ; implicit-def: $sgpr17
	v_cmpx_lt_i16_e32 0x7f, v43
	s_xor_b32 s30, exec_lo, s30
	s_cbranch_execnz .LBB4_6051
; %bb.5558:                             ;   in Loop: Header=BB4_4876 Depth=3
	s_or_saveexec_b32 s30, s30
	v_mov_b32_e32 v183, s17
	s_xor_b32 exec_lo, exec_lo, s30
	s_cbranch_execnz .LBB4_6054
.LBB4_5559:                             ;   in Loop: Header=BB4_4876 Depth=3
	s_or_b32 exec_lo, exec_lo, s30
	s_and_saveexec_b32 s17, s13
	s_cbranch_execz .LBB4_5561
.LBB4_5560:                             ;   in Loop: Header=BB4_4876 Depth=3
	v_and_b32_e32 v183, 3, v166
	v_bfe_u32 v46, v166, 2, 5
	s_delay_alu instid0(VALU_DEP_2) | instskip(NEXT) | instid1(VALU_DEP_2)
	v_clz_i32_u32_e32 v43, v183
	v_cmp_eq_u32_e32 vcc_lo, 0, v46
	s_delay_alu instid0(VALU_DEP_2) | instskip(NEXT) | instid1(VALU_DEP_1)
	v_min_u32_e32 v43, 32, v43
	v_subrev_nc_u32_e32 v45, 29, v43
	v_sub_nc_u32_e32 v43, 30, v43
	s_delay_alu instid0(VALU_DEP_2) | instskip(NEXT) | instid1(VALU_DEP_2)
	v_lshlrev_b32_e32 v45, v45, v166
	v_dual_cndmask_b32 v43, v46, v43 :: v_dual_lshlrev_b32 v166, 24, v166
	s_delay_alu instid0(VALU_DEP_2) | instskip(NEXT) | instid1(VALU_DEP_2)
	v_and_b32_e32 v45, 3, v45
	v_and_b32_e32 v166, 0x80000000, v166
	s_delay_alu instid0(VALU_DEP_3) | instskip(NEXT) | instid1(VALU_DEP_3)
	v_lshl_add_u32 v43, v43, 23, 0x37800000
	v_cndmask_b32_e32 v183, v183, v45, vcc_lo
	s_delay_alu instid0(VALU_DEP_1) | instskip(NEXT) | instid1(VALU_DEP_1)
	v_lshlrev_b32_e32 v183, 21, v183
	v_or3_b32 v183, v166, v43, v183
.LBB4_5561:                             ;   in Loop: Header=BB4_4876 Depth=3
	s_or_b32 exec_lo, exec_lo, s17
	v_lshrrev_b32_e32 v166, 16, v8
	s_mov_b32 s13, 0
	s_mov_b32 s30, exec_lo
                                        ; implicit-def: $sgpr17
	s_delay_alu instid0(VALU_DEP_1) | instskip(NEXT) | instid1(VALU_DEP_1)
	v_and_b32_e32 v45, 0xff, v166
	v_cmpx_lt_i16_e32 0x7f, v45
	s_xor_b32 s30, exec_lo, s30
	s_cbranch_execnz .LBB4_6055
; %bb.5562:                             ;   in Loop: Header=BB4_4876 Depth=3
	s_or_saveexec_b32 s30, s30
	v_mov_b32_e32 v43, s17
	s_xor_b32 exec_lo, exec_lo, s30
	s_cbranch_execnz .LBB4_6058
.LBB4_5563:                             ;   in Loop: Header=BB4_4876 Depth=3
	s_or_b32 exec_lo, exec_lo, s30
	s_and_saveexec_b32 s17, s13
	s_cbranch_execz .LBB4_5565
.LBB4_5564:                             ;   in Loop: Header=BB4_4876 Depth=3
	v_bfe_u32 v43, v8, 16, 2
	s_delay_alu instid0(VALU_DEP_1) | instskip(NEXT) | instid1(VALU_DEP_1)
	v_clz_i32_u32_e32 v45, v43
	v_min_u32_e32 v45, 32, v45
	s_delay_alu instid0(VALU_DEP_1) | instskip(SKIP_1) | instid1(VALU_DEP_2)
	v_subrev_nc_u32_e32 v46, 29, v45
	v_sub_nc_u32_e32 v45, 30, v45
	v_lshlrev_b32_e32 v166, v46, v166
	v_bfe_u32 v46, v8, 18, 5
	s_delay_alu instid0(VALU_DEP_1) | instskip(NEXT) | instid1(VALU_DEP_3)
	v_cmp_eq_u32_e32 vcc_lo, 0, v46
	v_dual_cndmask_b32 v45, v46, v45 :: v_dual_and_b32 v166, 3, v166
	s_delay_alu instid0(VALU_DEP_1) | instskip(NEXT) | instid1(VALU_DEP_2)
	v_dual_cndmask_b32 v166, v43, v166 :: v_dual_lshlrev_b32 v47, 8, v8
	v_lshl_add_u32 v45, v45, 23, 0x37800000
	s_delay_alu instid0(VALU_DEP_2) | instskip(NEXT) | instid1(VALU_DEP_3)
	v_and_b32_e32 v43, 0x80000000, v47
	v_lshlrev_b32_e32 v166, 21, v166
	s_delay_alu instid0(VALU_DEP_1)
	v_or3_b32 v43, v43, v45, v166
.LBB4_5565:                             ;   in Loop: Header=BB4_4876 Depth=3
	s_or_b32 exec_lo, exec_lo, s17
	s_delay_alu instid0(VALU_DEP_1) | instskip(NEXT) | instid1(VALU_DEP_1)
	v_add_f32_e32 v183, v183, v43
	v_and_b32_e32 v166, 0x7f800000, v183
	s_delay_alu instid0(VALU_DEP_1)
	v_cmp_ne_u32_e32 vcc_lo, 0x7f800000, v166
	v_mov_b32_e32 v166, 0x80
	s_and_saveexec_b32 s17, vcc_lo
	s_cbranch_execz .LBB4_5573
; %bb.5566:                             ;   in Loop: Header=BB4_4876 Depth=3
	v_mov_b32_e32 v166, 0
	s_mov_b32 s30, exec_lo
	v_cmpx_ne_u32_e32 0, v183
	s_cbranch_execz .LBB4_5572
; %bb.5567:                             ;   in Loop: Header=BB4_4876 Depth=3
	v_bfe_u32 v166, v183, 23, 8
	v_and_b32_e32 v43, 0x7fffff, v183
	s_delay_alu instid0(VALU_DEP_2) | instskip(SKIP_1) | instid1(VALU_DEP_3)
	v_sub_nc_u32_e32 v45, 0x70, v166
	v_cmp_gt_u32_e32 vcc_lo, 0x71, v166
	v_or_b32_e32 v46, 0x800000, v43
	s_delay_alu instid0(VALU_DEP_3) | instskip(SKIP_2) | instid1(VALU_DEP_3)
	v_cndmask_b32_e32 v45, 0, v45, vcc_lo
	v_cmp_eq_u32_e32 vcc_lo, 0, v166
	v_add_nc_u32_e32 v166, 0xffffff91, v166
	v_cndmask_b32_e64 v45, v45, 0x6f, vcc_lo
	v_cndmask_b32_e32 v43, v46, v43, vcc_lo
	s_delay_alu instid0(VALU_DEP_3) | instskip(NEXT) | instid1(VALU_DEP_3)
	v_cndmask_b32_e64 v166, v166, 0xffffff92, vcc_lo
	v_lshl_add_u32 v46, 0x200000, v45, -1
	s_delay_alu instid0(VALU_DEP_3) | instskip(SKIP_1) | instid1(VALU_DEP_4)
	v_lshrrev_b32_e32 v47, v45, v43
	v_lshlrev_b32_e64 v57, v45, 0x100000
	v_add_nc_u32_e32 v45, v45, v166
	s_delay_alu instid0(VALU_DEP_4) | instskip(NEXT) | instid1(VALU_DEP_4)
	v_and_b32_e32 v43, v46, v43
	v_bfe_u32 v56, v47, 21, 1
	s_delay_alu instid0(VALU_DEP_2) | instskip(NEXT) | instid1(VALU_DEP_2)
	v_cmp_eq_u32_e64 s13, v43, v57
	v_add_nc_u32_e32 v46, -1, v56
	s_delay_alu instid0(VALU_DEP_1) | instskip(SKIP_2) | instid1(VALU_DEP_2)
	v_cndmask_b32_e64 v43, 0, v46, s13
	v_lshrrev_b32_e32 v46, 23, v47
	s_mov_b32 s13, exec_lo
	v_add_nc_u32_e32 v43, v43, v47
	s_delay_alu instid0(VALU_DEP_2) | instskip(NEXT) | instid1(VALU_DEP_2)
	v_xor_b32_e32 v46, 1, v46
	v_and_b32_e32 v166, 0x1fffff, v43
	s_delay_alu instid0(VALU_DEP_1) | instskip(NEXT) | instid1(VALU_DEP_3)
	v_add_nc_u32_e32 v43, v166, v47
                                        ; implicit-def: $vgpr166
	v_cmpx_ne_u32_e64 v45, v46
	s_xor_b32 s13, exec_lo, s13
; %bb.5568:                             ;   in Loop: Header=BB4_4876 Depth=3
	s_delay_alu instid0(VALU_DEP_2) | instskip(SKIP_2) | instid1(VALU_DEP_2)
	v_cmp_lt_u32_e32 vcc_lo, 0xffffff, v43
	v_sub_nc_u32_e32 v166, v45, v46
	v_cndmask_b32_e64 v45, 0, 1, vcc_lo
	v_add_co_ci_u32_e32 v166, vcc_lo, 0, v166, vcc_lo
	s_delay_alu instid0(VALU_DEP_2)
	v_lshrrev_b32_e32 v43, v45, v43
; %bb.5569:                             ;   in Loop: Header=BB4_4876 Depth=3
	s_and_not1_saveexec_b32 s13, s13
; %bb.5570:                             ;   in Loop: Header=BB4_4876 Depth=3
	s_delay_alu instid0(VALU_DEP_1)
	v_bfe_u32 v166, v43, 23, 1
; %bb.5571:                             ;   in Loop: Header=BB4_4876 Depth=3
	s_or_b32 exec_lo, exec_lo, s13
	v_lshrrev_b32_e32 v43, 21, v43
	s_delay_alu instid0(VALU_DEP_2) | instskip(SKIP_2) | instid1(VALU_DEP_4)
	v_cmp_gt_i32_e32 vcc_lo, 32, v166
	v_lshrrev_b32_e32 v183, 24, v183
	v_min_i32_e32 v45, 31, v166
	v_cndmask_b32_e32 v43, 3, v43, vcc_lo
	s_delay_alu instid0(VALU_DEP_3) | instskip(NEXT) | instid1(VALU_DEP_2)
	v_and_b32_e32 v183, 0x80, v183
	v_or_b32_e32 v166, v166, v43
	v_and_b32_e32 v46, 3, v43
	s_delay_alu instid0(VALU_DEP_2) | instskip(SKIP_1) | instid1(VALU_DEP_1)
	v_cmp_ne_u32_e32 vcc_lo, 0, v166
	v_lshlrev_b32_e32 v45, 2, v45
	v_or3_b32 v183, v45, v183, v46
	s_delay_alu instid0(VALU_DEP_1)
	v_cndmask_b32_e32 v166, 0, v183, vcc_lo
.LBB4_5572:                             ;   in Loop: Header=BB4_4876 Depth=3
	s_or_b32 exec_lo, exec_lo, s30
.LBB4_5573:                             ;   in Loop: Header=BB4_4876 Depth=3
	s_delay_alu instid0(SALU_CYCLE_1) | instskip(SKIP_3) | instid1(VALU_DEP_1)
	s_or_b32 exec_lo, exec_lo, s17
	v_and_b32_e32 v43, 0xff, v164
	s_mov_b32 s13, 0
	s_mov_b32 s30, exec_lo
                                        ; implicit-def: $sgpr17
	v_cmpx_lt_i16_e32 0x7f, v43
	s_xor_b32 s30, exec_lo, s30
	s_cbranch_execnz .LBB4_6059
; %bb.5574:                             ;   in Loop: Header=BB4_4876 Depth=3
	s_or_saveexec_b32 s30, s30
	v_mov_b32_e32 v183, s17
	s_xor_b32 exec_lo, exec_lo, s30
	s_cbranch_execnz .LBB4_6062
.LBB4_5575:                             ;   in Loop: Header=BB4_4876 Depth=3
	s_or_b32 exec_lo, exec_lo, s30
	s_and_saveexec_b32 s17, s13
	s_cbranch_execz .LBB4_5577
.LBB4_5576:                             ;   in Loop: Header=BB4_4876 Depth=3
	v_lshlrev_b32_e32 v164, 8, v164
	s_delay_alu instid0(VALU_DEP_1) | instskip(SKIP_1) | instid1(VALU_DEP_2)
	v_and_b32_e32 v183, 0xff00, v164
	v_bfe_u32 v164, v164, 10, 5
	v_bfe_u32 v45, v183, 8, 2
	s_delay_alu instid0(VALU_DEP_2) | instskip(NEXT) | instid1(VALU_DEP_2)
	v_cmp_eq_u32_e32 vcc_lo, 0, v164
	v_clz_i32_u32_e32 v46, v45
	s_delay_alu instid0(VALU_DEP_1) | instskip(NEXT) | instid1(VALU_DEP_1)
	v_min_u32_e32 v46, 32, v46
	v_subrev_nc_u32_e32 v47, 29, v46
	v_sub_nc_u32_e32 v46, 30, v46
	s_delay_alu instid0(VALU_DEP_1) | instskip(SKIP_1) | instid1(VALU_DEP_2)
	v_dual_cndmask_b32 v164, v164, v46 :: v_dual_lshlrev_b32 v43, v47, v43
	v_lshlrev_b32_e32 v183, 16, v183
	v_and_b32_e32 v43, 3, v43
	s_delay_alu instid0(VALU_DEP_3) | instskip(NEXT) | instid1(VALU_DEP_3)
	v_lshl_add_u32 v164, v164, 23, 0x37800000
	v_and_b32_e32 v183, 0x80000000, v183
	s_delay_alu instid0(VALU_DEP_3) | instskip(NEXT) | instid1(VALU_DEP_1)
	v_cndmask_b32_e32 v43, v45, v43, vcc_lo
	v_lshlrev_b32_e32 v43, 21, v43
	s_delay_alu instid0(VALU_DEP_1)
	v_or3_b32 v183, v183, v164, v43
.LBB4_5577:                             ;   in Loop: Header=BB4_4876 Depth=3
	s_or_b32 exec_lo, exec_lo, s17
	v_lshrrev_b32_e32 v164, 24, v8
	s_mov_b32 s13, 0
	s_mov_b32 s30, exec_lo
                                        ; implicit-def: $sgpr17
	s_delay_alu instid0(VALU_DEP_1)
	v_cmpx_lt_i16_e64 0x7f, v164
	s_xor_b32 s30, exec_lo, s30
	s_cbranch_execnz .LBB4_6063
; %bb.5578:                             ;   in Loop: Header=BB4_4876 Depth=3
	s_or_saveexec_b32 s30, s30
	v_mov_b32_e32 v43, s17
	s_xor_b32 exec_lo, exec_lo, s30
	s_cbranch_execnz .LBB4_6066
.LBB4_5579:                             ;   in Loop: Header=BB4_4876 Depth=3
	s_or_b32 exec_lo, exec_lo, s30
	s_and_saveexec_b32 s17, s13
	s_cbranch_execz .LBB4_5581
.LBB4_5580:                             ;   in Loop: Header=BB4_4876 Depth=3
	v_bfe_u32 v43, v8, 24, 2
	s_delay_alu instid0(VALU_DEP_1) | instskip(NEXT) | instid1(VALU_DEP_1)
	v_clz_i32_u32_e32 v45, v43
	v_min_u32_e32 v45, 32, v45
	s_delay_alu instid0(VALU_DEP_1) | instskip(SKIP_1) | instid1(VALU_DEP_2)
	v_subrev_nc_u32_e32 v46, 29, v45
	v_sub_nc_u32_e32 v45, 30, v45
	v_lshlrev_b32_e32 v164, v46, v164
	v_bfe_u32 v46, v8, 26, 5
	v_and_b32_e32 v8, 0x80000000, v8
	s_delay_alu instid0(VALU_DEP_2) | instskip(NEXT) | instid1(VALU_DEP_4)
	v_cmp_eq_u32_e32 vcc_lo, 0, v46
	v_dual_cndmask_b32 v45, v46, v45 :: v_dual_and_b32 v164, 3, v164
	s_delay_alu instid0(VALU_DEP_1) | instskip(NEXT) | instid1(VALU_DEP_2)
	v_cndmask_b32_e32 v164, v43, v164, vcc_lo
	v_lshl_add_u32 v43, v45, 23, 0x37800000
	s_delay_alu instid0(VALU_DEP_2) | instskip(NEXT) | instid1(VALU_DEP_1)
	v_lshlrev_b32_e32 v164, 21, v164
	v_or3_b32 v43, v8, v43, v164
.LBB4_5581:                             ;   in Loop: Header=BB4_4876 Depth=3
	s_or_b32 exec_lo, exec_lo, s17
	s_delay_alu instid0(VALU_DEP_1) | instskip(NEXT) | instid1(VALU_DEP_1)
	v_add_f32_e32 v164, v183, v43
	v_and_b32_e32 v8, 0x7f800000, v164
	s_delay_alu instid0(VALU_DEP_1)
	v_cmp_ne_u32_e32 vcc_lo, 0x7f800000, v8
	v_mov_b32_e32 v8, 0x80
	s_and_saveexec_b32 s17, vcc_lo
	s_cbranch_execz .LBB4_5589
; %bb.5582:                             ;   in Loop: Header=BB4_4876 Depth=3
	v_mov_b32_e32 v8, 0
	s_mov_b32 s30, exec_lo
	v_cmpx_ne_u32_e32 0, v164
	s_cbranch_execz .LBB4_5588
; %bb.5583:                             ;   in Loop: Header=BB4_4876 Depth=3
	v_bfe_u32 v8, v164, 23, 8
	v_and_b32_e32 v183, 0x7fffff, v164
	s_delay_alu instid0(VALU_DEP_2) | instskip(SKIP_1) | instid1(VALU_DEP_3)
	v_sub_nc_u32_e32 v43, 0x70, v8
	v_cmp_gt_u32_e32 vcc_lo, 0x71, v8
	v_or_b32_e32 v45, 0x800000, v183
	s_delay_alu instid0(VALU_DEP_3) | instskip(SKIP_2) | instid1(VALU_DEP_3)
	v_cndmask_b32_e32 v43, 0, v43, vcc_lo
	v_cmp_eq_u32_e32 vcc_lo, 0, v8
	v_add_nc_u32_e32 v8, 0xffffff91, v8
	v_cndmask_b32_e64 v43, v43, 0x6f, vcc_lo
	v_cndmask_b32_e32 v183, v45, v183, vcc_lo
	s_delay_alu instid0(VALU_DEP_3) | instskip(NEXT) | instid1(VALU_DEP_3)
	v_cndmask_b32_e64 v8, v8, 0xffffff92, vcc_lo
	v_lshl_add_u32 v45, 0x200000, v43, -1
	s_delay_alu instid0(VALU_DEP_3) | instskip(SKIP_1) | instid1(VALU_DEP_4)
	v_lshrrev_b32_e32 v46, v43, v183
	v_lshlrev_b32_e64 v56, v43, 0x100000
	v_add_nc_u32_e32 v43, v43, v8
	s_delay_alu instid0(VALU_DEP_4) | instskip(NEXT) | instid1(VALU_DEP_4)
	v_and_b32_e32 v183, v45, v183
	v_bfe_u32 v47, v46, 21, 1
	s_delay_alu instid0(VALU_DEP_2) | instskip(NEXT) | instid1(VALU_DEP_2)
	v_cmp_eq_u32_e64 s13, v183, v56
	v_add_nc_u32_e32 v45, -1, v47
	s_delay_alu instid0(VALU_DEP_1) | instskip(SKIP_2) | instid1(VALU_DEP_2)
	v_cndmask_b32_e64 v183, 0, v45, s13
	v_lshrrev_b32_e32 v45, 23, v46
	s_mov_b32 s13, exec_lo
	v_add_nc_u32_e32 v183, v183, v46
	s_delay_alu instid0(VALU_DEP_2) | instskip(NEXT) | instid1(VALU_DEP_2)
	v_xor_b32_e32 v45, 1, v45
	v_and_b32_e32 v8, 0x1fffff, v183
	s_delay_alu instid0(VALU_DEP_1) | instskip(NEXT) | instid1(VALU_DEP_3)
	v_add_nc_u32_e32 v183, v8, v46
                                        ; implicit-def: $vgpr8
	v_cmpx_ne_u32_e64 v43, v45
	s_xor_b32 s13, exec_lo, s13
; %bb.5584:                             ;   in Loop: Header=BB4_4876 Depth=3
	s_delay_alu instid0(VALU_DEP_2) | instskip(SKIP_2) | instid1(VALU_DEP_2)
	v_cmp_lt_u32_e32 vcc_lo, 0xffffff, v183
	v_sub_nc_u32_e32 v8, v43, v45
	v_cndmask_b32_e64 v43, 0, 1, vcc_lo
	v_add_co_ci_u32_e32 v8, vcc_lo, 0, v8, vcc_lo
	s_delay_alu instid0(VALU_DEP_2)
	v_lshrrev_b32_e32 v183, v43, v183
; %bb.5585:                             ;   in Loop: Header=BB4_4876 Depth=3
	s_and_not1_saveexec_b32 s13, s13
; %bb.5586:                             ;   in Loop: Header=BB4_4876 Depth=3
	s_delay_alu instid0(VALU_DEP_1)
	v_bfe_u32 v8, v183, 23, 1
; %bb.5587:                             ;   in Loop: Header=BB4_4876 Depth=3
	s_or_b32 exec_lo, exec_lo, s13
	v_lshrrev_b32_e32 v183, 21, v183
	s_delay_alu instid0(VALU_DEP_2) | instskip(SKIP_2) | instid1(VALU_DEP_2)
	v_cmp_gt_i32_e32 vcc_lo, 32, v8
	v_lshrrev_b32_e32 v164, 24, v164
	v_min_i32_e32 v43, 31, v8
	v_dual_cndmask_b32 v183, 3, v183 :: v_dual_and_b32 v164, 0x80, v164
	s_delay_alu instid0(VALU_DEP_2) | instskip(NEXT) | instid1(VALU_DEP_2)
	v_lshlrev_b32_e32 v43, 2, v43
	v_or_b32_e32 v8, v8, v183
	s_delay_alu instid0(VALU_DEP_1) | instskip(SKIP_1) | instid1(VALU_DEP_1)
	v_cmp_ne_u32_e32 vcc_lo, 0, v8
	v_and_b32_e32 v45, 3, v183
	v_or3_b32 v164, v43, v164, v45
	s_delay_alu instid0(VALU_DEP_1)
	v_cndmask_b32_e32 v8, 0, v164, vcc_lo
.LBB4_5588:                             ;   in Loop: Header=BB4_4876 Depth=3
	s_or_b32 exec_lo, exec_lo, s30
.LBB4_5589:                             ;   in Loop: Header=BB4_4876 Depth=3
	s_delay_alu instid0(SALU_CYCLE_1) | instskip(SKIP_3) | instid1(VALU_DEP_1)
	s_or_b32 exec_lo, exec_lo, s17
	v_or_b32_e32 v177, v177, v163
	s_mov_b32 s13, 0
	s_mov_b32 s30, exec_lo
                                        ; implicit-def: $sgpr17
	v_and_b32_e32 v164, 0xff, v177
	s_delay_alu instid0(VALU_DEP_1)
	v_cmpx_lt_i16_e64 0x7f, v164
	s_xor_b32 s30, exec_lo, s30
	s_cbranch_execnz .LBB4_6067
; %bb.5590:                             ;   in Loop: Header=BB4_4876 Depth=3
	s_or_saveexec_b32 s30, s30
	v_mov_b32_e32 v163, s17
	s_xor_b32 exec_lo, exec_lo, s30
	s_cbranch_execnz .LBB4_6070
.LBB4_5591:                             ;   in Loop: Header=BB4_4876 Depth=3
	s_or_b32 exec_lo, exec_lo, s30
	s_and_saveexec_b32 s17, s13
	s_cbranch_execz .LBB4_5593
.LBB4_5592:                             ;   in Loop: Header=BB4_4876 Depth=3
	v_bfe_u32 v43, v177, 2, 5
	v_lshlrev_b32_e32 v45, 24, v177
	s_delay_alu instid0(VALU_DEP_2) | instskip(SKIP_1) | instid1(VALU_DEP_1)
	v_cmp_eq_u32_e32 vcc_lo, 0, v43
	v_and_b32_e32 v163, 3, v177
	v_clz_i32_u32_e32 v164, v163
	s_delay_alu instid0(VALU_DEP_1) | instskip(NEXT) | instid1(VALU_DEP_1)
	v_min_u32_e32 v164, 32, v164
	v_subrev_nc_u32_e32 v183, 29, v164
	v_sub_nc_u32_e32 v164, 30, v164
	s_delay_alu instid0(VALU_DEP_2) | instskip(NEXT) | instid1(VALU_DEP_1)
	v_lshlrev_b32_e32 v183, v183, v177
	v_dual_cndmask_b32 v164, v43, v164 :: v_dual_and_b32 v183, 3, v183
	s_delay_alu instid0(VALU_DEP_1) | instskip(NEXT) | instid1(VALU_DEP_2)
	v_lshl_add_u32 v164, v164, 23, 0x37800000
	v_cndmask_b32_e32 v163, v163, v183, vcc_lo
	v_and_b32_e32 v183, 0x80000000, v45
	s_delay_alu instid0(VALU_DEP_2) | instskip(NEXT) | instid1(VALU_DEP_1)
	v_lshlrev_b32_e32 v163, 21, v163
	v_or3_b32 v163, v183, v164, v163
.LBB4_5593:                             ;   in Loop: Header=BB4_4876 Depth=3
	s_or_b32 exec_lo, exec_lo, s17
	v_and_b32_e32 v183, 0xff, v9
	s_mov_b32 s13, 0
	s_mov_b32 s30, exec_lo
                                        ; implicit-def: $sgpr17
	s_delay_alu instid0(VALU_DEP_1)
	v_cmpx_lt_i16_e64 0x7f, v183
	s_xor_b32 s30, exec_lo, s30
	s_cbranch_execnz .LBB4_6071
; %bb.5594:                             ;   in Loop: Header=BB4_4876 Depth=3
	s_or_saveexec_b32 s30, s30
	v_mov_b32_e32 v164, s17
	s_xor_b32 exec_lo, exec_lo, s30
	s_cbranch_execnz .LBB4_6074
.LBB4_5595:                             ;   in Loop: Header=BB4_4876 Depth=3
	s_or_b32 exec_lo, exec_lo, s30
	s_and_saveexec_b32 s17, s13
	s_cbranch_execz .LBB4_5597
.LBB4_5596:                             ;   in Loop: Header=BB4_4876 Depth=3
	v_bfe_u32 v45, v9, 2, 5
	v_lshlrev_b32_e32 v46, 24, v9
	s_delay_alu instid0(VALU_DEP_2) | instskip(SKIP_1) | instid1(VALU_DEP_1)
	v_cmp_eq_u32_e32 vcc_lo, 0, v45
	v_and_b32_e32 v164, 3, v9
	v_clz_i32_u32_e32 v183, v164
	s_delay_alu instid0(VALU_DEP_1) | instskip(NEXT) | instid1(VALU_DEP_1)
	v_min_u32_e32 v183, 32, v183
	v_subrev_nc_u32_e32 v43, 29, v183
	v_sub_nc_u32_e32 v183, 30, v183
	s_delay_alu instid0(VALU_DEP_2) | instskip(NEXT) | instid1(VALU_DEP_2)
	v_lshlrev_b32_e32 v43, v43, v9
	v_cndmask_b32_e32 v183, v45, v183, vcc_lo
	s_delay_alu instid0(VALU_DEP_2) | instskip(NEXT) | instid1(VALU_DEP_2)
	v_and_b32_e32 v43, 3, v43
	v_lshl_add_u32 v183, v183, 23, 0x37800000
	s_delay_alu instid0(VALU_DEP_2) | instskip(NEXT) | instid1(VALU_DEP_1)
	v_dual_cndmask_b32 v164, v164, v43 :: v_dual_and_b32 v43, 0x80000000, v46
	v_lshlrev_b32_e32 v164, 21, v164
	s_delay_alu instid0(VALU_DEP_1)
	v_or3_b32 v164, v43, v183, v164
.LBB4_5597:                             ;   in Loop: Header=BB4_4876 Depth=3
	s_or_b32 exec_lo, exec_lo, s17
	s_delay_alu instid0(VALU_DEP_1) | instskip(NEXT) | instid1(VALU_DEP_1)
	v_add_f32_e32 v164, v163, v164
	v_and_b32_e32 v163, 0x7f800000, v164
	s_delay_alu instid0(VALU_DEP_1)
	v_cmp_ne_u32_e32 vcc_lo, 0x7f800000, v163
	v_mov_b32_e32 v163, 0x80
	s_and_saveexec_b32 s17, vcc_lo
	s_cbranch_execz .LBB4_5605
; %bb.5598:                             ;   in Loop: Header=BB4_4876 Depth=3
	v_mov_b32_e32 v163, 0
	s_mov_b32 s30, exec_lo
	v_cmpx_ne_u32_e32 0, v164
	s_cbranch_execz .LBB4_5604
; %bb.5599:                             ;   in Loop: Header=BB4_4876 Depth=3
	v_bfe_u32 v163, v164, 23, 8
	v_and_b32_e32 v183, 0x7fffff, v164
	s_delay_alu instid0(VALU_DEP_2) | instskip(SKIP_1) | instid1(VALU_DEP_3)
	v_sub_nc_u32_e32 v43, 0x70, v163
	v_cmp_gt_u32_e32 vcc_lo, 0x71, v163
	v_or_b32_e32 v45, 0x800000, v183
	s_delay_alu instid0(VALU_DEP_3) | instskip(SKIP_2) | instid1(VALU_DEP_3)
	v_cndmask_b32_e32 v43, 0, v43, vcc_lo
	v_cmp_eq_u32_e32 vcc_lo, 0, v163
	v_add_nc_u32_e32 v163, 0xffffff91, v163
	v_cndmask_b32_e64 v43, v43, 0x6f, vcc_lo
	v_cndmask_b32_e32 v183, v45, v183, vcc_lo
	s_delay_alu instid0(VALU_DEP_3) | instskip(NEXT) | instid1(VALU_DEP_3)
	v_cndmask_b32_e64 v163, v163, 0xffffff92, vcc_lo
	v_lshl_add_u32 v45, 0x200000, v43, -1
	s_delay_alu instid0(VALU_DEP_3) | instskip(SKIP_1) | instid1(VALU_DEP_4)
	v_lshrrev_b32_e32 v46, v43, v183
	v_lshlrev_b32_e64 v56, v43, 0x100000
	v_add_nc_u32_e32 v43, v43, v163
	s_delay_alu instid0(VALU_DEP_4) | instskip(NEXT) | instid1(VALU_DEP_4)
	v_and_b32_e32 v183, v45, v183
	v_bfe_u32 v47, v46, 21, 1
	s_delay_alu instid0(VALU_DEP_2) | instskip(NEXT) | instid1(VALU_DEP_2)
	v_cmp_eq_u32_e64 s13, v183, v56
	v_add_nc_u32_e32 v45, -1, v47
	s_delay_alu instid0(VALU_DEP_1) | instskip(SKIP_2) | instid1(VALU_DEP_2)
	v_cndmask_b32_e64 v183, 0, v45, s13
	v_lshrrev_b32_e32 v45, 23, v46
	s_mov_b32 s13, exec_lo
	v_add_nc_u32_e32 v183, v183, v46
	s_delay_alu instid0(VALU_DEP_2) | instskip(NEXT) | instid1(VALU_DEP_2)
	v_xor_b32_e32 v45, 1, v45
	v_and_b32_e32 v163, 0x1fffff, v183
	s_delay_alu instid0(VALU_DEP_1) | instskip(NEXT) | instid1(VALU_DEP_3)
	v_add_nc_u32_e32 v183, v163, v46
                                        ; implicit-def: $vgpr163
	v_cmpx_ne_u32_e64 v43, v45
	s_xor_b32 s13, exec_lo, s13
; %bb.5600:                             ;   in Loop: Header=BB4_4876 Depth=3
	s_delay_alu instid0(VALU_DEP_2) | instskip(SKIP_2) | instid1(VALU_DEP_2)
	v_cmp_lt_u32_e32 vcc_lo, 0xffffff, v183
	v_sub_nc_u32_e32 v163, v43, v45
	v_cndmask_b32_e64 v43, 0, 1, vcc_lo
	v_add_co_ci_u32_e32 v163, vcc_lo, 0, v163, vcc_lo
	s_delay_alu instid0(VALU_DEP_2)
	v_lshrrev_b32_e32 v183, v43, v183
; %bb.5601:                             ;   in Loop: Header=BB4_4876 Depth=3
	s_and_not1_saveexec_b32 s13, s13
; %bb.5602:                             ;   in Loop: Header=BB4_4876 Depth=3
	s_delay_alu instid0(VALU_DEP_1)
	v_bfe_u32 v163, v183, 23, 1
; %bb.5603:                             ;   in Loop: Header=BB4_4876 Depth=3
	s_or_b32 exec_lo, exec_lo, s13
	v_lshrrev_b32_e32 v183, 21, v183
	s_delay_alu instid0(VALU_DEP_2) | instskip(SKIP_2) | instid1(VALU_DEP_2)
	v_cmp_gt_i32_e32 vcc_lo, 32, v163
	v_lshrrev_b32_e32 v164, 24, v164
	v_min_i32_e32 v43, 31, v163
	v_dual_cndmask_b32 v183, 3, v183 :: v_dual_and_b32 v164, 0x80, v164
	s_delay_alu instid0(VALU_DEP_2) | instskip(NEXT) | instid1(VALU_DEP_2)
	v_lshlrev_b32_e32 v43, 2, v43
	v_and_b32_e32 v45, 3, v183
	v_or_b32_e32 v163, v163, v183
	s_delay_alu instid0(VALU_DEP_2) | instskip(NEXT) | instid1(VALU_DEP_2)
	v_or3_b32 v164, v43, v164, v45
	v_cmp_ne_u32_e32 vcc_lo, 0, v163
	s_delay_alu instid0(VALU_DEP_2)
	v_cndmask_b32_e32 v163, 0, v164, vcc_lo
.LBB4_5604:                             ;   in Loop: Header=BB4_4876 Depth=3
	s_or_b32 exec_lo, exec_lo, s30
.LBB4_5605:                             ;   in Loop: Header=BB4_4876 Depth=3
	s_delay_alu instid0(SALU_CYCLE_1) | instskip(SKIP_3) | instid1(VALU_DEP_1)
	s_or_b32 exec_lo, exec_lo, s17
	v_lshrrev_b16 v183, 8, v177
	s_mov_b32 s13, 0
	s_mov_b32 s30, exec_lo
                                        ; implicit-def: $sgpr17
	v_cmpx_lt_i16_e64 0x7f, v183
	s_xor_b32 s30, exec_lo, s30
	s_cbranch_execnz .LBB4_6075
; %bb.5606:                             ;   in Loop: Header=BB4_4876 Depth=3
	s_or_saveexec_b32 s30, s30
	v_mov_b32_e32 v164, s17
	s_xor_b32 exec_lo, exec_lo, s30
	s_cbranch_execnz .LBB4_6078
.LBB4_5607:                             ;   in Loop: Header=BB4_4876 Depth=3
	s_or_b32 exec_lo, exec_lo, s30
	s_and_saveexec_b32 s17, s13
	s_cbranch_execz .LBB4_5609
.LBB4_5608:                             ;   in Loop: Header=BB4_4876 Depth=3
	v_and_b32_e32 v164, 0xffff, v183
	v_lshlrev_b32_e32 v183, 24, v183
	s_delay_alu instid0(VALU_DEP_2) | instskip(NEXT) | instid1(VALU_DEP_2)
	v_and_b32_e32 v43, 3, v164
	v_and_b32_e32 v183, 0x80000000, v183
	s_delay_alu instid0(VALU_DEP_2) | instskip(NEXT) | instid1(VALU_DEP_1)
	v_clz_i32_u32_e32 v45, v43
	v_min_u32_e32 v45, 32, v45
	s_delay_alu instid0(VALU_DEP_1) | instskip(SKIP_1) | instid1(VALU_DEP_2)
	v_subrev_nc_u32_e32 v46, 29, v45
	v_sub_nc_u32_e32 v45, 30, v45
	v_lshlrev_b32_e32 v46, v46, v164
	v_bfe_u32 v164, v164, 2, 5
	s_delay_alu instid0(VALU_DEP_2) | instskip(NEXT) | instid1(VALU_DEP_2)
	v_and_b32_e32 v46, 3, v46
	v_cmp_eq_u32_e32 vcc_lo, 0, v164
	s_delay_alu instid0(VALU_DEP_2) | instskip(NEXT) | instid1(VALU_DEP_1)
	v_dual_cndmask_b32 v164, v164, v45 :: v_dual_cndmask_b32 v43, v43, v46
	v_lshl_add_u32 v164, v164, 23, 0x37800000
	s_delay_alu instid0(VALU_DEP_2) | instskip(NEXT) | instid1(VALU_DEP_1)
	v_lshlrev_b32_e32 v43, 21, v43
	v_or3_b32 v164, v183, v164, v43
.LBB4_5609:                             ;   in Loop: Header=BB4_4876 Depth=3
	s_or_b32 exec_lo, exec_lo, s17
	v_lshrrev_b16 v183, 8, v9
	s_mov_b32 s13, 0
	s_mov_b32 s30, exec_lo
                                        ; implicit-def: $sgpr17
	s_delay_alu instid0(VALU_DEP_1)
	v_cmpx_lt_i16_e64 0x7f, v183
	s_xor_b32 s30, exec_lo, s30
	s_cbranch_execnz .LBB4_6079
; %bb.5610:                             ;   in Loop: Header=BB4_4876 Depth=3
	s_or_saveexec_b32 s30, s30
	v_mov_b32_e32 v43, s17
	s_xor_b32 exec_lo, exec_lo, s30
	s_cbranch_execnz .LBB4_6082
.LBB4_5611:                             ;   in Loop: Header=BB4_4876 Depth=3
	s_or_b32 exec_lo, exec_lo, s30
	s_and_saveexec_b32 s17, s13
	s_cbranch_execz .LBB4_5613
.LBB4_5612:                             ;   in Loop: Header=BB4_4876 Depth=3
	v_and_b32_e32 v43, 0xffff, v183
	v_lshlrev_b32_e32 v183, 24, v183
	s_delay_alu instid0(VALU_DEP_2) | instskip(NEXT) | instid1(VALU_DEP_2)
	v_and_b32_e32 v45, 3, v43
	v_and_b32_e32 v183, 0x80000000, v183
	s_delay_alu instid0(VALU_DEP_2) | instskip(NEXT) | instid1(VALU_DEP_1)
	v_clz_i32_u32_e32 v46, v45
	v_min_u32_e32 v46, 32, v46
	s_delay_alu instid0(VALU_DEP_1) | instskip(SKIP_1) | instid1(VALU_DEP_2)
	v_subrev_nc_u32_e32 v47, 29, v46
	v_sub_nc_u32_e32 v46, 30, v46
	v_lshlrev_b32_e32 v47, v47, v43
	v_bfe_u32 v43, v43, 2, 5
	s_delay_alu instid0(VALU_DEP_2) | instskip(NEXT) | instid1(VALU_DEP_2)
	v_and_b32_e32 v47, 3, v47
	v_cmp_eq_u32_e32 vcc_lo, 0, v43
	v_cndmask_b32_e32 v43, v43, v46, vcc_lo
	s_delay_alu instid0(VALU_DEP_3) | instskip(NEXT) | instid1(VALU_DEP_2)
	v_cndmask_b32_e32 v45, v45, v47, vcc_lo
	v_lshl_add_u32 v43, v43, 23, 0x37800000
	s_delay_alu instid0(VALU_DEP_2) | instskip(NEXT) | instid1(VALU_DEP_1)
	v_lshlrev_b32_e32 v45, 21, v45
	v_or3_b32 v43, v183, v43, v45
.LBB4_5613:                             ;   in Loop: Header=BB4_4876 Depth=3
	s_or_b32 exec_lo, exec_lo, s17
	s_delay_alu instid0(VALU_DEP_1) | instskip(NEXT) | instid1(VALU_DEP_1)
	v_add_f32_e32 v183, v164, v43
	v_and_b32_e32 v164, 0x7f800000, v183
	s_delay_alu instid0(VALU_DEP_1)
	v_cmp_ne_u32_e32 vcc_lo, 0x7f800000, v164
	v_mov_b32_e32 v164, 0x8000
	s_and_saveexec_b32 s17, vcc_lo
	s_cbranch_execz .LBB4_5621
; %bb.5614:                             ;   in Loop: Header=BB4_4876 Depth=3
	v_mov_b32_e32 v164, 0
	s_mov_b32 s30, exec_lo
	v_cmpx_ne_u32_e32 0, v183
	s_cbranch_execz .LBB4_5620
; %bb.5615:                             ;   in Loop: Header=BB4_4876 Depth=3
	v_bfe_u32 v164, v183, 23, 8
	v_and_b32_e32 v43, 0x7fffff, v183
	s_delay_alu instid0(VALU_DEP_2) | instskip(SKIP_1) | instid1(VALU_DEP_3)
	v_sub_nc_u32_e32 v45, 0x70, v164
	v_cmp_gt_u32_e32 vcc_lo, 0x71, v164
	v_or_b32_e32 v46, 0x800000, v43
	s_delay_alu instid0(VALU_DEP_3) | instskip(SKIP_2) | instid1(VALU_DEP_3)
	v_cndmask_b32_e32 v45, 0, v45, vcc_lo
	v_cmp_eq_u32_e32 vcc_lo, 0, v164
	v_add_nc_u32_e32 v164, 0xffffff91, v164
	v_cndmask_b32_e64 v45, v45, 0x6f, vcc_lo
	v_cndmask_b32_e32 v43, v46, v43, vcc_lo
	s_delay_alu instid0(VALU_DEP_3) | instskip(NEXT) | instid1(VALU_DEP_3)
	v_cndmask_b32_e64 v164, v164, 0xffffff92, vcc_lo
	v_lshl_add_u32 v46, 0x200000, v45, -1
	s_delay_alu instid0(VALU_DEP_3) | instskip(SKIP_1) | instid1(VALU_DEP_4)
	v_lshrrev_b32_e32 v47, v45, v43
	v_lshlrev_b32_e64 v57, v45, 0x100000
	v_add_nc_u32_e32 v45, v45, v164
	s_delay_alu instid0(VALU_DEP_4) | instskip(NEXT) | instid1(VALU_DEP_4)
	v_and_b32_e32 v43, v46, v43
	v_bfe_u32 v56, v47, 21, 1
	s_delay_alu instid0(VALU_DEP_2) | instskip(NEXT) | instid1(VALU_DEP_2)
	v_cmp_eq_u32_e64 s13, v43, v57
	v_add_nc_u32_e32 v46, -1, v56
	s_delay_alu instid0(VALU_DEP_1) | instskip(SKIP_2) | instid1(VALU_DEP_2)
	v_cndmask_b32_e64 v43, 0, v46, s13
	v_lshrrev_b32_e32 v46, 23, v47
	s_mov_b32 s13, exec_lo
	v_add_nc_u32_e32 v43, v43, v47
	s_delay_alu instid0(VALU_DEP_2) | instskip(NEXT) | instid1(VALU_DEP_2)
	v_xor_b32_e32 v46, 1, v46
	v_and_b32_e32 v164, 0x1fffff, v43
	s_delay_alu instid0(VALU_DEP_1) | instskip(NEXT) | instid1(VALU_DEP_3)
	v_add_nc_u32_e32 v43, v164, v47
                                        ; implicit-def: $vgpr164
	v_cmpx_ne_u32_e64 v45, v46
	s_xor_b32 s13, exec_lo, s13
; %bb.5616:                             ;   in Loop: Header=BB4_4876 Depth=3
	s_delay_alu instid0(VALU_DEP_2) | instskip(SKIP_2) | instid1(VALU_DEP_2)
	v_cmp_lt_u32_e32 vcc_lo, 0xffffff, v43
	v_sub_nc_u32_e32 v164, v45, v46
	v_cndmask_b32_e64 v45, 0, 1, vcc_lo
	v_add_co_ci_u32_e32 v164, vcc_lo, 0, v164, vcc_lo
	s_delay_alu instid0(VALU_DEP_2)
	v_lshrrev_b32_e32 v43, v45, v43
; %bb.5617:                             ;   in Loop: Header=BB4_4876 Depth=3
	s_and_not1_saveexec_b32 s13, s13
; %bb.5618:                             ;   in Loop: Header=BB4_4876 Depth=3
	s_delay_alu instid0(VALU_DEP_1)
	v_bfe_u32 v164, v43, 23, 1
; %bb.5619:                             ;   in Loop: Header=BB4_4876 Depth=3
	s_or_b32 exec_lo, exec_lo, s13
	v_lshrrev_b32_e32 v43, 21, v43
	s_delay_alu instid0(VALU_DEP_2) | instskip(SKIP_2) | instid1(VALU_DEP_4)
	v_cmp_gt_i32_e32 vcc_lo, 32, v164
	v_min_i32_e32 v45, 31, v164
	v_lshrrev_b32_e32 v183, 24, v183
	v_cndmask_b32_e32 v43, 3, v43, vcc_lo
	s_delay_alu instid0(VALU_DEP_2) | instskip(NEXT) | instid1(VALU_DEP_2)
	v_and_b32_e32 v183, 0x80, v183
	v_or_b32_e32 v164, v164, v43
	v_and_b32_e32 v46, 3, v43
	s_delay_alu instid0(VALU_DEP_2) | instskip(SKIP_1) | instid1(VALU_DEP_1)
	v_cmp_ne_u32_e32 vcc_lo, 0, v164
	v_lshlrev_b32_e32 v45, 2, v45
	v_and_b32_e32 v45, 0xfc, v45
	s_delay_alu instid0(VALU_DEP_1) | instskip(NEXT) | instid1(VALU_DEP_1)
	v_or3_b32 v183, v183, v45, v46
	v_lshlrev_b32_e32 v183, 8, v183
	s_delay_alu instid0(VALU_DEP_1)
	v_cndmask_b32_e32 v164, 0, v183, vcc_lo
.LBB4_5620:                             ;   in Loop: Header=BB4_4876 Depth=3
	s_or_b32 exec_lo, exec_lo, s30
.LBB4_5621:                             ;   in Loop: Header=BB4_4876 Depth=3
	s_delay_alu instid0(SALU_CYCLE_1) | instskip(SKIP_3) | instid1(VALU_DEP_1)
	s_or_b32 exec_lo, exec_lo, s17
	v_or_b32_e32 v165, v165, v162
	s_mov_b32 s13, 0
	s_mov_b32 s30, exec_lo
                                        ; implicit-def: $sgpr17
	v_and_b32_e32 v183, 0xff, v165
	s_delay_alu instid0(VALU_DEP_1)
	v_cmpx_lt_i16_e64 0x7f, v183
	s_xor_b32 s30, exec_lo, s30
	s_cbranch_execnz .LBB4_6083
; %bb.5622:                             ;   in Loop: Header=BB4_4876 Depth=3
	s_or_saveexec_b32 s30, s30
	v_mov_b32_e32 v162, s17
	s_xor_b32 exec_lo, exec_lo, s30
	s_cbranch_execnz .LBB4_6086
.LBB4_5623:                             ;   in Loop: Header=BB4_4876 Depth=3
	s_or_b32 exec_lo, exec_lo, s30
	v_lshl_or_b32 v165, v165, 16, v177
	s_and_saveexec_b32 s17, s13
	s_cbranch_execz .LBB4_5625
.LBB4_5624:                             ;   in Loop: Header=BB4_4876 Depth=3
	s_delay_alu instid0(VALU_DEP_1) | instskip(SKIP_1) | instid1(VALU_DEP_2)
	v_bfe_u32 v162, v165, 16, 2
	v_lshrrev_b32_e32 v183, 16, v165
	v_clz_i32_u32_e32 v177, v162
	s_delay_alu instid0(VALU_DEP_1) | instskip(NEXT) | instid1(VALU_DEP_1)
	v_min_u32_e32 v177, 32, v177
	v_subrev_nc_u32_e32 v43, 29, v177
	v_sub_nc_u32_e32 v177, 30, v177
	s_delay_alu instid0(VALU_DEP_2) | instskip(SKIP_1) | instid1(VALU_DEP_2)
	v_lshlrev_b32_e32 v183, v43, v183
	v_bfe_u32 v43, v165, 18, 5
	v_and_b32_e32 v183, 3, v183
	s_delay_alu instid0(VALU_DEP_2) | instskip(NEXT) | instid1(VALU_DEP_2)
	v_cmp_eq_u32_e32 vcc_lo, 0, v43
	v_dual_cndmask_b32 v162, v162, v183 :: v_dual_lshlrev_b32 v45, 8, v165
	v_cndmask_b32_e32 v177, v43, v177, vcc_lo
	s_delay_alu instid0(VALU_DEP_2) | instskip(NEXT) | instid1(VALU_DEP_3)
	v_and_b32_e32 v183, 0x80000000, v45
	v_lshlrev_b32_e32 v162, 21, v162
	s_delay_alu instid0(VALU_DEP_3) | instskip(NEXT) | instid1(VALU_DEP_1)
	v_lshl_add_u32 v177, v177, 23, 0x37800000
	v_or3_b32 v162, v183, v177, v162
.LBB4_5625:                             ;   in Loop: Header=BB4_4876 Depth=3
	s_or_b32 exec_lo, exec_lo, s17
	v_lshrrev_b32_e32 v177, 16, v9
	s_mov_b32 s13, 0
	s_mov_b32 s30, exec_lo
                                        ; implicit-def: $sgpr17
	s_delay_alu instid0(VALU_DEP_1) | instskip(NEXT) | instid1(VALU_DEP_1)
	v_and_b32_e32 v43, 0xff, v177
	v_cmpx_lt_i16_e32 0x7f, v43
	s_xor_b32 s30, exec_lo, s30
	s_cbranch_execnz .LBB4_6087
; %bb.5626:                             ;   in Loop: Header=BB4_4876 Depth=3
	s_or_saveexec_b32 s30, s30
	v_mov_b32_e32 v183, s17
	s_xor_b32 exec_lo, exec_lo, s30
	s_cbranch_execnz .LBB4_6090
.LBB4_5627:                             ;   in Loop: Header=BB4_4876 Depth=3
	s_or_b32 exec_lo, exec_lo, s30
	s_and_saveexec_b32 s17, s13
	s_cbranch_execz .LBB4_5629
.LBB4_5628:                             ;   in Loop: Header=BB4_4876 Depth=3
	v_bfe_u32 v183, v9, 16, 2
	s_delay_alu instid0(VALU_DEP_1) | instskip(NEXT) | instid1(VALU_DEP_1)
	v_clz_i32_u32_e32 v43, v183
	v_min_u32_e32 v43, 32, v43
	s_delay_alu instid0(VALU_DEP_1) | instskip(SKIP_1) | instid1(VALU_DEP_2)
	v_subrev_nc_u32_e32 v45, 29, v43
	v_sub_nc_u32_e32 v43, 30, v43
	v_lshlrev_b32_e32 v177, v45, v177
	v_bfe_u32 v45, v9, 18, 5
	s_delay_alu instid0(VALU_DEP_2) | instskip(NEXT) | instid1(VALU_DEP_2)
	v_and_b32_e32 v177, 3, v177
	v_cmp_eq_u32_e32 vcc_lo, 0, v45
	v_dual_cndmask_b32 v43, v45, v43 :: v_dual_lshlrev_b32 v46, 8, v9
	s_delay_alu instid0(VALU_DEP_3) | instskip(NEXT) | instid1(VALU_DEP_2)
	v_cndmask_b32_e32 v177, v183, v177, vcc_lo
	v_and_b32_e32 v183, 0x80000000, v46
	s_delay_alu instid0(VALU_DEP_3) | instskip(NEXT) | instid1(VALU_DEP_3)
	v_lshl_add_u32 v43, v43, 23, 0x37800000
	v_lshlrev_b32_e32 v177, 21, v177
	s_delay_alu instid0(VALU_DEP_1)
	v_or3_b32 v183, v183, v43, v177
.LBB4_5629:                             ;   in Loop: Header=BB4_4876 Depth=3
	s_or_b32 exec_lo, exec_lo, s17
	s_delay_alu instid0(VALU_DEP_1) | instskip(NEXT) | instid1(VALU_DEP_1)
	v_add_f32_e32 v177, v162, v183
	v_and_b32_e32 v162, 0x7f800000, v177
	s_delay_alu instid0(VALU_DEP_1)
	v_cmp_ne_u32_e32 vcc_lo, 0x7f800000, v162
	v_mov_b32_e32 v162, 0x80
	s_and_saveexec_b32 s17, vcc_lo
	s_cbranch_execz .LBB4_5637
; %bb.5630:                             ;   in Loop: Header=BB4_4876 Depth=3
	v_mov_b32_e32 v162, 0
	s_mov_b32 s30, exec_lo
	v_cmpx_ne_u32_e32 0, v177
	s_cbranch_execz .LBB4_5636
; %bb.5631:                             ;   in Loop: Header=BB4_4876 Depth=3
	v_bfe_u32 v162, v177, 23, 8
	v_and_b32_e32 v183, 0x7fffff, v177
	s_delay_alu instid0(VALU_DEP_2) | instskip(SKIP_1) | instid1(VALU_DEP_3)
	v_sub_nc_u32_e32 v43, 0x70, v162
	v_cmp_gt_u32_e32 vcc_lo, 0x71, v162
	v_or_b32_e32 v45, 0x800000, v183
	s_delay_alu instid0(VALU_DEP_3) | instskip(SKIP_2) | instid1(VALU_DEP_3)
	v_cndmask_b32_e32 v43, 0, v43, vcc_lo
	v_cmp_eq_u32_e32 vcc_lo, 0, v162
	v_add_nc_u32_e32 v162, 0xffffff91, v162
	v_cndmask_b32_e64 v43, v43, 0x6f, vcc_lo
	v_cndmask_b32_e32 v183, v45, v183, vcc_lo
	s_delay_alu instid0(VALU_DEP_3) | instskip(NEXT) | instid1(VALU_DEP_3)
	v_cndmask_b32_e64 v162, v162, 0xffffff92, vcc_lo
	v_lshl_add_u32 v45, 0x200000, v43, -1
	s_delay_alu instid0(VALU_DEP_3) | instskip(SKIP_1) | instid1(VALU_DEP_4)
	v_lshrrev_b32_e32 v46, v43, v183
	v_lshlrev_b32_e64 v56, v43, 0x100000
	v_add_nc_u32_e32 v43, v43, v162
	s_delay_alu instid0(VALU_DEP_4) | instskip(NEXT) | instid1(VALU_DEP_4)
	v_and_b32_e32 v183, v45, v183
	v_bfe_u32 v47, v46, 21, 1
	s_delay_alu instid0(VALU_DEP_2) | instskip(NEXT) | instid1(VALU_DEP_2)
	v_cmp_eq_u32_e64 s13, v183, v56
	v_add_nc_u32_e32 v45, -1, v47
	s_delay_alu instid0(VALU_DEP_1) | instskip(SKIP_2) | instid1(VALU_DEP_2)
	v_cndmask_b32_e64 v183, 0, v45, s13
	v_lshrrev_b32_e32 v45, 23, v46
	s_mov_b32 s13, exec_lo
	v_add_nc_u32_e32 v183, v183, v46
	s_delay_alu instid0(VALU_DEP_2) | instskip(NEXT) | instid1(VALU_DEP_2)
	v_xor_b32_e32 v45, 1, v45
	v_and_b32_e32 v162, 0x1fffff, v183
	s_delay_alu instid0(VALU_DEP_1) | instskip(NEXT) | instid1(VALU_DEP_3)
	v_add_nc_u32_e32 v183, v162, v46
                                        ; implicit-def: $vgpr162
	v_cmpx_ne_u32_e64 v43, v45
	s_xor_b32 s13, exec_lo, s13
; %bb.5632:                             ;   in Loop: Header=BB4_4876 Depth=3
	s_delay_alu instid0(VALU_DEP_2) | instskip(SKIP_2) | instid1(VALU_DEP_2)
	v_cmp_lt_u32_e32 vcc_lo, 0xffffff, v183
	v_sub_nc_u32_e32 v162, v43, v45
	v_cndmask_b32_e64 v43, 0, 1, vcc_lo
	v_add_co_ci_u32_e32 v162, vcc_lo, 0, v162, vcc_lo
	s_delay_alu instid0(VALU_DEP_2)
	v_lshrrev_b32_e32 v183, v43, v183
; %bb.5633:                             ;   in Loop: Header=BB4_4876 Depth=3
	s_and_not1_saveexec_b32 s13, s13
; %bb.5634:                             ;   in Loop: Header=BB4_4876 Depth=3
	s_delay_alu instid0(VALU_DEP_1)
	v_bfe_u32 v162, v183, 23, 1
; %bb.5635:                             ;   in Loop: Header=BB4_4876 Depth=3
	s_or_b32 exec_lo, exec_lo, s13
	v_lshrrev_b32_e32 v183, 21, v183
	s_delay_alu instid0(VALU_DEP_2) | instskip(SKIP_2) | instid1(VALU_DEP_3)
	v_min_i32_e32 v43, 31, v162
	v_cmp_gt_i32_e32 vcc_lo, 32, v162
	v_lshrrev_b32_e32 v177, 24, v177
	v_lshlrev_b32_e32 v43, 2, v43
	v_cndmask_b32_e32 v183, 3, v183, vcc_lo
	s_delay_alu instid0(VALU_DEP_3) | instskip(NEXT) | instid1(VALU_DEP_3)
	v_and_b32_e32 v177, 0x80, v177
	v_and_b32_e32 v43, 0xfc, v43
	s_delay_alu instid0(VALU_DEP_3) | instskip(SKIP_1) | instid1(VALU_DEP_2)
	v_and_b32_e32 v45, 3, v183
	v_or_b32_e32 v162, v162, v183
	v_or3_b32 v177, v43, v177, v45
	s_delay_alu instid0(VALU_DEP_2) | instskip(NEXT) | instid1(VALU_DEP_2)
	v_cmp_ne_u32_e32 vcc_lo, 0, v162
	v_cndmask_b32_e32 v162, 0, v177, vcc_lo
.LBB4_5636:                             ;   in Loop: Header=BB4_4876 Depth=3
	s_or_b32 exec_lo, exec_lo, s30
.LBB4_5637:                             ;   in Loop: Header=BB4_4876 Depth=3
	s_delay_alu instid0(SALU_CYCLE_1) | instskip(SKIP_3) | instid1(VALU_DEP_1)
	s_or_b32 exec_lo, exec_lo, s17
	v_lshrrev_b32_e32 v183, 24, v165
	s_mov_b32 s13, 0
	s_mov_b32 s30, exec_lo
                                        ; implicit-def: $sgpr17
	v_cmpx_lt_i16_e64 0x7f, v183
	s_xor_b32 s30, exec_lo, s30
	s_cbranch_execnz .LBB4_6091
; %bb.5638:                             ;   in Loop: Header=BB4_4876 Depth=3
	s_or_saveexec_b32 s30, s30
	v_mov_b32_e32 v177, s17
	s_xor_b32 exec_lo, exec_lo, s30
	s_cbranch_execnz .LBB4_6094
.LBB4_5639:                             ;   in Loop: Header=BB4_4876 Depth=3
	s_or_b32 exec_lo, exec_lo, s30
	s_and_saveexec_b32 s17, s13
	s_cbranch_execz .LBB4_5641
.LBB4_5640:                             ;   in Loop: Header=BB4_4876 Depth=3
	v_bfe_u32 v177, v165, 24, 2
	s_delay_alu instid0(VALU_DEP_1) | instskip(NEXT) | instid1(VALU_DEP_1)
	v_clz_i32_u32_e32 v43, v177
	v_min_u32_e32 v43, 32, v43
	s_delay_alu instid0(VALU_DEP_1) | instskip(SKIP_1) | instid1(VALU_DEP_2)
	v_subrev_nc_u32_e32 v45, 29, v43
	v_sub_nc_u32_e32 v43, 30, v43
	v_lshlrev_b32_e32 v183, v45, v183
	v_bfe_u32 v45, v165, 26, 5
	v_and_b32_e32 v165, 0x80000000, v165
	s_delay_alu instid0(VALU_DEP_3) | instskip(NEXT) | instid1(VALU_DEP_3)
	v_and_b32_e32 v183, 3, v183
	v_cmp_eq_u32_e32 vcc_lo, 0, v45
	v_cndmask_b32_e32 v43, v45, v43, vcc_lo
	s_delay_alu instid0(VALU_DEP_3) | instskip(NEXT) | instid1(VALU_DEP_2)
	v_cndmask_b32_e32 v177, v177, v183, vcc_lo
	v_lshl_add_u32 v183, v43, 23, 0x37800000
	s_delay_alu instid0(VALU_DEP_2) | instskip(NEXT) | instid1(VALU_DEP_1)
	v_lshlrev_b32_e32 v177, 21, v177
	v_or3_b32 v177, v165, v183, v177
.LBB4_5641:                             ;   in Loop: Header=BB4_4876 Depth=3
	s_or_b32 exec_lo, exec_lo, s17
	v_lshrrev_b32_e32 v165, 24, v9
	s_mov_b32 s13, 0
	s_mov_b32 s30, exec_lo
                                        ; implicit-def: $sgpr17
	s_delay_alu instid0(VALU_DEP_1)
	v_cmpx_lt_i16_e64 0x7f, v165
	s_xor_b32 s30, exec_lo, s30
	s_cbranch_execnz .LBB4_6095
; %bb.5642:                             ;   in Loop: Header=BB4_4876 Depth=3
	s_or_saveexec_b32 s30, s30
	v_mov_b32_e32 v183, s17
	s_xor_b32 exec_lo, exec_lo, s30
	s_cbranch_execnz .LBB4_6098
.LBB4_5643:                             ;   in Loop: Header=BB4_4876 Depth=3
	s_or_b32 exec_lo, exec_lo, s30
	s_and_saveexec_b32 s17, s13
	s_cbranch_execz .LBB4_5645
.LBB4_5644:                             ;   in Loop: Header=BB4_4876 Depth=3
	v_bfe_u32 v183, v9, 24, 2
	s_delay_alu instid0(VALU_DEP_1) | instskip(NEXT) | instid1(VALU_DEP_1)
	v_clz_i32_u32_e32 v43, v183
	v_min_u32_e32 v43, 32, v43
	s_delay_alu instid0(VALU_DEP_1) | instskip(SKIP_1) | instid1(VALU_DEP_2)
	v_subrev_nc_u32_e32 v45, 29, v43
	v_sub_nc_u32_e32 v43, 30, v43
	v_lshlrev_b32_e32 v165, v45, v165
	v_bfe_u32 v45, v9, 26, 5
	v_and_b32_e32 v9, 0x80000000, v9
	s_delay_alu instid0(VALU_DEP_3) | instskip(NEXT) | instid1(VALU_DEP_3)
	v_and_b32_e32 v165, 3, v165
	v_cmp_eq_u32_e32 vcc_lo, 0, v45
	v_cndmask_b32_e32 v43, v45, v43, vcc_lo
	s_delay_alu instid0(VALU_DEP_3) | instskip(NEXT) | instid1(VALU_DEP_2)
	v_cndmask_b32_e32 v165, v183, v165, vcc_lo
	v_lshl_add_u32 v183, v43, 23, 0x37800000
	s_delay_alu instid0(VALU_DEP_2) | instskip(NEXT) | instid1(VALU_DEP_1)
	v_lshlrev_b32_e32 v165, 21, v165
	v_or3_b32 v183, v9, v183, v165
.LBB4_5645:                             ;   in Loop: Header=BB4_4876 Depth=3
	s_or_b32 exec_lo, exec_lo, s17
	s_delay_alu instid0(VALU_DEP_1) | instskip(NEXT) | instid1(VALU_DEP_1)
	v_add_f32_e32 v165, v177, v183
	v_and_b32_e32 v9, 0x7f800000, v165
	s_delay_alu instid0(VALU_DEP_1)
	v_cmp_ne_u32_e32 vcc_lo, 0x7f800000, v9
	v_mov_b32_e32 v9, 0x8000
	s_and_saveexec_b32 s17, vcc_lo
	s_cbranch_execz .LBB4_5653
; %bb.5646:                             ;   in Loop: Header=BB4_4876 Depth=3
	v_mov_b32_e32 v9, 0
	s_mov_b32 s30, exec_lo
	v_cmpx_ne_u32_e32 0, v165
	s_cbranch_execz .LBB4_5652
; %bb.5647:                             ;   in Loop: Header=BB4_4876 Depth=3
	v_bfe_u32 v9, v165, 23, 8
	v_and_b32_e32 v177, 0x7fffff, v165
	s_delay_alu instid0(VALU_DEP_2) | instskip(SKIP_1) | instid1(VALU_DEP_3)
	v_sub_nc_u32_e32 v183, 0x70, v9
	v_cmp_gt_u32_e32 vcc_lo, 0x71, v9
	v_or_b32_e32 v43, 0x800000, v177
	s_delay_alu instid0(VALU_DEP_3) | instskip(SKIP_2) | instid1(VALU_DEP_3)
	v_cndmask_b32_e32 v183, 0, v183, vcc_lo
	v_cmp_eq_u32_e32 vcc_lo, 0, v9
	v_add_nc_u32_e32 v9, 0xffffff91, v9
	v_cndmask_b32_e64 v183, v183, 0x6f, vcc_lo
	v_cndmask_b32_e32 v177, v43, v177, vcc_lo
	s_delay_alu instid0(VALU_DEP_3) | instskip(NEXT) | instid1(VALU_DEP_3)
	v_cndmask_b32_e64 v9, v9, 0xffffff92, vcc_lo
	v_lshl_add_u32 v43, 0x200000, v183, -1
	s_delay_alu instid0(VALU_DEP_3) | instskip(SKIP_1) | instid1(VALU_DEP_4)
	v_lshrrev_b32_e32 v45, v183, v177
	v_lshlrev_b32_e64 v47, v183, 0x100000
	v_add_nc_u32_e32 v183, v183, v9
	s_delay_alu instid0(VALU_DEP_4) | instskip(NEXT) | instid1(VALU_DEP_4)
	v_and_b32_e32 v177, v43, v177
	v_bfe_u32 v46, v45, 21, 1
	s_delay_alu instid0(VALU_DEP_2) | instskip(NEXT) | instid1(VALU_DEP_2)
	v_cmp_eq_u32_e64 s13, v177, v47
	v_add_nc_u32_e32 v43, -1, v46
	s_delay_alu instid0(VALU_DEP_1) | instskip(SKIP_2) | instid1(VALU_DEP_2)
	v_cndmask_b32_e64 v177, 0, v43, s13
	v_lshrrev_b32_e32 v43, 23, v45
	s_mov_b32 s13, exec_lo
	v_add_nc_u32_e32 v177, v177, v45
	s_delay_alu instid0(VALU_DEP_2) | instskip(NEXT) | instid1(VALU_DEP_2)
	v_xor_b32_e32 v43, 1, v43
	v_and_b32_e32 v9, 0x1fffff, v177
	s_delay_alu instid0(VALU_DEP_1) | instskip(NEXT) | instid1(VALU_DEP_3)
	v_add_nc_u32_e32 v177, v9, v45
                                        ; implicit-def: $vgpr9
	v_cmpx_ne_u32_e64 v183, v43
	s_xor_b32 s13, exec_lo, s13
; %bb.5648:                             ;   in Loop: Header=BB4_4876 Depth=3
	s_delay_alu instid0(VALU_DEP_2) | instskip(SKIP_2) | instid1(VALU_DEP_2)
	v_cmp_lt_u32_e32 vcc_lo, 0xffffff, v177
	v_sub_nc_u32_e32 v9, v183, v43
	v_cndmask_b32_e64 v183, 0, 1, vcc_lo
	v_add_co_ci_u32_e32 v9, vcc_lo, 0, v9, vcc_lo
	s_delay_alu instid0(VALU_DEP_2)
	v_lshrrev_b32_e32 v177, v183, v177
; %bb.5649:                             ;   in Loop: Header=BB4_4876 Depth=3
	s_and_not1_saveexec_b32 s13, s13
; %bb.5650:                             ;   in Loop: Header=BB4_4876 Depth=3
	s_delay_alu instid0(VALU_DEP_1)
	v_bfe_u32 v9, v177, 23, 1
; %bb.5651:                             ;   in Loop: Header=BB4_4876 Depth=3
	s_or_b32 exec_lo, exec_lo, s13
	v_lshrrev_b32_e32 v177, 21, v177
	s_delay_alu instid0(VALU_DEP_2) | instskip(SKIP_2) | instid1(VALU_DEP_3)
	v_min_i32_e32 v183, 31, v9
	v_cmp_gt_i32_e32 vcc_lo, 32, v9
	v_lshrrev_b32_e32 v165, 24, v165
	v_lshlrev_b32_e32 v183, 2, v183
	v_cndmask_b32_e32 v177, 3, v177, vcc_lo
	s_delay_alu instid0(VALU_DEP_3) | instskip(NEXT) | instid1(VALU_DEP_3)
	v_and_b32_e32 v165, 0x80, v165
	v_and_b32_e32 v183, 0xfc, v183
	s_delay_alu instid0(VALU_DEP_3) | instskip(SKIP_1) | instid1(VALU_DEP_2)
	v_and_b32_e32 v43, 3, v177
	v_or_b32_e32 v9, v9, v177
	v_or3_b32 v165, v165, v183, v43
	s_delay_alu instid0(VALU_DEP_2) | instskip(NEXT) | instid1(VALU_DEP_2)
	v_cmp_ne_u32_e32 vcc_lo, 0, v9
	v_lshlrev_b32_e32 v165, 8, v165
	s_delay_alu instid0(VALU_DEP_1)
	v_cndmask_b32_e32 v9, 0, v165, vcc_lo
.LBB4_5652:                             ;   in Loop: Header=BB4_4876 Depth=3
	s_or_b32 exec_lo, exec_lo, s30
.LBB4_5653:                             ;   in Loop: Header=BB4_4876 Depth=3
	s_delay_alu instid0(SALU_CYCLE_1) | instskip(SKIP_3) | instid1(VALU_DEP_1)
	s_or_b32 exec_lo, exec_lo, s17
	v_and_b32_e32 v177, 0xff, v160
	s_mov_b32 s13, 0
	s_mov_b32 s30, exec_lo
                                        ; implicit-def: $sgpr17
	v_cmpx_lt_i16_e64 0x7f, v177
	s_xor_b32 s30, exec_lo, s30
	s_cbranch_execnz .LBB4_6099
; %bb.5654:                             ;   in Loop: Header=BB4_4876 Depth=3
	s_or_saveexec_b32 s30, s30
	v_mov_b32_e32 v165, s17
	s_xor_b32 exec_lo, exec_lo, s30
	s_cbranch_execnz .LBB4_6102
.LBB4_5655:                             ;   in Loop: Header=BB4_4876 Depth=3
	s_or_b32 exec_lo, exec_lo, s30
	s_and_saveexec_b32 s17, s13
	s_cbranch_execz .LBB4_5657
.LBB4_5656:                             ;   in Loop: Header=BB4_4876 Depth=3
	v_and_b32_e32 v165, 3, v160
	v_bfe_u32 v43, v160, 2, 5
	s_delay_alu instid0(VALU_DEP_2) | instskip(NEXT) | instid1(VALU_DEP_2)
	v_clz_i32_u32_e32 v177, v165
	v_cmp_eq_u32_e32 vcc_lo, 0, v43
	s_delay_alu instid0(VALU_DEP_2) | instskip(NEXT) | instid1(VALU_DEP_1)
	v_min_u32_e32 v177, 32, v177
	v_subrev_nc_u32_e32 v183, 29, v177
	v_sub_nc_u32_e32 v177, 30, v177
	s_delay_alu instid0(VALU_DEP_2) | instskip(NEXT) | instid1(VALU_DEP_2)
	v_lshlrev_b32_e32 v183, v183, v160
	v_dual_cndmask_b32 v177, v43, v177 :: v_dual_lshlrev_b32 v160, 24, v160
	s_delay_alu instid0(VALU_DEP_2) | instskip(NEXT) | instid1(VALU_DEP_2)
	v_and_b32_e32 v183, 3, v183
	v_and_b32_e32 v160, 0x80000000, v160
	s_delay_alu instid0(VALU_DEP_3) | instskip(NEXT) | instid1(VALU_DEP_3)
	v_lshl_add_u32 v177, v177, 23, 0x37800000
	v_cndmask_b32_e32 v165, v165, v183, vcc_lo
	s_delay_alu instid0(VALU_DEP_1) | instskip(NEXT) | instid1(VALU_DEP_1)
	v_lshlrev_b32_e32 v165, 21, v165
	v_or3_b32 v165, v160, v177, v165
.LBB4_5657:                             ;   in Loop: Header=BB4_4876 Depth=3
	s_or_b32 exec_lo, exec_lo, s17
	v_and_b32_e32 v177, 0xff, v10
	s_mov_b32 s13, 0
	s_mov_b32 s30, exec_lo
                                        ; implicit-def: $sgpr17
	s_delay_alu instid0(VALU_DEP_1)
	v_cmpx_lt_i16_e64 0x7f, v177
	s_xor_b32 s30, exec_lo, s30
	s_cbranch_execnz .LBB4_6103
; %bb.5658:                             ;   in Loop: Header=BB4_4876 Depth=3
	s_or_saveexec_b32 s30, s30
	v_mov_b32_e32 v160, s17
	s_xor_b32 exec_lo, exec_lo, s30
	s_cbranch_execnz .LBB4_6106
.LBB4_5659:                             ;   in Loop: Header=BB4_4876 Depth=3
	s_or_b32 exec_lo, exec_lo, s30
	s_and_saveexec_b32 s17, s13
	s_cbranch_execz .LBB4_5661
.LBB4_5660:                             ;   in Loop: Header=BB4_4876 Depth=3
	v_bfe_u32 v43, v10, 2, 5
	s_delay_alu instid0(VALU_DEP_1) | instskip(SKIP_1) | instid1(VALU_DEP_1)
	v_cmp_eq_u32_e32 vcc_lo, 0, v43
	v_and_b32_e32 v160, 3, v10
	v_clz_i32_u32_e32 v177, v160
	s_delay_alu instid0(VALU_DEP_1) | instskip(NEXT) | instid1(VALU_DEP_1)
	v_min_u32_e32 v177, 32, v177
	v_subrev_nc_u32_e32 v183, 29, v177
	v_sub_nc_u32_e32 v177, 30, v177
	s_delay_alu instid0(VALU_DEP_2) | instskip(NEXT) | instid1(VALU_DEP_2)
	v_lshlrev_b32_e32 v183, v183, v10
	v_cndmask_b32_e32 v177, v43, v177, vcc_lo
	s_delay_alu instid0(VALU_DEP_2) | instskip(SKIP_1) | instid1(VALU_DEP_3)
	v_and_b32_e32 v183, 3, v183
	v_lshlrev_b32_e32 v45, 24, v10
	v_lshl_add_u32 v177, v177, 23, 0x37800000
	s_delay_alu instid0(VALU_DEP_2) | instskip(NEXT) | instid1(VALU_DEP_1)
	v_dual_cndmask_b32 v160, v160, v183 :: v_dual_and_b32 v183, 0x80000000, v45
	v_lshlrev_b32_e32 v160, 21, v160
	s_delay_alu instid0(VALU_DEP_1)
	v_or3_b32 v160, v183, v177, v160
.LBB4_5661:                             ;   in Loop: Header=BB4_4876 Depth=3
	s_or_b32 exec_lo, exec_lo, s17
	s_delay_alu instid0(VALU_DEP_1) | instskip(NEXT) | instid1(VALU_DEP_1)
	v_add_f32_e32 v165, v165, v160
	v_and_b32_e32 v160, 0x7f800000, v165
	s_delay_alu instid0(VALU_DEP_1)
	v_cmp_ne_u32_e32 vcc_lo, 0x7f800000, v160
	v_mov_b32_e32 v160, 0x80
	s_and_saveexec_b32 s17, vcc_lo
	s_cbranch_execz .LBB4_5669
; %bb.5662:                             ;   in Loop: Header=BB4_4876 Depth=3
	v_mov_b32_e32 v160, 0
	s_mov_b32 s30, exec_lo
	v_cmpx_ne_u32_e32 0, v165
	s_cbranch_execz .LBB4_5668
; %bb.5663:                             ;   in Loop: Header=BB4_4876 Depth=3
	v_bfe_u32 v160, v165, 23, 8
	v_and_b32_e32 v177, 0x7fffff, v165
	s_delay_alu instid0(VALU_DEP_2) | instskip(SKIP_1) | instid1(VALU_DEP_3)
	v_sub_nc_u32_e32 v183, 0x70, v160
	v_cmp_gt_u32_e32 vcc_lo, 0x71, v160
	v_or_b32_e32 v43, 0x800000, v177
	s_delay_alu instid0(VALU_DEP_3) | instskip(SKIP_2) | instid1(VALU_DEP_3)
	v_cndmask_b32_e32 v183, 0, v183, vcc_lo
	v_cmp_eq_u32_e32 vcc_lo, 0, v160
	v_add_nc_u32_e32 v160, 0xffffff91, v160
	v_cndmask_b32_e64 v183, v183, 0x6f, vcc_lo
	v_cndmask_b32_e32 v177, v43, v177, vcc_lo
	s_delay_alu instid0(VALU_DEP_3) | instskip(NEXT) | instid1(VALU_DEP_3)
	v_cndmask_b32_e64 v160, v160, 0xffffff92, vcc_lo
	v_lshl_add_u32 v43, 0x200000, v183, -1
	s_delay_alu instid0(VALU_DEP_3) | instskip(SKIP_1) | instid1(VALU_DEP_4)
	v_lshrrev_b32_e32 v45, v183, v177
	v_lshlrev_b32_e64 v47, v183, 0x100000
	v_add_nc_u32_e32 v183, v183, v160
	s_delay_alu instid0(VALU_DEP_4) | instskip(NEXT) | instid1(VALU_DEP_4)
	v_and_b32_e32 v177, v43, v177
	v_bfe_u32 v46, v45, 21, 1
	s_delay_alu instid0(VALU_DEP_2) | instskip(NEXT) | instid1(VALU_DEP_2)
	v_cmp_eq_u32_e64 s13, v177, v47
	v_add_nc_u32_e32 v43, -1, v46
	s_delay_alu instid0(VALU_DEP_1) | instskip(SKIP_2) | instid1(VALU_DEP_2)
	v_cndmask_b32_e64 v177, 0, v43, s13
	v_lshrrev_b32_e32 v43, 23, v45
	s_mov_b32 s13, exec_lo
	v_add_nc_u32_e32 v177, v177, v45
	s_delay_alu instid0(VALU_DEP_2) | instskip(NEXT) | instid1(VALU_DEP_2)
	v_xor_b32_e32 v43, 1, v43
	v_and_b32_e32 v160, 0x1fffff, v177
	s_delay_alu instid0(VALU_DEP_1) | instskip(NEXT) | instid1(VALU_DEP_3)
	v_add_nc_u32_e32 v177, v160, v45
                                        ; implicit-def: $vgpr160
	v_cmpx_ne_u32_e64 v183, v43
	s_xor_b32 s13, exec_lo, s13
; %bb.5664:                             ;   in Loop: Header=BB4_4876 Depth=3
	s_delay_alu instid0(VALU_DEP_2) | instskip(SKIP_2) | instid1(VALU_DEP_2)
	v_cmp_lt_u32_e32 vcc_lo, 0xffffff, v177
	v_sub_nc_u32_e32 v160, v183, v43
	v_cndmask_b32_e64 v183, 0, 1, vcc_lo
	v_add_co_ci_u32_e32 v160, vcc_lo, 0, v160, vcc_lo
	s_delay_alu instid0(VALU_DEP_2)
	v_lshrrev_b32_e32 v177, v183, v177
; %bb.5665:                             ;   in Loop: Header=BB4_4876 Depth=3
	s_and_not1_saveexec_b32 s13, s13
; %bb.5666:                             ;   in Loop: Header=BB4_4876 Depth=3
	s_delay_alu instid0(VALU_DEP_1)
	v_bfe_u32 v160, v177, 23, 1
; %bb.5667:                             ;   in Loop: Header=BB4_4876 Depth=3
	s_or_b32 exec_lo, exec_lo, s13
	v_lshrrev_b32_e32 v177, 21, v177
	s_delay_alu instid0(VALU_DEP_2) | instskip(SKIP_2) | instid1(VALU_DEP_4)
	v_cmp_gt_i32_e32 vcc_lo, 32, v160
	v_lshrrev_b32_e32 v165, 24, v165
	v_min_i32_e32 v183, 31, v160
	v_cndmask_b32_e32 v177, 3, v177, vcc_lo
	s_delay_alu instid0(VALU_DEP_3) | instskip(NEXT) | instid1(VALU_DEP_2)
	v_and_b32_e32 v165, 0x80, v165
	v_or_b32_e32 v160, v160, v177
	v_and_b32_e32 v43, 3, v177
	s_delay_alu instid0(VALU_DEP_2) | instskip(SKIP_1) | instid1(VALU_DEP_1)
	v_cmp_ne_u32_e32 vcc_lo, 0, v160
	v_lshlrev_b32_e32 v183, 2, v183
	v_or3_b32 v165, v183, v165, v43
	s_delay_alu instid0(VALU_DEP_1)
	v_cndmask_b32_e32 v160, 0, v165, vcc_lo
.LBB4_5668:                             ;   in Loop: Header=BB4_4876 Depth=3
	s_or_b32 exec_lo, exec_lo, s30
.LBB4_5669:                             ;   in Loop: Header=BB4_4876 Depth=3
	s_delay_alu instid0(SALU_CYCLE_1) | instskip(SKIP_3) | instid1(VALU_DEP_1)
	s_or_b32 exec_lo, exec_lo, s17
	v_and_b32_e32 v177, 0xff, v150
	s_mov_b32 s13, 0
	s_mov_b32 s30, exec_lo
                                        ; implicit-def: $sgpr17
	v_cmpx_lt_i16_e64 0x7f, v177
	s_xor_b32 s30, exec_lo, s30
	s_cbranch_execnz .LBB4_6107
; %bb.5670:                             ;   in Loop: Header=BB4_4876 Depth=3
	s_or_saveexec_b32 s30, s30
	v_mov_b32_e32 v165, s17
	s_xor_b32 exec_lo, exec_lo, s30
	s_cbranch_execnz .LBB4_6110
.LBB4_5671:                             ;   in Loop: Header=BB4_4876 Depth=3
	s_or_b32 exec_lo, exec_lo, s30
	s_and_saveexec_b32 s17, s13
	s_cbranch_execz .LBB4_5673
.LBB4_5672:                             ;   in Loop: Header=BB4_4876 Depth=3
	v_and_b32_e32 v165, 3, v150
	v_bfe_u32 v43, v150, 2, 5
	s_delay_alu instid0(VALU_DEP_2) | instskip(NEXT) | instid1(VALU_DEP_2)
	v_clz_i32_u32_e32 v177, v165
	v_cmp_eq_u32_e32 vcc_lo, 0, v43
	s_delay_alu instid0(VALU_DEP_2) | instskip(NEXT) | instid1(VALU_DEP_1)
	v_min_u32_e32 v177, 32, v177
	v_subrev_nc_u32_e32 v183, 29, v177
	v_sub_nc_u32_e32 v177, 30, v177
	s_delay_alu instid0(VALU_DEP_2) | instskip(NEXT) | instid1(VALU_DEP_2)
	v_lshlrev_b32_e32 v183, v183, v150
	v_dual_cndmask_b32 v177, v43, v177 :: v_dual_lshlrev_b32 v150, 24, v150
	s_delay_alu instid0(VALU_DEP_2) | instskip(NEXT) | instid1(VALU_DEP_2)
	v_and_b32_e32 v183, 3, v183
	v_and_b32_e32 v150, 0x80000000, v150
	s_delay_alu instid0(VALU_DEP_3) | instskip(NEXT) | instid1(VALU_DEP_3)
	v_lshl_add_u32 v177, v177, 23, 0x37800000
	v_cndmask_b32_e32 v165, v165, v183, vcc_lo
	s_delay_alu instid0(VALU_DEP_1) | instskip(NEXT) | instid1(VALU_DEP_1)
	v_lshlrev_b32_e32 v165, 21, v165
	v_or3_b32 v165, v150, v177, v165
.LBB4_5673:                             ;   in Loop: Header=BB4_4876 Depth=3
	s_or_b32 exec_lo, exec_lo, s17
	v_lshrrev_b16 v150, 8, v10
	s_mov_b32 s13, 0
	s_mov_b32 s30, exec_lo
                                        ; implicit-def: $sgpr17
	s_delay_alu instid0(VALU_DEP_1)
	v_cmpx_lt_i16_e64 0x7f, v150
	s_xor_b32 s30, exec_lo, s30
	s_cbranch_execnz .LBB4_6111
; %bb.5674:                             ;   in Loop: Header=BB4_4876 Depth=3
	s_or_saveexec_b32 s30, s30
	v_mov_b32_e32 v177, s17
	s_xor_b32 exec_lo, exec_lo, s30
	s_cbranch_execnz .LBB4_6114
.LBB4_5675:                             ;   in Loop: Header=BB4_4876 Depth=3
	s_or_b32 exec_lo, exec_lo, s30
	s_and_saveexec_b32 s17, s13
	s_cbranch_execz .LBB4_5677
.LBB4_5676:                             ;   in Loop: Header=BB4_4876 Depth=3
	v_and_b32_e32 v177, 0xffff, v150
	s_delay_alu instid0(VALU_DEP_1) | instskip(NEXT) | instid1(VALU_DEP_1)
	v_and_b32_e32 v183, 3, v177
	v_clz_i32_u32_e32 v43, v183
	s_delay_alu instid0(VALU_DEP_1) | instskip(NEXT) | instid1(VALU_DEP_1)
	v_min_u32_e32 v43, 32, v43
	v_subrev_nc_u32_e32 v45, 29, v43
	v_sub_nc_u32_e32 v43, 30, v43
	s_delay_alu instid0(VALU_DEP_2) | instskip(SKIP_1) | instid1(VALU_DEP_2)
	v_lshlrev_b32_e32 v45, v45, v177
	v_bfe_u32 v177, v177, 2, 5
	v_and_b32_e32 v45, 3, v45
	s_delay_alu instid0(VALU_DEP_2) | instskip(SKIP_1) | instid1(VALU_DEP_1)
	v_cmp_eq_u32_e32 vcc_lo, 0, v177
	v_dual_cndmask_b32 v177, v177, v43 :: v_dual_lshlrev_b32 v150, 24, v150
	v_dual_cndmask_b32 v183, v183, v45 :: v_dual_and_b32 v150, 0x80000000, v150
	s_delay_alu instid0(VALU_DEP_2) | instskip(NEXT) | instid1(VALU_DEP_2)
	v_lshl_add_u32 v177, v177, 23, 0x37800000
	v_lshlrev_b32_e32 v183, 21, v183
	s_delay_alu instid0(VALU_DEP_1)
	v_or3_b32 v177, v150, v177, v183
.LBB4_5677:                             ;   in Loop: Header=BB4_4876 Depth=3
	s_or_b32 exec_lo, exec_lo, s17
	s_delay_alu instid0(VALU_DEP_1) | instskip(NEXT) | instid1(VALU_DEP_1)
	v_add_f32_e32 v165, v165, v177
	v_and_b32_e32 v150, 0x7f800000, v165
	s_delay_alu instid0(VALU_DEP_1)
	v_cmp_ne_u32_e32 vcc_lo, 0x7f800000, v150
	v_mov_b32_e32 v150, 0x80
	s_and_saveexec_b32 s17, vcc_lo
	s_cbranch_execz .LBB4_5685
; %bb.5678:                             ;   in Loop: Header=BB4_4876 Depth=3
	v_mov_b32_e32 v150, 0
	s_mov_b32 s30, exec_lo
	v_cmpx_ne_u32_e32 0, v165
	s_cbranch_execz .LBB4_5684
; %bb.5679:                             ;   in Loop: Header=BB4_4876 Depth=3
	v_bfe_u32 v150, v165, 23, 8
	v_and_b32_e32 v177, 0x7fffff, v165
	s_delay_alu instid0(VALU_DEP_2) | instskip(SKIP_1) | instid1(VALU_DEP_3)
	v_sub_nc_u32_e32 v183, 0x70, v150
	v_cmp_gt_u32_e32 vcc_lo, 0x71, v150
	v_or_b32_e32 v43, 0x800000, v177
	s_delay_alu instid0(VALU_DEP_3) | instskip(SKIP_2) | instid1(VALU_DEP_3)
	v_cndmask_b32_e32 v183, 0, v183, vcc_lo
	v_cmp_eq_u32_e32 vcc_lo, 0, v150
	v_add_nc_u32_e32 v150, 0xffffff91, v150
	v_cndmask_b32_e64 v183, v183, 0x6f, vcc_lo
	v_cndmask_b32_e32 v177, v43, v177, vcc_lo
	s_delay_alu instid0(VALU_DEP_3) | instskip(NEXT) | instid1(VALU_DEP_3)
	v_cndmask_b32_e64 v150, v150, 0xffffff92, vcc_lo
	v_lshl_add_u32 v43, 0x200000, v183, -1
	s_delay_alu instid0(VALU_DEP_3) | instskip(SKIP_1) | instid1(VALU_DEP_4)
	v_lshrrev_b32_e32 v45, v183, v177
	v_lshlrev_b32_e64 v47, v183, 0x100000
	v_add_nc_u32_e32 v183, v183, v150
	s_delay_alu instid0(VALU_DEP_4) | instskip(NEXT) | instid1(VALU_DEP_4)
	v_and_b32_e32 v177, v43, v177
	v_bfe_u32 v46, v45, 21, 1
	s_delay_alu instid0(VALU_DEP_2) | instskip(NEXT) | instid1(VALU_DEP_2)
	v_cmp_eq_u32_e64 s13, v177, v47
	v_add_nc_u32_e32 v43, -1, v46
	s_delay_alu instid0(VALU_DEP_1) | instskip(SKIP_2) | instid1(VALU_DEP_2)
	v_cndmask_b32_e64 v177, 0, v43, s13
	v_lshrrev_b32_e32 v43, 23, v45
	s_mov_b32 s13, exec_lo
	v_add_nc_u32_e32 v177, v177, v45
	s_delay_alu instid0(VALU_DEP_2) | instskip(NEXT) | instid1(VALU_DEP_2)
	v_xor_b32_e32 v43, 1, v43
	v_and_b32_e32 v150, 0x1fffff, v177
	s_delay_alu instid0(VALU_DEP_1) | instskip(NEXT) | instid1(VALU_DEP_3)
	v_add_nc_u32_e32 v177, v150, v45
                                        ; implicit-def: $vgpr150
	v_cmpx_ne_u32_e64 v183, v43
	s_xor_b32 s13, exec_lo, s13
; %bb.5680:                             ;   in Loop: Header=BB4_4876 Depth=3
	s_delay_alu instid0(VALU_DEP_2) | instskip(SKIP_2) | instid1(VALU_DEP_2)
	v_cmp_lt_u32_e32 vcc_lo, 0xffffff, v177
	v_sub_nc_u32_e32 v150, v183, v43
	v_cndmask_b32_e64 v183, 0, 1, vcc_lo
	v_add_co_ci_u32_e32 v150, vcc_lo, 0, v150, vcc_lo
	s_delay_alu instid0(VALU_DEP_2)
	v_lshrrev_b32_e32 v177, v183, v177
; %bb.5681:                             ;   in Loop: Header=BB4_4876 Depth=3
	s_and_not1_saveexec_b32 s13, s13
; %bb.5682:                             ;   in Loop: Header=BB4_4876 Depth=3
	s_delay_alu instid0(VALU_DEP_1)
	v_bfe_u32 v150, v177, 23, 1
; %bb.5683:                             ;   in Loop: Header=BB4_4876 Depth=3
	s_or_b32 exec_lo, exec_lo, s13
	v_lshrrev_b32_e32 v177, 21, v177
	s_delay_alu instid0(VALU_DEP_2) | instskip(SKIP_2) | instid1(VALU_DEP_4)
	v_cmp_gt_i32_e32 vcc_lo, 32, v150
	v_lshrrev_b32_e32 v165, 24, v165
	v_min_i32_e32 v183, 31, v150
	v_cndmask_b32_e32 v177, 3, v177, vcc_lo
	s_delay_alu instid0(VALU_DEP_3) | instskip(NEXT) | instid1(VALU_DEP_2)
	v_and_b32_e32 v165, 0x80, v165
	v_or_b32_e32 v150, v150, v177
	v_and_b32_e32 v43, 3, v177
	s_delay_alu instid0(VALU_DEP_2) | instskip(SKIP_1) | instid1(VALU_DEP_1)
	v_cmp_ne_u32_e32 vcc_lo, 0, v150
	v_lshlrev_b32_e32 v183, 2, v183
	v_or3_b32 v165, v183, v165, v43
	s_delay_alu instid0(VALU_DEP_1)
	v_cndmask_b32_e32 v150, 0, v165, vcc_lo
.LBB4_5684:                             ;   in Loop: Header=BB4_4876 Depth=3
	s_or_b32 exec_lo, exec_lo, s30
.LBB4_5685:                             ;   in Loop: Header=BB4_4876 Depth=3
	s_delay_alu instid0(SALU_CYCLE_1) | instskip(SKIP_3) | instid1(VALU_DEP_1)
	s_or_b32 exec_lo, exec_lo, s17
	v_and_b32_e32 v177, 0xff, v149
	s_mov_b32 s13, 0
	s_mov_b32 s30, exec_lo
                                        ; implicit-def: $sgpr17
	v_cmpx_lt_i16_e64 0x7f, v177
	s_xor_b32 s30, exec_lo, s30
	s_cbranch_execnz .LBB4_6115
; %bb.5686:                             ;   in Loop: Header=BB4_4876 Depth=3
	s_or_saveexec_b32 s30, s30
	v_mov_b32_e32 v165, s17
	s_xor_b32 exec_lo, exec_lo, s30
	s_cbranch_execnz .LBB4_6118
.LBB4_5687:                             ;   in Loop: Header=BB4_4876 Depth=3
	s_or_b32 exec_lo, exec_lo, s30
	s_and_saveexec_b32 s17, s13
	s_cbranch_execz .LBB4_5689
.LBB4_5688:                             ;   in Loop: Header=BB4_4876 Depth=3
	v_and_b32_e32 v165, 3, v149
	v_bfe_u32 v43, v149, 2, 5
	s_delay_alu instid0(VALU_DEP_2) | instskip(NEXT) | instid1(VALU_DEP_2)
	v_clz_i32_u32_e32 v177, v165
	v_cmp_eq_u32_e32 vcc_lo, 0, v43
	s_delay_alu instid0(VALU_DEP_2) | instskip(NEXT) | instid1(VALU_DEP_1)
	v_min_u32_e32 v177, 32, v177
	v_subrev_nc_u32_e32 v183, 29, v177
	v_sub_nc_u32_e32 v177, 30, v177
	s_delay_alu instid0(VALU_DEP_2) | instskip(SKIP_1) | instid1(VALU_DEP_3)
	v_lshlrev_b32_e32 v183, v183, v149
	v_lshlrev_b32_e32 v149, 24, v149
	v_cndmask_b32_e32 v177, v43, v177, vcc_lo
	s_delay_alu instid0(VALU_DEP_3) | instskip(NEXT) | instid1(VALU_DEP_3)
	v_and_b32_e32 v183, 3, v183
	v_and_b32_e32 v149, 0x80000000, v149
	s_delay_alu instid0(VALU_DEP_3) | instskip(NEXT) | instid1(VALU_DEP_3)
	v_lshl_add_u32 v177, v177, 23, 0x37800000
	v_cndmask_b32_e32 v165, v165, v183, vcc_lo
	s_delay_alu instid0(VALU_DEP_1) | instskip(NEXT) | instid1(VALU_DEP_1)
	v_lshlrev_b32_e32 v165, 21, v165
	v_or3_b32 v165, v149, v177, v165
.LBB4_5689:                             ;   in Loop: Header=BB4_4876 Depth=3
	s_or_b32 exec_lo, exec_lo, s17
	v_lshrrev_b32_e32 v149, 16, v10
	s_mov_b32 s13, 0
	s_mov_b32 s30, exec_lo
                                        ; implicit-def: $sgpr17
	s_delay_alu instid0(VALU_DEP_1) | instskip(NEXT) | instid1(VALU_DEP_1)
	v_and_b32_e32 v183, 0xff, v149
	v_cmpx_lt_i16_e64 0x7f, v183
	s_xor_b32 s30, exec_lo, s30
	s_cbranch_execnz .LBB4_6119
; %bb.5690:                             ;   in Loop: Header=BB4_4876 Depth=3
	s_or_saveexec_b32 s30, s30
	v_mov_b32_e32 v177, s17
	s_xor_b32 exec_lo, exec_lo, s30
	s_cbranch_execnz .LBB4_6122
.LBB4_5691:                             ;   in Loop: Header=BB4_4876 Depth=3
	s_or_b32 exec_lo, exec_lo, s30
	s_and_saveexec_b32 s17, s13
	s_cbranch_execz .LBB4_5693
.LBB4_5692:                             ;   in Loop: Header=BB4_4876 Depth=3
	v_bfe_u32 v177, v10, 16, 2
	v_lshlrev_b32_e32 v45, 8, v10
	s_delay_alu instid0(VALU_DEP_2) | instskip(NEXT) | instid1(VALU_DEP_1)
	v_clz_i32_u32_e32 v183, v177
	v_min_u32_e32 v183, 32, v183
	s_delay_alu instid0(VALU_DEP_1) | instskip(SKIP_1) | instid1(VALU_DEP_2)
	v_subrev_nc_u32_e32 v43, 29, v183
	v_sub_nc_u32_e32 v183, 30, v183
	v_lshlrev_b32_e32 v149, v43, v149
	v_bfe_u32 v43, v10, 18, 5
	s_delay_alu instid0(VALU_DEP_2) | instskip(NEXT) | instid1(VALU_DEP_2)
	v_and_b32_e32 v149, 3, v149
	v_cmp_eq_u32_e32 vcc_lo, 0, v43
	v_cndmask_b32_e32 v183, v43, v183, vcc_lo
	s_delay_alu instid0(VALU_DEP_3) | instskip(SKIP_1) | instid1(VALU_DEP_3)
	v_cndmask_b32_e32 v149, v177, v149, vcc_lo
	v_and_b32_e32 v177, 0x80000000, v45
	v_lshl_add_u32 v183, v183, 23, 0x37800000
	s_delay_alu instid0(VALU_DEP_3) | instskip(NEXT) | instid1(VALU_DEP_1)
	v_lshlrev_b32_e32 v149, 21, v149
	v_or3_b32 v177, v177, v183, v149
.LBB4_5693:                             ;   in Loop: Header=BB4_4876 Depth=3
	s_or_b32 exec_lo, exec_lo, s17
	s_delay_alu instid0(VALU_DEP_1) | instskip(NEXT) | instid1(VALU_DEP_1)
	v_add_f32_e32 v165, v165, v177
	v_and_b32_e32 v149, 0x7f800000, v165
	s_delay_alu instid0(VALU_DEP_1)
	v_cmp_ne_u32_e32 vcc_lo, 0x7f800000, v149
	v_mov_b32_e32 v149, 0x80
	s_and_saveexec_b32 s17, vcc_lo
	s_cbranch_execz .LBB4_5701
; %bb.5694:                             ;   in Loop: Header=BB4_4876 Depth=3
	v_mov_b32_e32 v149, 0
	s_mov_b32 s30, exec_lo
	v_cmpx_ne_u32_e32 0, v165
	s_cbranch_execz .LBB4_5700
; %bb.5695:                             ;   in Loop: Header=BB4_4876 Depth=3
	v_bfe_u32 v149, v165, 23, 8
	v_and_b32_e32 v177, 0x7fffff, v165
	s_delay_alu instid0(VALU_DEP_2) | instskip(SKIP_1) | instid1(VALU_DEP_3)
	v_sub_nc_u32_e32 v183, 0x70, v149
	v_cmp_gt_u32_e32 vcc_lo, 0x71, v149
	v_or_b32_e32 v43, 0x800000, v177
	s_delay_alu instid0(VALU_DEP_3) | instskip(SKIP_2) | instid1(VALU_DEP_3)
	v_cndmask_b32_e32 v183, 0, v183, vcc_lo
	v_cmp_eq_u32_e32 vcc_lo, 0, v149
	v_add_nc_u32_e32 v149, 0xffffff91, v149
	v_cndmask_b32_e64 v183, v183, 0x6f, vcc_lo
	v_cndmask_b32_e32 v177, v43, v177, vcc_lo
	s_delay_alu instid0(VALU_DEP_3) | instskip(NEXT) | instid1(VALU_DEP_3)
	v_cndmask_b32_e64 v149, v149, 0xffffff92, vcc_lo
	v_lshl_add_u32 v43, 0x200000, v183, -1
	s_delay_alu instid0(VALU_DEP_3) | instskip(SKIP_1) | instid1(VALU_DEP_4)
	v_lshrrev_b32_e32 v45, v183, v177
	v_lshlrev_b32_e64 v47, v183, 0x100000
	v_add_nc_u32_e32 v183, v183, v149
	s_delay_alu instid0(VALU_DEP_4) | instskip(NEXT) | instid1(VALU_DEP_4)
	v_and_b32_e32 v177, v43, v177
	v_bfe_u32 v46, v45, 21, 1
	s_delay_alu instid0(VALU_DEP_2) | instskip(NEXT) | instid1(VALU_DEP_2)
	v_cmp_eq_u32_e64 s13, v177, v47
	v_add_nc_u32_e32 v43, -1, v46
	s_delay_alu instid0(VALU_DEP_1) | instskip(SKIP_2) | instid1(VALU_DEP_2)
	v_cndmask_b32_e64 v177, 0, v43, s13
	v_lshrrev_b32_e32 v43, 23, v45
	s_mov_b32 s13, exec_lo
	v_add_nc_u32_e32 v177, v177, v45
	s_delay_alu instid0(VALU_DEP_2) | instskip(NEXT) | instid1(VALU_DEP_2)
	v_xor_b32_e32 v43, 1, v43
	v_and_b32_e32 v149, 0x1fffff, v177
	s_delay_alu instid0(VALU_DEP_1) | instskip(NEXT) | instid1(VALU_DEP_3)
	v_add_nc_u32_e32 v177, v149, v45
                                        ; implicit-def: $vgpr149
	v_cmpx_ne_u32_e64 v183, v43
	s_xor_b32 s13, exec_lo, s13
; %bb.5696:                             ;   in Loop: Header=BB4_4876 Depth=3
	s_delay_alu instid0(VALU_DEP_2) | instskip(SKIP_2) | instid1(VALU_DEP_2)
	v_cmp_lt_u32_e32 vcc_lo, 0xffffff, v177
	v_sub_nc_u32_e32 v149, v183, v43
	v_cndmask_b32_e64 v183, 0, 1, vcc_lo
	v_add_co_ci_u32_e32 v149, vcc_lo, 0, v149, vcc_lo
	s_delay_alu instid0(VALU_DEP_2)
	v_lshrrev_b32_e32 v177, v183, v177
; %bb.5697:                             ;   in Loop: Header=BB4_4876 Depth=3
	s_and_not1_saveexec_b32 s13, s13
; %bb.5698:                             ;   in Loop: Header=BB4_4876 Depth=3
	s_delay_alu instid0(VALU_DEP_1)
	v_bfe_u32 v149, v177, 23, 1
; %bb.5699:                             ;   in Loop: Header=BB4_4876 Depth=3
	s_or_b32 exec_lo, exec_lo, s13
	v_lshrrev_b32_e32 v177, 21, v177
	s_delay_alu instid0(VALU_DEP_2) | instskip(SKIP_2) | instid1(VALU_DEP_4)
	v_cmp_gt_i32_e32 vcc_lo, 32, v149
	v_lshrrev_b32_e32 v165, 24, v165
	v_min_i32_e32 v183, 31, v149
	v_cndmask_b32_e32 v177, 3, v177, vcc_lo
	s_delay_alu instid0(VALU_DEP_3) | instskip(NEXT) | instid1(VALU_DEP_3)
	v_and_b32_e32 v165, 0x80, v165
	v_lshlrev_b32_e32 v183, 2, v183
	s_delay_alu instid0(VALU_DEP_3) | instskip(SKIP_1) | instid1(VALU_DEP_2)
	v_and_b32_e32 v43, 3, v177
	v_or_b32_e32 v149, v149, v177
	v_or3_b32 v165, v183, v165, v43
	s_delay_alu instid0(VALU_DEP_2) | instskip(NEXT) | instid1(VALU_DEP_2)
	v_cmp_ne_u32_e32 vcc_lo, 0, v149
	v_cndmask_b32_e32 v149, 0, v165, vcc_lo
.LBB4_5700:                             ;   in Loop: Header=BB4_4876 Depth=3
	s_or_b32 exec_lo, exec_lo, s30
.LBB4_5701:                             ;   in Loop: Header=BB4_4876 Depth=3
	s_delay_alu instid0(SALU_CYCLE_1) | instskip(SKIP_3) | instid1(VALU_DEP_1)
	s_or_b32 exec_lo, exec_lo, s17
	v_and_b32_e32 v177, 0xff, v146
	s_mov_b32 s13, 0
	s_mov_b32 s30, exec_lo
                                        ; implicit-def: $sgpr17
	v_cmpx_lt_i16_e64 0x7f, v177
	s_xor_b32 s30, exec_lo, s30
	s_cbranch_execnz .LBB4_6123
; %bb.5702:                             ;   in Loop: Header=BB4_4876 Depth=3
	s_or_saveexec_b32 s30, s30
	v_mov_b32_e32 v165, s17
	s_xor_b32 exec_lo, exec_lo, s30
	s_cbranch_execnz .LBB4_6126
.LBB4_5703:                             ;   in Loop: Header=BB4_4876 Depth=3
	s_or_b32 exec_lo, exec_lo, s30
	s_and_saveexec_b32 s17, s13
	s_cbranch_execz .LBB4_5705
.LBB4_5704:                             ;   in Loop: Header=BB4_4876 Depth=3
	v_lshlrev_b32_e32 v146, 8, v146
	s_delay_alu instid0(VALU_DEP_1) | instskip(SKIP_1) | instid1(VALU_DEP_2)
	v_and_b32_e32 v165, 0xff00, v146
	v_bfe_u32 v146, v146, 10, 5
	v_bfe_u32 v183, v165, 8, 2
	s_delay_alu instid0(VALU_DEP_2) | instskip(NEXT) | instid1(VALU_DEP_2)
	v_cmp_eq_u32_e32 vcc_lo, 0, v146
	v_clz_i32_u32_e32 v43, v183
	s_delay_alu instid0(VALU_DEP_1) | instskip(NEXT) | instid1(VALU_DEP_1)
	v_min_u32_e32 v43, 32, v43
	v_subrev_nc_u32_e32 v45, 29, v43
	v_sub_nc_u32_e32 v43, 30, v43
	s_delay_alu instid0(VALU_DEP_1) | instskip(SKIP_1) | instid1(VALU_DEP_2)
	v_dual_cndmask_b32 v146, v146, v43 :: v_dual_lshlrev_b32 v177, v45, v177
	v_lshlrev_b32_e32 v165, 16, v165
	v_and_b32_e32 v177, 3, v177
	s_delay_alu instid0(VALU_DEP_3) | instskip(NEXT) | instid1(VALU_DEP_3)
	v_lshl_add_u32 v146, v146, 23, 0x37800000
	v_and_b32_e32 v165, 0x80000000, v165
	s_delay_alu instid0(VALU_DEP_3) | instskip(NEXT) | instid1(VALU_DEP_1)
	v_cndmask_b32_e32 v177, v183, v177, vcc_lo
	v_lshlrev_b32_e32 v177, 21, v177
	s_delay_alu instid0(VALU_DEP_1)
	v_or3_b32 v165, v165, v146, v177
.LBB4_5705:                             ;   in Loop: Header=BB4_4876 Depth=3
	s_or_b32 exec_lo, exec_lo, s17
	v_lshrrev_b32_e32 v146, 24, v10
	s_mov_b32 s13, 0
	s_mov_b32 s30, exec_lo
                                        ; implicit-def: $sgpr17
	s_delay_alu instid0(VALU_DEP_1)
	v_cmpx_lt_i16_e64 0x7f, v146
	s_xor_b32 s30, exec_lo, s30
	s_cbranch_execnz .LBB4_6127
; %bb.5706:                             ;   in Loop: Header=BB4_4876 Depth=3
	s_or_saveexec_b32 s30, s30
	v_mov_b32_e32 v177, s17
	s_xor_b32 exec_lo, exec_lo, s30
	s_cbranch_execnz .LBB4_6130
.LBB4_5707:                             ;   in Loop: Header=BB4_4876 Depth=3
	s_or_b32 exec_lo, exec_lo, s30
	s_and_saveexec_b32 s17, s13
	s_cbranch_execz .LBB4_5709
.LBB4_5708:                             ;   in Loop: Header=BB4_4876 Depth=3
	v_bfe_u32 v177, v10, 24, 2
	s_delay_alu instid0(VALU_DEP_1) | instskip(NEXT) | instid1(VALU_DEP_1)
	v_clz_i32_u32_e32 v183, v177
	v_min_u32_e32 v183, 32, v183
	s_delay_alu instid0(VALU_DEP_1) | instskip(SKIP_1) | instid1(VALU_DEP_2)
	v_subrev_nc_u32_e32 v43, 29, v183
	v_sub_nc_u32_e32 v183, 30, v183
	v_lshlrev_b32_e32 v146, v43, v146
	v_bfe_u32 v43, v10, 26, 5
	v_and_b32_e32 v10, 0x80000000, v10
	s_delay_alu instid0(VALU_DEP_2) | instskip(NEXT) | instid1(VALU_DEP_4)
	v_cmp_eq_u32_e32 vcc_lo, 0, v43
	v_dual_cndmask_b32 v183, v43, v183 :: v_dual_and_b32 v146, 3, v146
	s_delay_alu instid0(VALU_DEP_1) | instskip(NEXT) | instid1(VALU_DEP_2)
	v_cndmask_b32_e32 v146, v177, v146, vcc_lo
	v_lshl_add_u32 v177, v183, 23, 0x37800000
	s_delay_alu instid0(VALU_DEP_2) | instskip(NEXT) | instid1(VALU_DEP_1)
	v_lshlrev_b32_e32 v146, 21, v146
	v_or3_b32 v177, v10, v177, v146
.LBB4_5709:                             ;   in Loop: Header=BB4_4876 Depth=3
	s_or_b32 exec_lo, exec_lo, s17
	s_delay_alu instid0(VALU_DEP_1) | instskip(NEXT) | instid1(VALU_DEP_1)
	v_add_f32_e32 v146, v165, v177
	v_and_b32_e32 v10, 0x7f800000, v146
	s_delay_alu instid0(VALU_DEP_1)
	v_cmp_ne_u32_e32 vcc_lo, 0x7f800000, v10
	v_mov_b32_e32 v10, 0x80
	s_and_saveexec_b32 s17, vcc_lo
	s_cbranch_execz .LBB4_5717
; %bb.5710:                             ;   in Loop: Header=BB4_4876 Depth=3
	v_mov_b32_e32 v10, 0
	s_mov_b32 s30, exec_lo
	v_cmpx_ne_u32_e32 0, v146
	s_cbranch_execz .LBB4_5716
; %bb.5711:                             ;   in Loop: Header=BB4_4876 Depth=3
	v_bfe_u32 v10, v146, 23, 8
	v_and_b32_e32 v165, 0x7fffff, v146
	s_delay_alu instid0(VALU_DEP_2) | instskip(SKIP_1) | instid1(VALU_DEP_3)
	v_sub_nc_u32_e32 v177, 0x70, v10
	v_cmp_gt_u32_e32 vcc_lo, 0x71, v10
	v_or_b32_e32 v183, 0x800000, v165
	s_delay_alu instid0(VALU_DEP_3) | instskip(SKIP_2) | instid1(VALU_DEP_3)
	v_cndmask_b32_e32 v177, 0, v177, vcc_lo
	v_cmp_eq_u32_e32 vcc_lo, 0, v10
	v_add_nc_u32_e32 v10, 0xffffff91, v10
	v_cndmask_b32_e64 v177, v177, 0x6f, vcc_lo
	v_cndmask_b32_e32 v165, v183, v165, vcc_lo
	s_delay_alu instid0(VALU_DEP_3) | instskip(NEXT) | instid1(VALU_DEP_3)
	v_cndmask_b32_e64 v10, v10, 0xffffff92, vcc_lo
	v_lshl_add_u32 v183, 0x200000, v177, -1
	s_delay_alu instid0(VALU_DEP_3) | instskip(SKIP_1) | instid1(VALU_DEP_4)
	v_lshrrev_b32_e32 v43, v177, v165
	v_lshlrev_b32_e64 v46, v177, 0x100000
	v_add_nc_u32_e32 v177, v177, v10
	s_delay_alu instid0(VALU_DEP_4) | instskip(NEXT) | instid1(VALU_DEP_4)
	v_and_b32_e32 v165, v183, v165
	v_bfe_u32 v45, v43, 21, 1
	s_delay_alu instid0(VALU_DEP_2) | instskip(NEXT) | instid1(VALU_DEP_2)
	v_cmp_eq_u32_e64 s13, v165, v46
	v_add_nc_u32_e32 v183, -1, v45
	s_delay_alu instid0(VALU_DEP_1) | instskip(SKIP_2) | instid1(VALU_DEP_2)
	v_cndmask_b32_e64 v165, 0, v183, s13
	v_lshrrev_b32_e32 v183, 23, v43
	s_mov_b32 s13, exec_lo
	v_add_nc_u32_e32 v165, v165, v43
	s_delay_alu instid0(VALU_DEP_2) | instskip(NEXT) | instid1(VALU_DEP_2)
	v_xor_b32_e32 v183, 1, v183
	v_and_b32_e32 v10, 0x1fffff, v165
	s_delay_alu instid0(VALU_DEP_1) | instskip(NEXT) | instid1(VALU_DEP_3)
	v_add_nc_u32_e32 v165, v10, v43
                                        ; implicit-def: $vgpr10
	v_cmpx_ne_u32_e64 v177, v183
	s_xor_b32 s13, exec_lo, s13
; %bb.5712:                             ;   in Loop: Header=BB4_4876 Depth=3
	s_delay_alu instid0(VALU_DEP_2) | instskip(SKIP_2) | instid1(VALU_DEP_2)
	v_cmp_lt_u32_e32 vcc_lo, 0xffffff, v165
	v_sub_nc_u32_e32 v10, v177, v183
	v_cndmask_b32_e64 v177, 0, 1, vcc_lo
	v_add_co_ci_u32_e32 v10, vcc_lo, 0, v10, vcc_lo
	s_delay_alu instid0(VALU_DEP_2)
	v_lshrrev_b32_e32 v165, v177, v165
; %bb.5713:                             ;   in Loop: Header=BB4_4876 Depth=3
	s_and_not1_saveexec_b32 s13, s13
; %bb.5714:                             ;   in Loop: Header=BB4_4876 Depth=3
	s_delay_alu instid0(VALU_DEP_1)
	v_bfe_u32 v10, v165, 23, 1
; %bb.5715:                             ;   in Loop: Header=BB4_4876 Depth=3
	s_or_b32 exec_lo, exec_lo, s13
	v_lshrrev_b32_e32 v165, 21, v165
	s_delay_alu instid0(VALU_DEP_2) | instskip(SKIP_2) | instid1(VALU_DEP_2)
	v_cmp_gt_i32_e32 vcc_lo, 32, v10
	v_lshrrev_b32_e32 v146, 24, v146
	v_min_i32_e32 v177, 31, v10
	v_dual_cndmask_b32 v165, 3, v165 :: v_dual_and_b32 v146, 0x80, v146
	s_delay_alu instid0(VALU_DEP_2) | instskip(NEXT) | instid1(VALU_DEP_2)
	v_lshlrev_b32_e32 v177, 2, v177
	v_or_b32_e32 v10, v10, v165
	s_delay_alu instid0(VALU_DEP_1) | instskip(SKIP_1) | instid1(VALU_DEP_1)
	v_cmp_ne_u32_e32 vcc_lo, 0, v10
	v_and_b32_e32 v183, 3, v165
	v_or3_b32 v146, v177, v146, v183
	s_delay_alu instid0(VALU_DEP_1)
	v_cndmask_b32_e32 v10, 0, v146, vcc_lo
.LBB4_5716:                             ;   in Loop: Header=BB4_4876 Depth=3
	s_or_b32 exec_lo, exec_lo, s30
.LBB4_5717:                             ;   in Loop: Header=BB4_4876 Depth=3
	s_delay_alu instid0(SALU_CYCLE_1) | instskip(SKIP_3) | instid1(VALU_DEP_1)
	s_or_b32 exec_lo, exec_lo, s17
	v_or_b32_e32 v151, v151, v145
	s_mov_b32 s13, 0
	s_mov_b32 s30, exec_lo
                                        ; implicit-def: $sgpr17
	v_and_b32_e32 v146, 0xff, v151
	s_delay_alu instid0(VALU_DEP_1)
	v_cmpx_lt_i16_e64 0x7f, v146
	s_xor_b32 s30, exec_lo, s30
	s_cbranch_execnz .LBB4_6131
; %bb.5718:                             ;   in Loop: Header=BB4_4876 Depth=3
	s_or_saveexec_b32 s30, s30
	v_mov_b32_e32 v145, s17
	s_xor_b32 exec_lo, exec_lo, s30
	s_cbranch_execnz .LBB4_6134
.LBB4_5719:                             ;   in Loop: Header=BB4_4876 Depth=3
	s_or_b32 exec_lo, exec_lo, s30
	s_and_saveexec_b32 s17, s13
	s_cbranch_execz .LBB4_5721
.LBB4_5720:                             ;   in Loop: Header=BB4_4876 Depth=3
	v_bfe_u32 v177, v151, 2, 5
	v_lshlrev_b32_e32 v183, 24, v151
	s_delay_alu instid0(VALU_DEP_2) | instskip(SKIP_1) | instid1(VALU_DEP_1)
	v_cmp_eq_u32_e32 vcc_lo, 0, v177
	v_and_b32_e32 v145, 3, v151
	v_clz_i32_u32_e32 v146, v145
	s_delay_alu instid0(VALU_DEP_1) | instskip(NEXT) | instid1(VALU_DEP_1)
	v_min_u32_e32 v146, 32, v146
	v_subrev_nc_u32_e32 v165, 29, v146
	v_sub_nc_u32_e32 v146, 30, v146
	s_delay_alu instid0(VALU_DEP_2) | instskip(NEXT) | instid1(VALU_DEP_1)
	v_lshlrev_b32_e32 v165, v165, v151
	v_dual_cndmask_b32 v146, v177, v146 :: v_dual_and_b32 v165, 3, v165
	s_delay_alu instid0(VALU_DEP_1) | instskip(NEXT) | instid1(VALU_DEP_2)
	v_lshl_add_u32 v146, v146, 23, 0x37800000
	v_cndmask_b32_e32 v145, v145, v165, vcc_lo
	v_and_b32_e32 v165, 0x80000000, v183
	s_delay_alu instid0(VALU_DEP_2) | instskip(NEXT) | instid1(VALU_DEP_1)
	v_lshlrev_b32_e32 v145, 21, v145
	v_or3_b32 v145, v165, v146, v145
.LBB4_5721:                             ;   in Loop: Header=BB4_4876 Depth=3
	s_or_b32 exec_lo, exec_lo, s17
	v_and_b32_e32 v165, 0xff, v11
	s_mov_b32 s13, 0
	s_mov_b32 s30, exec_lo
                                        ; implicit-def: $sgpr17
	s_delay_alu instid0(VALU_DEP_1)
	v_cmpx_lt_i16_e64 0x7f, v165
	s_xor_b32 s30, exec_lo, s30
	s_cbranch_execnz .LBB4_6135
; %bb.5722:                             ;   in Loop: Header=BB4_4876 Depth=3
	s_or_saveexec_b32 s30, s30
	v_mov_b32_e32 v146, s17
	s_xor_b32 exec_lo, exec_lo, s30
	s_cbranch_execnz .LBB4_6138
.LBB4_5723:                             ;   in Loop: Header=BB4_4876 Depth=3
	s_or_b32 exec_lo, exec_lo, s30
	s_and_saveexec_b32 s17, s13
	s_cbranch_execz .LBB4_5725
.LBB4_5724:                             ;   in Loop: Header=BB4_4876 Depth=3
	v_bfe_u32 v183, v11, 2, 5
	s_delay_alu instid0(VALU_DEP_1) | instskip(SKIP_1) | instid1(VALU_DEP_1)
	v_cmp_eq_u32_e32 vcc_lo, 0, v183
	v_and_b32_e32 v146, 3, v11
	v_clz_i32_u32_e32 v165, v146
	s_delay_alu instid0(VALU_DEP_1) | instskip(NEXT) | instid1(VALU_DEP_1)
	v_min_u32_e32 v165, 32, v165
	v_subrev_nc_u32_e32 v177, 29, v165
	v_sub_nc_u32_e32 v165, 30, v165
	s_delay_alu instid0(VALU_DEP_2) | instskip(NEXT) | instid1(VALU_DEP_2)
	v_lshlrev_b32_e32 v177, v177, v11
	v_cndmask_b32_e32 v165, v183, v165, vcc_lo
	s_delay_alu instid0(VALU_DEP_2) | instskip(SKIP_1) | instid1(VALU_DEP_3)
	v_and_b32_e32 v177, 3, v177
	v_lshlrev_b32_e32 v43, 24, v11
	v_lshl_add_u32 v165, v165, 23, 0x37800000
	s_delay_alu instid0(VALU_DEP_2) | instskip(NEXT) | instid1(VALU_DEP_1)
	v_dual_cndmask_b32 v146, v146, v177 :: v_dual_and_b32 v177, 0x80000000, v43
	v_lshlrev_b32_e32 v146, 21, v146
	s_delay_alu instid0(VALU_DEP_1)
	v_or3_b32 v146, v177, v165, v146
.LBB4_5725:                             ;   in Loop: Header=BB4_4876 Depth=3
	s_or_b32 exec_lo, exec_lo, s17
	s_delay_alu instid0(VALU_DEP_1) | instskip(NEXT) | instid1(VALU_DEP_1)
	v_add_f32_e32 v146, v145, v146
	v_and_b32_e32 v145, 0x7f800000, v146
	s_delay_alu instid0(VALU_DEP_1)
	v_cmp_ne_u32_e32 vcc_lo, 0x7f800000, v145
	v_mov_b32_e32 v145, 0x80
	s_and_saveexec_b32 s17, vcc_lo
	s_cbranch_execz .LBB4_5733
; %bb.5726:                             ;   in Loop: Header=BB4_4876 Depth=3
	v_mov_b32_e32 v145, 0
	s_mov_b32 s30, exec_lo
	v_cmpx_ne_u32_e32 0, v146
	s_cbranch_execz .LBB4_5732
; %bb.5727:                             ;   in Loop: Header=BB4_4876 Depth=3
	v_bfe_u32 v145, v146, 23, 8
	v_and_b32_e32 v165, 0x7fffff, v146
	s_delay_alu instid0(VALU_DEP_2) | instskip(SKIP_1) | instid1(VALU_DEP_3)
	v_sub_nc_u32_e32 v177, 0x70, v145
	v_cmp_gt_u32_e32 vcc_lo, 0x71, v145
	v_or_b32_e32 v183, 0x800000, v165
	s_delay_alu instid0(VALU_DEP_3) | instskip(SKIP_2) | instid1(VALU_DEP_3)
	v_cndmask_b32_e32 v177, 0, v177, vcc_lo
	v_cmp_eq_u32_e32 vcc_lo, 0, v145
	v_add_nc_u32_e32 v145, 0xffffff91, v145
	v_cndmask_b32_e64 v177, v177, 0x6f, vcc_lo
	v_cndmask_b32_e32 v165, v183, v165, vcc_lo
	s_delay_alu instid0(VALU_DEP_3) | instskip(NEXT) | instid1(VALU_DEP_3)
	v_cndmask_b32_e64 v145, v145, 0xffffff92, vcc_lo
	v_lshl_add_u32 v183, 0x200000, v177, -1
	s_delay_alu instid0(VALU_DEP_3) | instskip(SKIP_1) | instid1(VALU_DEP_4)
	v_lshrrev_b32_e32 v43, v177, v165
	v_lshlrev_b32_e64 v46, v177, 0x100000
	v_add_nc_u32_e32 v177, v177, v145
	s_delay_alu instid0(VALU_DEP_4) | instskip(NEXT) | instid1(VALU_DEP_4)
	v_and_b32_e32 v165, v183, v165
	v_bfe_u32 v45, v43, 21, 1
	s_delay_alu instid0(VALU_DEP_2) | instskip(NEXT) | instid1(VALU_DEP_2)
	v_cmp_eq_u32_e64 s13, v165, v46
	v_add_nc_u32_e32 v183, -1, v45
	s_delay_alu instid0(VALU_DEP_1) | instskip(SKIP_2) | instid1(VALU_DEP_2)
	v_cndmask_b32_e64 v165, 0, v183, s13
	v_lshrrev_b32_e32 v183, 23, v43
	s_mov_b32 s13, exec_lo
	v_add_nc_u32_e32 v165, v165, v43
	s_delay_alu instid0(VALU_DEP_2) | instskip(NEXT) | instid1(VALU_DEP_2)
	v_xor_b32_e32 v183, 1, v183
	v_and_b32_e32 v145, 0x1fffff, v165
	s_delay_alu instid0(VALU_DEP_1) | instskip(NEXT) | instid1(VALU_DEP_3)
	v_add_nc_u32_e32 v165, v145, v43
                                        ; implicit-def: $vgpr145
	v_cmpx_ne_u32_e64 v177, v183
	s_xor_b32 s13, exec_lo, s13
; %bb.5728:                             ;   in Loop: Header=BB4_4876 Depth=3
	s_delay_alu instid0(VALU_DEP_2) | instskip(SKIP_2) | instid1(VALU_DEP_2)
	v_cmp_lt_u32_e32 vcc_lo, 0xffffff, v165
	v_sub_nc_u32_e32 v145, v177, v183
	v_cndmask_b32_e64 v177, 0, 1, vcc_lo
	v_add_co_ci_u32_e32 v145, vcc_lo, 0, v145, vcc_lo
	s_delay_alu instid0(VALU_DEP_2)
	v_lshrrev_b32_e32 v165, v177, v165
; %bb.5729:                             ;   in Loop: Header=BB4_4876 Depth=3
	s_and_not1_saveexec_b32 s13, s13
; %bb.5730:                             ;   in Loop: Header=BB4_4876 Depth=3
	s_delay_alu instid0(VALU_DEP_1)
	v_bfe_u32 v145, v165, 23, 1
; %bb.5731:                             ;   in Loop: Header=BB4_4876 Depth=3
	s_or_b32 exec_lo, exec_lo, s13
	v_lshrrev_b32_e32 v165, 21, v165
	s_delay_alu instid0(VALU_DEP_2) | instskip(SKIP_2) | instid1(VALU_DEP_2)
	v_cmp_gt_i32_e32 vcc_lo, 32, v145
	v_lshrrev_b32_e32 v146, 24, v146
	v_min_i32_e32 v177, 31, v145
	v_dual_cndmask_b32 v165, 3, v165 :: v_dual_and_b32 v146, 0x80, v146
	s_delay_alu instid0(VALU_DEP_2) | instskip(NEXT) | instid1(VALU_DEP_2)
	v_lshlrev_b32_e32 v177, 2, v177
	v_and_b32_e32 v183, 3, v165
	v_or_b32_e32 v145, v145, v165
	s_delay_alu instid0(VALU_DEP_2) | instskip(NEXT) | instid1(VALU_DEP_2)
	v_or3_b32 v146, v177, v146, v183
	v_cmp_ne_u32_e32 vcc_lo, 0, v145
	s_delay_alu instid0(VALU_DEP_2)
	v_cndmask_b32_e32 v145, 0, v146, vcc_lo
.LBB4_5732:                             ;   in Loop: Header=BB4_4876 Depth=3
	s_or_b32 exec_lo, exec_lo, s30
.LBB4_5733:                             ;   in Loop: Header=BB4_4876 Depth=3
	s_delay_alu instid0(SALU_CYCLE_1) | instskip(SKIP_3) | instid1(VALU_DEP_1)
	s_or_b32 exec_lo, exec_lo, s17
	v_lshrrev_b16 v165, 8, v151
	s_mov_b32 s13, 0
	s_mov_b32 s30, exec_lo
                                        ; implicit-def: $sgpr17
	v_cmpx_lt_i16_e64 0x7f, v165
	s_xor_b32 s30, exec_lo, s30
	s_cbranch_execnz .LBB4_6139
; %bb.5734:                             ;   in Loop: Header=BB4_4876 Depth=3
	s_or_saveexec_b32 s30, s30
	v_mov_b32_e32 v146, s17
	s_xor_b32 exec_lo, exec_lo, s30
	s_cbranch_execnz .LBB4_6142
.LBB4_5735:                             ;   in Loop: Header=BB4_4876 Depth=3
	s_or_b32 exec_lo, exec_lo, s30
	s_and_saveexec_b32 s17, s13
	s_cbranch_execz .LBB4_5737
.LBB4_5736:                             ;   in Loop: Header=BB4_4876 Depth=3
	v_and_b32_e32 v146, 0xffff, v165
	v_lshlrev_b32_e32 v165, 24, v165
	s_delay_alu instid0(VALU_DEP_2) | instskip(NEXT) | instid1(VALU_DEP_2)
	v_and_b32_e32 v177, 3, v146
	v_and_b32_e32 v165, 0x80000000, v165
	s_delay_alu instid0(VALU_DEP_2) | instskip(NEXT) | instid1(VALU_DEP_1)
	v_clz_i32_u32_e32 v183, v177
	v_min_u32_e32 v183, 32, v183
	s_delay_alu instid0(VALU_DEP_1) | instskip(SKIP_1) | instid1(VALU_DEP_2)
	v_subrev_nc_u32_e32 v43, 29, v183
	v_sub_nc_u32_e32 v183, 30, v183
	v_lshlrev_b32_e32 v43, v43, v146
	v_bfe_u32 v146, v146, 2, 5
	s_delay_alu instid0(VALU_DEP_2) | instskip(NEXT) | instid1(VALU_DEP_2)
	v_and_b32_e32 v43, 3, v43
	v_cmp_eq_u32_e32 vcc_lo, 0, v146
	v_cndmask_b32_e32 v146, v146, v183, vcc_lo
	s_delay_alu instid0(VALU_DEP_3) | instskip(NEXT) | instid1(VALU_DEP_2)
	v_cndmask_b32_e32 v177, v177, v43, vcc_lo
	v_lshl_add_u32 v146, v146, 23, 0x37800000
	s_delay_alu instid0(VALU_DEP_2) | instskip(NEXT) | instid1(VALU_DEP_1)
	v_lshlrev_b32_e32 v177, 21, v177
	v_or3_b32 v146, v165, v146, v177
.LBB4_5737:                             ;   in Loop: Header=BB4_4876 Depth=3
	s_or_b32 exec_lo, exec_lo, s17
	v_lshrrev_b16 v165, 8, v11
	s_mov_b32 s13, 0
	s_mov_b32 s30, exec_lo
                                        ; implicit-def: $sgpr17
	s_delay_alu instid0(VALU_DEP_1)
	v_cmpx_lt_i16_e64 0x7f, v165
	s_xor_b32 s30, exec_lo, s30
	s_cbranch_execnz .LBB4_6143
; %bb.5738:                             ;   in Loop: Header=BB4_4876 Depth=3
	s_or_saveexec_b32 s30, s30
	v_mov_b32_e32 v177, s17
	s_xor_b32 exec_lo, exec_lo, s30
	s_cbranch_execnz .LBB4_6146
.LBB4_5739:                             ;   in Loop: Header=BB4_4876 Depth=3
	s_or_b32 exec_lo, exec_lo, s30
	s_and_saveexec_b32 s17, s13
	s_cbranch_execz .LBB4_5741
.LBB4_5740:                             ;   in Loop: Header=BB4_4876 Depth=3
	v_and_b32_e32 v177, 0xffff, v165
	v_lshlrev_b32_e32 v165, 24, v165
	s_delay_alu instid0(VALU_DEP_2) | instskip(NEXT) | instid1(VALU_DEP_2)
	v_and_b32_e32 v183, 3, v177
	v_and_b32_e32 v165, 0x80000000, v165
	s_delay_alu instid0(VALU_DEP_2) | instskip(NEXT) | instid1(VALU_DEP_1)
	v_clz_i32_u32_e32 v43, v183
	v_min_u32_e32 v43, 32, v43
	s_delay_alu instid0(VALU_DEP_1) | instskip(SKIP_1) | instid1(VALU_DEP_2)
	v_subrev_nc_u32_e32 v45, 29, v43
	v_sub_nc_u32_e32 v43, 30, v43
	v_lshlrev_b32_e32 v45, v45, v177
	v_bfe_u32 v177, v177, 2, 5
	s_delay_alu instid0(VALU_DEP_2) | instskip(NEXT) | instid1(VALU_DEP_2)
	v_and_b32_e32 v45, 3, v45
	v_cmp_eq_u32_e32 vcc_lo, 0, v177
	v_cndmask_b32_e32 v177, v177, v43, vcc_lo
	s_delay_alu instid0(VALU_DEP_3) | instskip(NEXT) | instid1(VALU_DEP_2)
	v_cndmask_b32_e32 v183, v183, v45, vcc_lo
	v_lshl_add_u32 v177, v177, 23, 0x37800000
	s_delay_alu instid0(VALU_DEP_2) | instskip(NEXT) | instid1(VALU_DEP_1)
	v_lshlrev_b32_e32 v183, 21, v183
	v_or3_b32 v177, v165, v177, v183
.LBB4_5741:                             ;   in Loop: Header=BB4_4876 Depth=3
	s_or_b32 exec_lo, exec_lo, s17
	s_delay_alu instid0(VALU_DEP_1) | instskip(NEXT) | instid1(VALU_DEP_1)
	v_add_f32_e32 v165, v146, v177
	v_and_b32_e32 v146, 0x7f800000, v165
	s_delay_alu instid0(VALU_DEP_1)
	v_cmp_ne_u32_e32 vcc_lo, 0x7f800000, v146
	v_mov_b32_e32 v146, 0x8000
	s_and_saveexec_b32 s17, vcc_lo
	s_cbranch_execz .LBB4_5749
; %bb.5742:                             ;   in Loop: Header=BB4_4876 Depth=3
	v_mov_b32_e32 v146, 0
	s_mov_b32 s30, exec_lo
	v_cmpx_ne_u32_e32 0, v165
	s_cbranch_execz .LBB4_5748
; %bb.5743:                             ;   in Loop: Header=BB4_4876 Depth=3
	v_bfe_u32 v146, v165, 23, 8
	v_and_b32_e32 v177, 0x7fffff, v165
	s_delay_alu instid0(VALU_DEP_2) | instskip(SKIP_1) | instid1(VALU_DEP_3)
	v_sub_nc_u32_e32 v183, 0x70, v146
	v_cmp_gt_u32_e32 vcc_lo, 0x71, v146
	v_or_b32_e32 v43, 0x800000, v177
	s_delay_alu instid0(VALU_DEP_3) | instskip(SKIP_2) | instid1(VALU_DEP_3)
	v_cndmask_b32_e32 v183, 0, v183, vcc_lo
	v_cmp_eq_u32_e32 vcc_lo, 0, v146
	v_add_nc_u32_e32 v146, 0xffffff91, v146
	v_cndmask_b32_e64 v183, v183, 0x6f, vcc_lo
	v_cndmask_b32_e32 v177, v43, v177, vcc_lo
	s_delay_alu instid0(VALU_DEP_3) | instskip(NEXT) | instid1(VALU_DEP_3)
	v_cndmask_b32_e64 v146, v146, 0xffffff92, vcc_lo
	v_lshl_add_u32 v43, 0x200000, v183, -1
	s_delay_alu instid0(VALU_DEP_3) | instskip(SKIP_1) | instid1(VALU_DEP_4)
	v_lshrrev_b32_e32 v45, v183, v177
	v_lshlrev_b32_e64 v47, v183, 0x100000
	v_add_nc_u32_e32 v183, v183, v146
	s_delay_alu instid0(VALU_DEP_4) | instskip(NEXT) | instid1(VALU_DEP_4)
	v_and_b32_e32 v177, v43, v177
	v_bfe_u32 v46, v45, 21, 1
	s_delay_alu instid0(VALU_DEP_2) | instskip(NEXT) | instid1(VALU_DEP_2)
	v_cmp_eq_u32_e64 s13, v177, v47
	v_add_nc_u32_e32 v43, -1, v46
	s_delay_alu instid0(VALU_DEP_1) | instskip(SKIP_2) | instid1(VALU_DEP_2)
	v_cndmask_b32_e64 v177, 0, v43, s13
	v_lshrrev_b32_e32 v43, 23, v45
	s_mov_b32 s13, exec_lo
	v_add_nc_u32_e32 v177, v177, v45
	s_delay_alu instid0(VALU_DEP_2) | instskip(NEXT) | instid1(VALU_DEP_2)
	v_xor_b32_e32 v43, 1, v43
	v_and_b32_e32 v146, 0x1fffff, v177
	s_delay_alu instid0(VALU_DEP_1) | instskip(NEXT) | instid1(VALU_DEP_3)
	v_add_nc_u32_e32 v177, v146, v45
                                        ; implicit-def: $vgpr146
	v_cmpx_ne_u32_e64 v183, v43
	s_xor_b32 s13, exec_lo, s13
; %bb.5744:                             ;   in Loop: Header=BB4_4876 Depth=3
	s_delay_alu instid0(VALU_DEP_2) | instskip(SKIP_2) | instid1(VALU_DEP_2)
	v_cmp_lt_u32_e32 vcc_lo, 0xffffff, v177
	v_sub_nc_u32_e32 v146, v183, v43
	v_cndmask_b32_e64 v183, 0, 1, vcc_lo
	v_add_co_ci_u32_e32 v146, vcc_lo, 0, v146, vcc_lo
	s_delay_alu instid0(VALU_DEP_2)
	v_lshrrev_b32_e32 v177, v183, v177
; %bb.5745:                             ;   in Loop: Header=BB4_4876 Depth=3
	s_and_not1_saveexec_b32 s13, s13
; %bb.5746:                             ;   in Loop: Header=BB4_4876 Depth=3
	s_delay_alu instid0(VALU_DEP_1)
	v_bfe_u32 v146, v177, 23, 1
; %bb.5747:                             ;   in Loop: Header=BB4_4876 Depth=3
	s_or_b32 exec_lo, exec_lo, s13
	v_lshrrev_b32_e32 v177, 21, v177
	s_delay_alu instid0(VALU_DEP_2) | instskip(SKIP_2) | instid1(VALU_DEP_4)
	v_cmp_gt_i32_e32 vcc_lo, 32, v146
	v_min_i32_e32 v183, 31, v146
	v_lshrrev_b32_e32 v165, 24, v165
	v_cndmask_b32_e32 v177, 3, v177, vcc_lo
	s_delay_alu instid0(VALU_DEP_2) | instskip(NEXT) | instid1(VALU_DEP_2)
	v_and_b32_e32 v165, 0x80, v165
	v_or_b32_e32 v146, v146, v177
	v_and_b32_e32 v43, 3, v177
	s_delay_alu instid0(VALU_DEP_2) | instskip(SKIP_1) | instid1(VALU_DEP_1)
	v_cmp_ne_u32_e32 vcc_lo, 0, v146
	v_lshlrev_b32_e32 v183, 2, v183
	v_and_b32_e32 v183, 0xfc, v183
	s_delay_alu instid0(VALU_DEP_1) | instskip(NEXT) | instid1(VALU_DEP_1)
	v_or3_b32 v165, v165, v183, v43
	v_lshlrev_b32_e32 v165, 8, v165
	s_delay_alu instid0(VALU_DEP_1)
	v_cndmask_b32_e32 v146, 0, v165, vcc_lo
.LBB4_5748:                             ;   in Loop: Header=BB4_4876 Depth=3
	s_or_b32 exec_lo, exec_lo, s30
.LBB4_5749:                             ;   in Loop: Header=BB4_4876 Depth=3
	s_delay_alu instid0(SALU_CYCLE_1) | instskip(SKIP_3) | instid1(VALU_DEP_1)
	s_or_b32 exec_lo, exec_lo, s17
	v_or_b32_e32 v148, v148, v144
	s_mov_b32 s13, 0
	s_mov_b32 s30, exec_lo
                                        ; implicit-def: $sgpr17
	v_and_b32_e32 v165, 0xff, v148
	s_delay_alu instid0(VALU_DEP_1)
	v_cmpx_lt_i16_e64 0x7f, v165
	s_xor_b32 s30, exec_lo, s30
	s_cbranch_execnz .LBB4_6147
; %bb.5750:                             ;   in Loop: Header=BB4_4876 Depth=3
	s_or_saveexec_b32 s30, s30
	v_mov_b32_e32 v144, s17
	s_xor_b32 exec_lo, exec_lo, s30
	s_cbranch_execnz .LBB4_6150
.LBB4_5751:                             ;   in Loop: Header=BB4_4876 Depth=3
	s_or_b32 exec_lo, exec_lo, s30
	v_lshl_or_b32 v148, v148, 16, v151
	s_and_saveexec_b32 s17, s13
	s_cbranch_execz .LBB4_5753
.LBB4_5752:                             ;   in Loop: Header=BB4_4876 Depth=3
	s_delay_alu instid0(VALU_DEP_1) | instskip(SKIP_1) | instid1(VALU_DEP_2)
	v_bfe_u32 v144, v148, 16, 2
	v_lshrrev_b32_e32 v165, 16, v148
	v_clz_i32_u32_e32 v151, v144
	s_delay_alu instid0(VALU_DEP_1) | instskip(NEXT) | instid1(VALU_DEP_1)
	v_min_u32_e32 v151, 32, v151
	v_subrev_nc_u32_e32 v177, 29, v151
	v_sub_nc_u32_e32 v151, 30, v151
	s_delay_alu instid0(VALU_DEP_2) | instskip(SKIP_1) | instid1(VALU_DEP_2)
	v_lshlrev_b32_e32 v165, v177, v165
	v_bfe_u32 v177, v148, 18, 5
	v_and_b32_e32 v165, 3, v165
	s_delay_alu instid0(VALU_DEP_2) | instskip(NEXT) | instid1(VALU_DEP_2)
	v_cmp_eq_u32_e32 vcc_lo, 0, v177
	v_dual_cndmask_b32 v144, v144, v165 :: v_dual_lshlrev_b32 v183, 8, v148
	v_cndmask_b32_e32 v151, v177, v151, vcc_lo
	s_delay_alu instid0(VALU_DEP_2) | instskip(NEXT) | instid1(VALU_DEP_3)
	v_and_b32_e32 v165, 0x80000000, v183
	v_lshlrev_b32_e32 v144, 21, v144
	s_delay_alu instid0(VALU_DEP_3) | instskip(NEXT) | instid1(VALU_DEP_1)
	v_lshl_add_u32 v151, v151, 23, 0x37800000
	v_or3_b32 v144, v165, v151, v144
.LBB4_5753:                             ;   in Loop: Header=BB4_4876 Depth=3
	s_or_b32 exec_lo, exec_lo, s17
	v_lshrrev_b32_e32 v151, 16, v11
	s_mov_b32 s13, 0
	s_mov_b32 s30, exec_lo
                                        ; implicit-def: $sgpr17
	s_delay_alu instid0(VALU_DEP_1) | instskip(NEXT) | instid1(VALU_DEP_1)
	v_and_b32_e32 v177, 0xff, v151
	v_cmpx_lt_i16_e64 0x7f, v177
	s_xor_b32 s30, exec_lo, s30
	s_cbranch_execnz .LBB4_6151
; %bb.5754:                             ;   in Loop: Header=BB4_4876 Depth=3
	s_or_saveexec_b32 s30, s30
	v_mov_b32_e32 v165, s17
	s_xor_b32 exec_lo, exec_lo, s30
	s_cbranch_execnz .LBB4_6154
.LBB4_5755:                             ;   in Loop: Header=BB4_4876 Depth=3
	s_or_b32 exec_lo, exec_lo, s30
	s_and_saveexec_b32 s17, s13
	s_cbranch_execz .LBB4_5757
.LBB4_5756:                             ;   in Loop: Header=BB4_4876 Depth=3
	v_bfe_u32 v165, v11, 16, 2
	v_lshlrev_b32_e32 v43, 8, v11
	s_delay_alu instid0(VALU_DEP_2) | instskip(NEXT) | instid1(VALU_DEP_1)
	v_clz_i32_u32_e32 v177, v165
	v_min_u32_e32 v177, 32, v177
	s_delay_alu instid0(VALU_DEP_1) | instskip(SKIP_1) | instid1(VALU_DEP_2)
	v_subrev_nc_u32_e32 v183, 29, v177
	v_sub_nc_u32_e32 v177, 30, v177
	v_lshlrev_b32_e32 v151, v183, v151
	v_bfe_u32 v183, v11, 18, 5
	s_delay_alu instid0(VALU_DEP_2) | instskip(NEXT) | instid1(VALU_DEP_2)
	v_and_b32_e32 v151, 3, v151
	v_cmp_eq_u32_e32 vcc_lo, 0, v183
	v_cndmask_b32_e32 v177, v183, v177, vcc_lo
	s_delay_alu instid0(VALU_DEP_3) | instskip(SKIP_1) | instid1(VALU_DEP_3)
	v_cndmask_b32_e32 v151, v165, v151, vcc_lo
	v_and_b32_e32 v165, 0x80000000, v43
	v_lshl_add_u32 v177, v177, 23, 0x37800000
	s_delay_alu instid0(VALU_DEP_3) | instskip(NEXT) | instid1(VALU_DEP_1)
	v_lshlrev_b32_e32 v151, 21, v151
	v_or3_b32 v165, v165, v177, v151
.LBB4_5757:                             ;   in Loop: Header=BB4_4876 Depth=3
	s_or_b32 exec_lo, exec_lo, s17
	s_delay_alu instid0(VALU_DEP_1) | instskip(NEXT) | instid1(VALU_DEP_1)
	v_add_f32_e32 v151, v144, v165
	v_and_b32_e32 v144, 0x7f800000, v151
	s_delay_alu instid0(VALU_DEP_1)
	v_cmp_ne_u32_e32 vcc_lo, 0x7f800000, v144
	v_mov_b32_e32 v144, 0x80
	s_and_saveexec_b32 s17, vcc_lo
	s_cbranch_execz .LBB4_5765
; %bb.5758:                             ;   in Loop: Header=BB4_4876 Depth=3
	v_mov_b32_e32 v144, 0
	s_mov_b32 s30, exec_lo
	v_cmpx_ne_u32_e32 0, v151
	s_cbranch_execz .LBB4_5764
; %bb.5759:                             ;   in Loop: Header=BB4_4876 Depth=3
	v_bfe_u32 v144, v151, 23, 8
	v_and_b32_e32 v165, 0x7fffff, v151
	s_delay_alu instid0(VALU_DEP_2) | instskip(SKIP_1) | instid1(VALU_DEP_3)
	v_sub_nc_u32_e32 v177, 0x70, v144
	v_cmp_gt_u32_e32 vcc_lo, 0x71, v144
	v_or_b32_e32 v183, 0x800000, v165
	s_delay_alu instid0(VALU_DEP_3) | instskip(SKIP_2) | instid1(VALU_DEP_3)
	v_cndmask_b32_e32 v177, 0, v177, vcc_lo
	v_cmp_eq_u32_e32 vcc_lo, 0, v144
	v_add_nc_u32_e32 v144, 0xffffff91, v144
	v_cndmask_b32_e64 v177, v177, 0x6f, vcc_lo
	v_cndmask_b32_e32 v165, v183, v165, vcc_lo
	s_delay_alu instid0(VALU_DEP_3) | instskip(NEXT) | instid1(VALU_DEP_3)
	v_cndmask_b32_e64 v144, v144, 0xffffff92, vcc_lo
	v_lshl_add_u32 v183, 0x200000, v177, -1
	s_delay_alu instid0(VALU_DEP_3) | instskip(SKIP_1) | instid1(VALU_DEP_4)
	v_lshrrev_b32_e32 v43, v177, v165
	v_lshlrev_b32_e64 v46, v177, 0x100000
	v_add_nc_u32_e32 v177, v177, v144
	s_delay_alu instid0(VALU_DEP_4) | instskip(NEXT) | instid1(VALU_DEP_4)
	v_and_b32_e32 v165, v183, v165
	v_bfe_u32 v45, v43, 21, 1
	s_delay_alu instid0(VALU_DEP_2) | instskip(NEXT) | instid1(VALU_DEP_2)
	v_cmp_eq_u32_e64 s13, v165, v46
	v_add_nc_u32_e32 v183, -1, v45
	s_delay_alu instid0(VALU_DEP_1) | instskip(SKIP_2) | instid1(VALU_DEP_2)
	v_cndmask_b32_e64 v165, 0, v183, s13
	v_lshrrev_b32_e32 v183, 23, v43
	s_mov_b32 s13, exec_lo
	v_add_nc_u32_e32 v165, v165, v43
	s_delay_alu instid0(VALU_DEP_2) | instskip(NEXT) | instid1(VALU_DEP_2)
	v_xor_b32_e32 v183, 1, v183
	v_and_b32_e32 v144, 0x1fffff, v165
	s_delay_alu instid0(VALU_DEP_1) | instskip(NEXT) | instid1(VALU_DEP_3)
	v_add_nc_u32_e32 v165, v144, v43
                                        ; implicit-def: $vgpr144
	v_cmpx_ne_u32_e64 v177, v183
	s_xor_b32 s13, exec_lo, s13
; %bb.5760:                             ;   in Loop: Header=BB4_4876 Depth=3
	s_delay_alu instid0(VALU_DEP_2) | instskip(SKIP_2) | instid1(VALU_DEP_2)
	v_cmp_lt_u32_e32 vcc_lo, 0xffffff, v165
	v_sub_nc_u32_e32 v144, v177, v183
	v_cndmask_b32_e64 v177, 0, 1, vcc_lo
	v_add_co_ci_u32_e32 v144, vcc_lo, 0, v144, vcc_lo
	s_delay_alu instid0(VALU_DEP_2)
	v_lshrrev_b32_e32 v165, v177, v165
; %bb.5761:                             ;   in Loop: Header=BB4_4876 Depth=3
	s_and_not1_saveexec_b32 s13, s13
; %bb.5762:                             ;   in Loop: Header=BB4_4876 Depth=3
	s_delay_alu instid0(VALU_DEP_1)
	v_bfe_u32 v144, v165, 23, 1
; %bb.5763:                             ;   in Loop: Header=BB4_4876 Depth=3
	s_or_b32 exec_lo, exec_lo, s13
	v_lshrrev_b32_e32 v165, 21, v165
	s_delay_alu instid0(VALU_DEP_2) | instskip(SKIP_2) | instid1(VALU_DEP_3)
	v_min_i32_e32 v177, 31, v144
	v_cmp_gt_i32_e32 vcc_lo, 32, v144
	v_lshrrev_b32_e32 v151, 24, v151
	v_lshlrev_b32_e32 v177, 2, v177
	v_cndmask_b32_e32 v165, 3, v165, vcc_lo
	s_delay_alu instid0(VALU_DEP_3) | instskip(NEXT) | instid1(VALU_DEP_3)
	v_and_b32_e32 v151, 0x80, v151
	v_and_b32_e32 v177, 0xfc, v177
	s_delay_alu instid0(VALU_DEP_3) | instskip(SKIP_1) | instid1(VALU_DEP_2)
	v_and_b32_e32 v183, 3, v165
	v_or_b32_e32 v144, v144, v165
	v_or3_b32 v151, v177, v151, v183
	s_delay_alu instid0(VALU_DEP_2) | instskip(NEXT) | instid1(VALU_DEP_2)
	v_cmp_ne_u32_e32 vcc_lo, 0, v144
	v_cndmask_b32_e32 v144, 0, v151, vcc_lo
.LBB4_5764:                             ;   in Loop: Header=BB4_4876 Depth=3
	s_or_b32 exec_lo, exec_lo, s30
.LBB4_5765:                             ;   in Loop: Header=BB4_4876 Depth=3
	s_delay_alu instid0(SALU_CYCLE_1) | instskip(SKIP_3) | instid1(VALU_DEP_1)
	s_or_b32 exec_lo, exec_lo, s17
	v_lshrrev_b32_e32 v165, 24, v148
	s_mov_b32 s13, 0
	s_mov_b32 s30, exec_lo
                                        ; implicit-def: $sgpr17
	v_cmpx_lt_i16_e64 0x7f, v165
	s_xor_b32 s30, exec_lo, s30
	s_cbranch_execnz .LBB4_6155
; %bb.5766:                             ;   in Loop: Header=BB4_4876 Depth=3
	s_or_saveexec_b32 s30, s30
	v_mov_b32_e32 v151, s17
	s_xor_b32 exec_lo, exec_lo, s30
	s_cbranch_execnz .LBB4_6158
.LBB4_5767:                             ;   in Loop: Header=BB4_4876 Depth=3
	s_or_b32 exec_lo, exec_lo, s30
	s_and_saveexec_b32 s17, s13
	s_cbranch_execz .LBB4_5769
.LBB4_5768:                             ;   in Loop: Header=BB4_4876 Depth=3
	v_bfe_u32 v151, v148, 24, 2
	s_delay_alu instid0(VALU_DEP_1) | instskip(NEXT) | instid1(VALU_DEP_1)
	v_clz_i32_u32_e32 v177, v151
	v_min_u32_e32 v177, 32, v177
	s_delay_alu instid0(VALU_DEP_1) | instskip(SKIP_1) | instid1(VALU_DEP_2)
	v_subrev_nc_u32_e32 v183, 29, v177
	v_sub_nc_u32_e32 v177, 30, v177
	v_lshlrev_b32_e32 v165, v183, v165
	v_bfe_u32 v183, v148, 26, 5
	v_and_b32_e32 v148, 0x80000000, v148
	s_delay_alu instid0(VALU_DEP_3) | instskip(NEXT) | instid1(VALU_DEP_3)
	v_and_b32_e32 v165, 3, v165
	v_cmp_eq_u32_e32 vcc_lo, 0, v183
	v_cndmask_b32_e32 v177, v183, v177, vcc_lo
	s_delay_alu instid0(VALU_DEP_3) | instskip(NEXT) | instid1(VALU_DEP_2)
	v_cndmask_b32_e32 v151, v151, v165, vcc_lo
	v_lshl_add_u32 v165, v177, 23, 0x37800000
	s_delay_alu instid0(VALU_DEP_2) | instskip(NEXT) | instid1(VALU_DEP_1)
	v_lshlrev_b32_e32 v151, 21, v151
	v_or3_b32 v151, v148, v165, v151
.LBB4_5769:                             ;   in Loop: Header=BB4_4876 Depth=3
	s_or_b32 exec_lo, exec_lo, s17
	v_lshrrev_b32_e32 v148, 24, v11
	s_mov_b32 s13, 0
	s_mov_b32 s30, exec_lo
                                        ; implicit-def: $sgpr17
	s_delay_alu instid0(VALU_DEP_1)
	v_cmpx_lt_i16_e64 0x7f, v148
	s_xor_b32 s30, exec_lo, s30
	s_cbranch_execnz .LBB4_6159
; %bb.5770:                             ;   in Loop: Header=BB4_4876 Depth=3
	s_or_saveexec_b32 s30, s30
	v_mov_b32_e32 v165, s17
	s_xor_b32 exec_lo, exec_lo, s30
	s_cbranch_execnz .LBB4_6162
.LBB4_5771:                             ;   in Loop: Header=BB4_4876 Depth=3
	s_or_b32 exec_lo, exec_lo, s30
	s_and_saveexec_b32 s17, s13
	s_cbranch_execz .LBB4_5773
.LBB4_5772:                             ;   in Loop: Header=BB4_4876 Depth=3
	v_bfe_u32 v165, v11, 24, 2
	s_delay_alu instid0(VALU_DEP_1) | instskip(NEXT) | instid1(VALU_DEP_1)
	v_clz_i32_u32_e32 v177, v165
	v_min_u32_e32 v177, 32, v177
	s_delay_alu instid0(VALU_DEP_1) | instskip(SKIP_1) | instid1(VALU_DEP_2)
	v_subrev_nc_u32_e32 v183, 29, v177
	v_sub_nc_u32_e32 v177, 30, v177
	v_lshlrev_b32_e32 v148, v183, v148
	v_bfe_u32 v183, v11, 26, 5
	v_and_b32_e32 v11, 0x80000000, v11
	s_delay_alu instid0(VALU_DEP_2) | instskip(NEXT) | instid1(VALU_DEP_4)
	v_cmp_eq_u32_e32 vcc_lo, 0, v183
	v_dual_cndmask_b32 v177, v183, v177 :: v_dual_and_b32 v148, 3, v148
	s_delay_alu instid0(VALU_DEP_1) | instskip(NEXT) | instid1(VALU_DEP_2)
	v_cndmask_b32_e32 v148, v165, v148, vcc_lo
	v_lshl_add_u32 v165, v177, 23, 0x37800000
	s_delay_alu instid0(VALU_DEP_2) | instskip(NEXT) | instid1(VALU_DEP_1)
	v_lshlrev_b32_e32 v148, 21, v148
	v_or3_b32 v165, v11, v165, v148
.LBB4_5773:                             ;   in Loop: Header=BB4_4876 Depth=3
	s_or_b32 exec_lo, exec_lo, s17
	s_delay_alu instid0(VALU_DEP_1) | instskip(NEXT) | instid1(VALU_DEP_1)
	v_add_f32_e32 v11, v151, v165
	v_and_b32_e32 v148, 0x7f800000, v11
	s_delay_alu instid0(VALU_DEP_1)
	v_cmp_ne_u32_e32 vcc_lo, 0x7f800000, v148
	v_mov_b32_e32 v148, 0x8000
	s_and_saveexec_b32 s17, vcc_lo
	s_cbranch_execz .LBB4_4875
; %bb.5774:                             ;   in Loop: Header=BB4_4876 Depth=3
	v_mov_b32_e32 v148, 0
	s_mov_b32 s30, exec_lo
	v_cmpx_ne_u32_e32 0, v11
	s_cbranch_execz .LBB4_4874
; %bb.5775:                             ;   in Loop: Header=BB4_4876 Depth=3
	v_bfe_u32 v148, v11, 23, 8
	v_and_b32_e32 v151, 0x7fffff, v11
	s_delay_alu instid0(VALU_DEP_2) | instskip(SKIP_1) | instid1(VALU_DEP_3)
	v_sub_nc_u32_e32 v165, 0x70, v148
	v_cmp_gt_u32_e32 vcc_lo, 0x71, v148
	v_or_b32_e32 v177, 0x800000, v151
	s_delay_alu instid0(VALU_DEP_3) | instskip(SKIP_2) | instid1(VALU_DEP_3)
	v_cndmask_b32_e32 v165, 0, v165, vcc_lo
	v_cmp_eq_u32_e32 vcc_lo, 0, v148
	v_add_nc_u32_e32 v148, 0xffffff91, v148
	v_cndmask_b32_e64 v165, v165, 0x6f, vcc_lo
	v_cndmask_b32_e32 v151, v177, v151, vcc_lo
	s_delay_alu instid0(VALU_DEP_3) | instskip(NEXT) | instid1(VALU_DEP_3)
	v_cndmask_b32_e64 v148, v148, 0xffffff92, vcc_lo
	v_lshl_add_u32 v177, 0x200000, v165, -1
	s_delay_alu instid0(VALU_DEP_3) | instskip(SKIP_1) | instid1(VALU_DEP_4)
	v_lshrrev_b32_e32 v183, v165, v151
	v_lshlrev_b32_e64 v45, v165, 0x100000
	v_add_nc_u32_e32 v165, v165, v148
	s_delay_alu instid0(VALU_DEP_4) | instskip(NEXT) | instid1(VALU_DEP_4)
	v_and_b32_e32 v151, v177, v151
	v_bfe_u32 v43, v183, 21, 1
	s_delay_alu instid0(VALU_DEP_2) | instskip(NEXT) | instid1(VALU_DEP_2)
	v_cmp_eq_u32_e64 s13, v151, v45
	v_add_nc_u32_e32 v177, -1, v43
	s_delay_alu instid0(VALU_DEP_1) | instskip(SKIP_2) | instid1(VALU_DEP_2)
	v_cndmask_b32_e64 v151, 0, v177, s13
	v_lshrrev_b32_e32 v177, 23, v183
	s_mov_b32 s13, exec_lo
	v_add_nc_u32_e32 v151, v151, v183
	s_delay_alu instid0(VALU_DEP_2) | instskip(NEXT) | instid1(VALU_DEP_2)
	v_xor_b32_e32 v177, 1, v177
	v_and_b32_e32 v148, 0x1fffff, v151
	s_delay_alu instid0(VALU_DEP_1) | instskip(NEXT) | instid1(VALU_DEP_3)
	v_add_nc_u32_e32 v151, v148, v183
                                        ; implicit-def: $vgpr148
	v_cmpx_ne_u32_e64 v165, v177
	s_xor_b32 s13, exec_lo, s13
; %bb.5776:                             ;   in Loop: Header=BB4_4876 Depth=3
	s_delay_alu instid0(VALU_DEP_2) | instskip(SKIP_2) | instid1(VALU_DEP_2)
	v_cmp_lt_u32_e32 vcc_lo, 0xffffff, v151
	v_sub_nc_u32_e32 v148, v165, v177
	v_cndmask_b32_e64 v165, 0, 1, vcc_lo
	v_add_co_ci_u32_e32 v148, vcc_lo, 0, v148, vcc_lo
	s_delay_alu instid0(VALU_DEP_2)
	v_lshrrev_b32_e32 v151, v165, v151
; %bb.5777:                             ;   in Loop: Header=BB4_4876 Depth=3
	s_and_not1_saveexec_b32 s13, s13
	s_cbranch_execz .LBB4_4873
; %bb.5778:                             ;   in Loop: Header=BB4_4876 Depth=3
	s_delay_alu instid0(VALU_DEP_1)
	v_bfe_u32 v148, v151, 23, 1
	s_branch .LBB4_4873
.LBB4_5779:                             ;   in Loop: Header=BB4_4876 Depth=3
	s_mov_b32 s13, -1
	s_mov_b32 s34, exec_lo
                                        ; implicit-def: $sgpr30
	v_cmpx_eq_u16_e32 0x80, v13
; %bb.5780:                             ;   in Loop: Header=BB4_4876 Depth=3
	s_mov_b32 s30, 0x7f800001
	s_xor_b32 s13, exec_lo, -1
; %bb.5781:                             ;   in Loop: Header=BB4_4876 Depth=3
	s_or_b32 exec_lo, exec_lo, s34
	s_delay_alu instid0(SALU_CYCLE_1)
	s_and_b32 s13, s13, exec_lo
                                        ; implicit-def: $vgpr13
	s_or_saveexec_b32 s31, s31
	v_mov_b32_e32 v12, s30
	s_xor_b32 exec_lo, exec_lo, s31
	s_cbranch_execz .LBB4_4887
.LBB4_5782:                             ;   in Loop: Header=BB4_4876 Depth=3
	v_cmp_ne_u16_e32 vcc_lo, 0, v13
	v_mov_b32_e32 v12, 0
	s_and_not1_b32 s13, s13, exec_lo
	s_and_b32 vcc_lo, vcc_lo, exec_lo
	s_delay_alu instid0(SALU_CYCLE_1)
	s_or_b32 s13, s13, vcc_lo
	s_or_b32 exec_lo, exec_lo, s31
	s_and_saveexec_b32 s30, s13
	s_cbranch_execnz .LBB4_4888
	s_branch .LBB4_4889
.LBB4_5783:                             ;   in Loop: Header=BB4_4876 Depth=3
	s_mov_b32 s13, -1
	s_mov_b32 s34, exec_lo
                                        ; implicit-def: $sgpr30
	v_cmpx_eq_u16_e32 0x80, v12
; %bb.5784:                             ;   in Loop: Header=BB4_4876 Depth=3
	s_mov_b32 s30, 0x7f800001
	s_xor_b32 s13, exec_lo, -1
; %bb.5785:                             ;   in Loop: Header=BB4_4876 Depth=3
	s_or_b32 exec_lo, exec_lo, s34
	s_delay_alu instid0(SALU_CYCLE_1)
	s_and_b32 s13, s13, exec_lo
	s_or_saveexec_b32 s31, s31
	v_mov_b32_e32 v13, s30
	s_xor_b32 exec_lo, exec_lo, s31
	s_cbranch_execz .LBB4_4899
.LBB4_5786:                             ;   in Loop: Header=BB4_4876 Depth=3
	v_cmp_ne_u16_e32 vcc_lo, 0, v12
	v_mov_b32_e32 v13, 0
	s_and_not1_b32 s13, s13, exec_lo
	s_and_b32 vcc_lo, vcc_lo, exec_lo
	s_delay_alu instid0(SALU_CYCLE_1)
	s_or_b32 s13, s13, vcc_lo
	s_or_b32 exec_lo, exec_lo, s31
	s_and_saveexec_b32 s30, s13
	s_cbranch_execnz .LBB4_4900
	s_branch .LBB4_4901
.LBB4_5787:                             ;   in Loop: Header=BB4_4876 Depth=3
	s_mov_b32 s13, -1
	s_mov_b32 s34, exec_lo
                                        ; implicit-def: $sgpr30
	v_cmpx_eq_u16_e32 0x80, v14
; %bb.5788:                             ;   in Loop: Header=BB4_4876 Depth=3
	s_mov_b32 s30, 0x7f800001
	s_xor_b32 s13, exec_lo, -1
; %bb.5789:                             ;   in Loop: Header=BB4_4876 Depth=3
	s_or_b32 exec_lo, exec_lo, s34
	s_delay_alu instid0(SALU_CYCLE_1)
	s_and_b32 s13, s13, exec_lo
                                        ; implicit-def: $vgpr14
	s_or_saveexec_b32 s31, s31
	v_mov_b32_e32 v13, s30
	s_xor_b32 exec_lo, exec_lo, s31
	s_cbranch_execz .LBB4_4911
.LBB4_5790:                             ;   in Loop: Header=BB4_4876 Depth=3
	v_cmp_ne_u16_e32 vcc_lo, 0, v14
	v_mov_b32_e32 v13, 0
	s_and_not1_b32 s13, s13, exec_lo
	s_and_b32 vcc_lo, vcc_lo, exec_lo
	s_delay_alu instid0(SALU_CYCLE_1)
	s_or_b32 s13, s13, vcc_lo
	s_or_b32 exec_lo, exec_lo, s31
	s_and_saveexec_b32 s30, s13
	s_cbranch_execnz .LBB4_4912
	s_branch .LBB4_4913
.LBB4_5791:                             ;   in Loop: Header=BB4_4876 Depth=3
	s_mov_b32 s13, -1
	s_mov_b32 s34, exec_lo
                                        ; implicit-def: $sgpr30
	v_cmpx_eq_u16_e32 0x80, v12
; %bb.5792:                             ;   in Loop: Header=BB4_4876 Depth=3
	s_mov_b32 s30, 0x7f800001
	s_xor_b32 s13, exec_lo, -1
; %bb.5793:                             ;   in Loop: Header=BB4_4876 Depth=3
	s_or_b32 exec_lo, exec_lo, s34
	s_delay_alu instid0(SALU_CYCLE_1)
	s_and_b32 s13, s13, exec_lo
	s_or_saveexec_b32 s31, s31
	v_mov_b32_e32 v13, s30
	s_xor_b32 exec_lo, exec_lo, s31
	s_cbranch_execz .LBB4_4923
.LBB4_5794:                             ;   in Loop: Header=BB4_4876 Depth=3
	v_cmp_ne_u16_e32 vcc_lo, 0, v12
	v_mov_b32_e32 v13, 0
	s_and_not1_b32 s13, s13, exec_lo
	s_and_b32 vcc_lo, vcc_lo, exec_lo
	s_delay_alu instid0(SALU_CYCLE_1)
	s_or_b32 s13, s13, vcc_lo
	s_or_b32 exec_lo, exec_lo, s31
	s_and_saveexec_b32 s30, s13
	s_cbranch_execnz .LBB4_4924
	s_branch .LBB4_4925
.LBB4_5795:                             ;   in Loop: Header=BB4_4876 Depth=3
	s_mov_b32 s13, -1
	s_mov_b32 s34, exec_lo
                                        ; implicit-def: $sgpr30
	v_cmpx_eq_u16_e32 0x80, v12
; %bb.5796:                             ;   in Loop: Header=BB4_4876 Depth=3
	s_mov_b32 s30, 0x7f800001
	s_xor_b32 s13, exec_lo, -1
; %bb.5797:                             ;   in Loop: Header=BB4_4876 Depth=3
	s_or_b32 exec_lo, exec_lo, s34
	s_delay_alu instid0(SALU_CYCLE_1)
	s_and_b32 s13, s13, exec_lo
                                        ; implicit-def: $vgpr12
	s_or_saveexec_b32 s31, s31
	v_mov_b32_e32 v8, s30
	s_xor_b32 exec_lo, exec_lo, s31
	s_cbranch_execz .LBB4_4935
.LBB4_5798:                             ;   in Loop: Header=BB4_4876 Depth=3
	v_cmp_ne_u16_e32 vcc_lo, 0, v12
	v_mov_b32_e32 v8, 0
	s_and_not1_b32 s13, s13, exec_lo
	s_and_b32 vcc_lo, vcc_lo, exec_lo
	s_delay_alu instid0(SALU_CYCLE_1)
	s_or_b32 s13, s13, vcc_lo
	s_or_b32 exec_lo, exec_lo, s31
	s_and_saveexec_b32 s30, s13
	s_cbranch_execnz .LBB4_4936
	s_branch .LBB4_4937
.LBB4_5799:                             ;   in Loop: Header=BB4_4876 Depth=3
	s_mov_b32 s13, -1
	s_mov_b32 s34, exec_lo
                                        ; implicit-def: $sgpr30
	v_cmpx_eq_u16_e32 0x80, v8
; %bb.5800:                             ;   in Loop: Header=BB4_4876 Depth=3
	s_mov_b32 s30, 0x7f800001
	s_xor_b32 s13, exec_lo, -1
; %bb.5801:                             ;   in Loop: Header=BB4_4876 Depth=3
	s_or_b32 exec_lo, exec_lo, s34
	s_delay_alu instid0(SALU_CYCLE_1)
	s_and_b32 s13, s13, exec_lo
	s_or_saveexec_b32 s31, s31
	v_mov_b32_e32 v12, s30
	s_xor_b32 exec_lo, exec_lo, s31
	s_cbranch_execz .LBB4_4947
.LBB4_5802:                             ;   in Loop: Header=BB4_4876 Depth=3
	v_cmp_ne_u16_e32 vcc_lo, 0, v8
	v_mov_b32_e32 v12, 0
	s_and_not1_b32 s13, s13, exec_lo
	s_and_b32 vcc_lo, vcc_lo, exec_lo
	s_delay_alu instid0(SALU_CYCLE_1)
	s_or_b32 s13, s13, vcc_lo
	s_or_b32 exec_lo, exec_lo, s31
	s_and_saveexec_b32 s30, s13
	s_cbranch_execnz .LBB4_4948
	s_branch .LBB4_4949
.LBB4_5803:                             ;   in Loop: Header=BB4_4876 Depth=3
	s_mov_b32 s13, -1
	s_mov_b32 s34, exec_lo
                                        ; implicit-def: $sgpr30
	v_cmpx_eq_u16_e32 0x80, v13
; %bb.5804:                             ;   in Loop: Header=BB4_4876 Depth=3
	s_mov_b32 s30, 0x7f800001
	s_xor_b32 s13, exec_lo, -1
; %bb.5805:                             ;   in Loop: Header=BB4_4876 Depth=3
	s_or_b32 exec_lo, exec_lo, s34
	s_delay_alu instid0(SALU_CYCLE_1)
	s_and_b32 s13, s13, exec_lo
                                        ; implicit-def: $vgpr13
	s_or_saveexec_b32 s31, s31
	v_mov_b32_e32 v12, s30
	s_xor_b32 exec_lo, exec_lo, s31
	s_cbranch_execz .LBB4_4959
.LBB4_5806:                             ;   in Loop: Header=BB4_4876 Depth=3
	v_cmp_ne_u16_e32 vcc_lo, 0, v13
	v_mov_b32_e32 v12, 0
	s_and_not1_b32 s13, s13, exec_lo
	s_and_b32 vcc_lo, vcc_lo, exec_lo
	s_delay_alu instid0(SALU_CYCLE_1)
	s_or_b32 s13, s13, vcc_lo
	s_or_b32 exec_lo, exec_lo, s31
	s_and_saveexec_b32 s30, s13
	s_cbranch_execnz .LBB4_4960
	s_branch .LBB4_4961
.LBB4_5807:                             ;   in Loop: Header=BB4_4876 Depth=3
	s_mov_b32 s13, -1
	s_mov_b32 s34, exec_lo
                                        ; implicit-def: $sgpr30
	v_cmpx_eq_u16_e32 0x80, v8
; %bb.5808:                             ;   in Loop: Header=BB4_4876 Depth=3
	s_mov_b32 s30, 0x7f800001
	s_xor_b32 s13, exec_lo, -1
; %bb.5809:                             ;   in Loop: Header=BB4_4876 Depth=3
	s_or_b32 exec_lo, exec_lo, s34
	s_delay_alu instid0(SALU_CYCLE_1)
	s_and_b32 s13, s13, exec_lo
	s_or_saveexec_b32 s31, s31
	v_mov_b32_e32 v12, s30
	s_xor_b32 exec_lo, exec_lo, s31
	s_cbranch_execz .LBB4_4971
.LBB4_5810:                             ;   in Loop: Header=BB4_4876 Depth=3
	v_cmp_ne_u16_e32 vcc_lo, 0, v8
	v_mov_b32_e32 v12, 0
	s_and_not1_b32 s13, s13, exec_lo
	s_and_b32 vcc_lo, vcc_lo, exec_lo
	s_delay_alu instid0(SALU_CYCLE_1)
	s_or_b32 s13, s13, vcc_lo
	s_or_b32 exec_lo, exec_lo, s31
	s_and_saveexec_b32 s30, s13
	s_cbranch_execnz .LBB4_4972
	s_branch .LBB4_4973
.LBB4_5811:                             ;   in Loop: Header=BB4_4876 Depth=3
	s_mov_b32 s13, -1
	s_mov_b32 s34, exec_lo
                                        ; implicit-def: $sgpr30
	v_cmpx_eq_u16_e32 0x80, v9
; %bb.5812:                             ;   in Loop: Header=BB4_4876 Depth=3
	s_mov_b32 s30, 0x7f800001
	s_xor_b32 s13, exec_lo, -1
; %bb.5813:                             ;   in Loop: Header=BB4_4876 Depth=3
	s_or_b32 exec_lo, exec_lo, s34
	s_delay_alu instid0(SALU_CYCLE_1)
	s_and_b32 s13, s13, exec_lo
                                        ; implicit-def: $vgpr9
	s_or_saveexec_b32 s31, s31
	v_mov_b32_e32 v8, s30
	s_xor_b32 exec_lo, exec_lo, s31
	s_cbranch_execz .LBB4_4983
.LBB4_5814:                             ;   in Loop: Header=BB4_4876 Depth=3
	v_cmp_ne_u16_e32 vcc_lo, 0, v9
	v_mov_b32_e32 v8, 0
	s_and_not1_b32 s13, s13, exec_lo
	s_and_b32 vcc_lo, vcc_lo, exec_lo
	s_delay_alu instid0(SALU_CYCLE_1)
	s_or_b32 s13, s13, vcc_lo
	s_or_b32 exec_lo, exec_lo, s31
	s_and_saveexec_b32 s30, s13
	s_cbranch_execnz .LBB4_4984
	s_branch .LBB4_4985
.LBB4_5815:                             ;   in Loop: Header=BB4_4876 Depth=3
	s_mov_b32 s13, -1
	s_mov_b32 s34, exec_lo
                                        ; implicit-def: $sgpr30
	v_cmpx_eq_u16_e32 0x80, v8
; %bb.5816:                             ;   in Loop: Header=BB4_4876 Depth=3
	s_mov_b32 s30, 0x7f800001
	s_xor_b32 s13, exec_lo, -1
; %bb.5817:                             ;   in Loop: Header=BB4_4876 Depth=3
	s_or_b32 exec_lo, exec_lo, s34
	s_delay_alu instid0(SALU_CYCLE_1)
	s_and_b32 s13, s13, exec_lo
	s_or_saveexec_b32 s31, s31
	v_mov_b32_e32 v9, s30
	s_xor_b32 exec_lo, exec_lo, s31
	s_cbranch_execz .LBB4_4995
.LBB4_5818:                             ;   in Loop: Header=BB4_4876 Depth=3
	v_cmp_ne_u16_e32 vcc_lo, 0, v8
	v_mov_b32_e32 v9, 0
	s_and_not1_b32 s13, s13, exec_lo
	s_and_b32 vcc_lo, vcc_lo, exec_lo
	s_delay_alu instid0(SALU_CYCLE_1)
	s_or_b32 s13, s13, vcc_lo
	s_or_b32 exec_lo, exec_lo, s31
	s_and_saveexec_b32 s30, s13
	s_cbranch_execnz .LBB4_4996
	s_branch .LBB4_4997
.LBB4_5819:                             ;   in Loop: Header=BB4_4876 Depth=3
	s_mov_b32 s13, -1
	s_mov_b32 s34, exec_lo
                                        ; implicit-def: $sgpr30
	v_cmpx_eq_u16_e32 0x80, v12
; %bb.5820:                             ;   in Loop: Header=BB4_4876 Depth=3
	s_mov_b32 s30, 0x7f800001
	s_xor_b32 s13, exec_lo, -1
; %bb.5821:                             ;   in Loop: Header=BB4_4876 Depth=3
	s_or_b32 exec_lo, exec_lo, s34
	s_delay_alu instid0(SALU_CYCLE_1)
	s_and_b32 s13, s13, exec_lo
                                        ; implicit-def: $vgpr12
	s_or_saveexec_b32 s31, s31
	v_mov_b32_e32 v9, s30
	s_xor_b32 exec_lo, exec_lo, s31
	s_cbranch_execz .LBB4_5007
.LBB4_5822:                             ;   in Loop: Header=BB4_4876 Depth=3
	v_cmp_ne_u16_e32 vcc_lo, 0, v12
	v_mov_b32_e32 v9, 0
	s_and_not1_b32 s13, s13, exec_lo
	s_and_b32 vcc_lo, vcc_lo, exec_lo
	s_delay_alu instid0(SALU_CYCLE_1)
	s_or_b32 s13, s13, vcc_lo
	s_or_b32 exec_lo, exec_lo, s31
	s_and_saveexec_b32 s30, s13
	s_cbranch_execnz .LBB4_5008
	s_branch .LBB4_5009
.LBB4_5823:                             ;   in Loop: Header=BB4_4876 Depth=3
	s_mov_b32 s13, -1
	s_mov_b32 s34, exec_lo
                                        ; implicit-def: $sgpr30
	v_cmpx_eq_u16_e32 0x80, v8
; %bb.5824:                             ;   in Loop: Header=BB4_4876 Depth=3
	s_mov_b32 s30, 0x7f800001
	s_xor_b32 s13, exec_lo, -1
; %bb.5825:                             ;   in Loop: Header=BB4_4876 Depth=3
	s_or_b32 exec_lo, exec_lo, s34
	s_delay_alu instid0(SALU_CYCLE_1)
	s_and_b32 s13, s13, exec_lo
	s_or_saveexec_b32 s31, s31
	v_mov_b32_e32 v9, s30
	s_xor_b32 exec_lo, exec_lo, s31
	s_cbranch_execz .LBB4_5019
.LBB4_5826:                             ;   in Loop: Header=BB4_4876 Depth=3
	v_cmp_ne_u16_e32 vcc_lo, 0, v8
	v_mov_b32_e32 v9, 0
	s_and_not1_b32 s13, s13, exec_lo
	s_and_b32 vcc_lo, vcc_lo, exec_lo
	s_delay_alu instid0(SALU_CYCLE_1)
	s_or_b32 s13, s13, vcc_lo
	s_or_b32 exec_lo, exec_lo, s31
	s_and_saveexec_b32 s30, s13
	s_cbranch_execnz .LBB4_5020
	s_branch .LBB4_5021
.LBB4_5827:                             ;   in Loop: Header=BB4_4876 Depth=3
	s_mov_b32 s13, -1
	s_mov_b32 s34, exec_lo
                                        ; implicit-def: $sgpr30
	v_cmpx_eq_u16_e32 0x80, v9
; %bb.5828:                             ;   in Loop: Header=BB4_4876 Depth=3
	s_mov_b32 s30, 0x7f800001
	s_xor_b32 s13, exec_lo, -1
; %bb.5829:                             ;   in Loop: Header=BB4_4876 Depth=3
	s_or_b32 exec_lo, exec_lo, s34
	s_delay_alu instid0(SALU_CYCLE_1)
	s_and_b32 s13, s13, exec_lo
                                        ; implicit-def: $vgpr9
	s_or_saveexec_b32 s31, s31
	v_mov_b32_e32 v8, s30
	s_xor_b32 exec_lo, exec_lo, s31
	s_cbranch_execz .LBB4_5031
.LBB4_5830:                             ;   in Loop: Header=BB4_4876 Depth=3
	v_cmp_ne_u16_e32 vcc_lo, 0, v9
	v_mov_b32_e32 v8, 0
	s_and_not1_b32 s13, s13, exec_lo
	s_and_b32 vcc_lo, vcc_lo, exec_lo
	s_delay_alu instid0(SALU_CYCLE_1)
	s_or_b32 s13, s13, vcc_lo
	s_or_b32 exec_lo, exec_lo, s31
	s_and_saveexec_b32 s30, s13
	s_cbranch_execnz .LBB4_5032
	s_branch .LBB4_5033
.LBB4_5831:                             ;   in Loop: Header=BB4_4876 Depth=3
	s_mov_b32 s13, -1
	s_mov_b32 s34, exec_lo
                                        ; implicit-def: $sgpr30
	v_cmpx_eq_u16_e32 0x80, v8
; %bb.5832:                             ;   in Loop: Header=BB4_4876 Depth=3
	s_mov_b32 s30, 0x7f800001
	s_xor_b32 s13, exec_lo, -1
; %bb.5833:                             ;   in Loop: Header=BB4_4876 Depth=3
	s_or_b32 exec_lo, exec_lo, s34
	s_delay_alu instid0(SALU_CYCLE_1)
	s_and_b32 s13, s13, exec_lo
	s_or_saveexec_b32 s31, s31
	v_mov_b32_e32 v9, s30
	s_xor_b32 exec_lo, exec_lo, s31
	s_cbranch_execz .LBB4_5043
.LBB4_5834:                             ;   in Loop: Header=BB4_4876 Depth=3
	v_cmp_ne_u16_e32 vcc_lo, 0, v8
	v_mov_b32_e32 v9, 0
	s_and_not1_b32 s13, s13, exec_lo
	s_and_b32 vcc_lo, vcc_lo, exec_lo
	s_delay_alu instid0(SALU_CYCLE_1)
	s_or_b32 s13, s13, vcc_lo
	s_or_b32 exec_lo, exec_lo, s31
	s_and_saveexec_b32 s30, s13
	s_cbranch_execnz .LBB4_5044
	s_branch .LBB4_5045
.LBB4_5835:                             ;   in Loop: Header=BB4_4876 Depth=3
	s_mov_b32 s13, -1
	s_mov_b32 s34, exec_lo
                                        ; implicit-def: $sgpr30
	v_cmpx_eq_u16_e32 0x80, v10
; %bb.5836:                             ;   in Loop: Header=BB4_4876 Depth=3
	s_mov_b32 s30, 0x7f800001
	s_xor_b32 s13, exec_lo, -1
; %bb.5837:                             ;   in Loop: Header=BB4_4876 Depth=3
	s_or_b32 exec_lo, exec_lo, s34
	s_delay_alu instid0(SALU_CYCLE_1)
	s_and_b32 s13, s13, exec_lo
                                        ; implicit-def: $vgpr10
	s_or_saveexec_b32 s31, s31
	v_mov_b32_e32 v9, s30
	s_xor_b32 exec_lo, exec_lo, s31
	s_cbranch_execz .LBB4_5055
.LBB4_5838:                             ;   in Loop: Header=BB4_4876 Depth=3
	v_cmp_ne_u16_e32 vcc_lo, 0, v10
	v_mov_b32_e32 v9, 0
	s_and_not1_b32 s13, s13, exec_lo
	s_and_b32 vcc_lo, vcc_lo, exec_lo
	s_delay_alu instid0(SALU_CYCLE_1)
	s_or_b32 s13, s13, vcc_lo
	s_or_b32 exec_lo, exec_lo, s31
	s_and_saveexec_b32 s30, s13
	s_cbranch_execnz .LBB4_5056
	s_branch .LBB4_5057
.LBB4_5839:                             ;   in Loop: Header=BB4_4876 Depth=3
	s_mov_b32 s13, -1
	s_mov_b32 s34, exec_lo
                                        ; implicit-def: $sgpr30
	v_cmpx_eq_u16_e32 0x80, v8
; %bb.5840:                             ;   in Loop: Header=BB4_4876 Depth=3
	s_mov_b32 s30, 0x7f800001
	s_xor_b32 s13, exec_lo, -1
; %bb.5841:                             ;   in Loop: Header=BB4_4876 Depth=3
	s_or_b32 exec_lo, exec_lo, s34
	s_delay_alu instid0(SALU_CYCLE_1)
	s_and_b32 s13, s13, exec_lo
	s_or_saveexec_b32 s31, s31
	v_mov_b32_e32 v9, s30
	s_xor_b32 exec_lo, exec_lo, s31
	s_cbranch_execz .LBB4_5067
.LBB4_5842:                             ;   in Loop: Header=BB4_4876 Depth=3
	v_cmp_ne_u16_e32 vcc_lo, 0, v8
	v_mov_b32_e32 v9, 0
	s_and_not1_b32 s13, s13, exec_lo
	s_and_b32 vcc_lo, vcc_lo, exec_lo
	s_delay_alu instid0(SALU_CYCLE_1)
	s_or_b32 s13, s13, vcc_lo
	s_or_b32 exec_lo, exec_lo, s31
	s_and_saveexec_b32 s30, s13
	s_cbranch_execnz .LBB4_5068
	s_branch .LBB4_5069
.LBB4_5843:                             ;   in Loop: Header=BB4_4876 Depth=3
	s_mov_b32 s13, -1
	s_mov_b32 s34, exec_lo
                                        ; implicit-def: $sgpr30
	v_cmpx_eq_u16_e32 0x80, v13
; %bb.5844:                             ;   in Loop: Header=BB4_4876 Depth=3
	s_mov_b32 s30, 0x7f800001
	s_xor_b32 s13, exec_lo, -1
; %bb.5845:                             ;   in Loop: Header=BB4_4876 Depth=3
	s_or_b32 exec_lo, exec_lo, s34
	s_delay_alu instid0(SALU_CYCLE_1)
	s_and_b32 s13, s13, exec_lo
                                        ; implicit-def: $vgpr13
	s_or_saveexec_b32 s31, s31
	v_mov_b32_e32 v12, s30
	s_xor_b32 exec_lo, exec_lo, s31
	s_cbranch_execz .LBB4_5079
.LBB4_5846:                             ;   in Loop: Header=BB4_4876 Depth=3
	v_cmp_ne_u16_e32 vcc_lo, 0, v13
	v_mov_b32_e32 v12, 0
	s_and_not1_b32 s13, s13, exec_lo
	s_and_b32 vcc_lo, vcc_lo, exec_lo
	s_delay_alu instid0(SALU_CYCLE_1)
	s_or_b32 s13, s13, vcc_lo
	s_or_b32 exec_lo, exec_lo, s31
	s_and_saveexec_b32 s30, s13
	s_cbranch_execnz .LBB4_5080
	s_branch .LBB4_5081
.LBB4_5847:                             ;   in Loop: Header=BB4_4876 Depth=3
	s_mov_b32 s13, -1
	s_mov_b32 s34, exec_lo
                                        ; implicit-def: $sgpr30
	v_cmpx_eq_u16_e32 0x80, v12
; %bb.5848:                             ;   in Loop: Header=BB4_4876 Depth=3
	s_mov_b32 s30, 0x7f800001
	s_xor_b32 s13, exec_lo, -1
; %bb.5849:                             ;   in Loop: Header=BB4_4876 Depth=3
	s_or_b32 exec_lo, exec_lo, s34
	s_delay_alu instid0(SALU_CYCLE_1)
	s_and_b32 s13, s13, exec_lo
	s_or_saveexec_b32 s31, s31
	v_mov_b32_e32 v13, s30
	s_xor_b32 exec_lo, exec_lo, s31
	s_cbranch_execz .LBB4_5091
.LBB4_5850:                             ;   in Loop: Header=BB4_4876 Depth=3
	v_cmp_ne_u16_e32 vcc_lo, 0, v12
	v_mov_b32_e32 v13, 0
	s_and_not1_b32 s13, s13, exec_lo
	s_and_b32 vcc_lo, vcc_lo, exec_lo
	s_delay_alu instid0(SALU_CYCLE_1)
	s_or_b32 s13, s13, vcc_lo
	s_or_b32 exec_lo, exec_lo, s31
	s_and_saveexec_b32 s30, s13
	s_cbranch_execnz .LBB4_5092
	s_branch .LBB4_5093
.LBB4_5851:                             ;   in Loop: Header=BB4_4876 Depth=3
	s_mov_b32 s13, -1
	s_mov_b32 s34, exec_lo
                                        ; implicit-def: $sgpr30
	v_cmpx_eq_u16_e32 0x80, v14
; %bb.5852:                             ;   in Loop: Header=BB4_4876 Depth=3
	s_mov_b32 s30, 0x7f800001
	s_xor_b32 s13, exec_lo, -1
; %bb.5853:                             ;   in Loop: Header=BB4_4876 Depth=3
	s_or_b32 exec_lo, exec_lo, s34
	s_delay_alu instid0(SALU_CYCLE_1)
	s_and_b32 s13, s13, exec_lo
                                        ; implicit-def: $vgpr14
	s_or_saveexec_b32 s31, s31
	v_mov_b32_e32 v13, s30
	s_xor_b32 exec_lo, exec_lo, s31
	s_cbranch_execz .LBB4_5103
.LBB4_5854:                             ;   in Loop: Header=BB4_4876 Depth=3
	v_cmp_ne_u16_e32 vcc_lo, 0, v14
	v_mov_b32_e32 v13, 0
	s_and_not1_b32 s13, s13, exec_lo
	s_and_b32 vcc_lo, vcc_lo, exec_lo
	s_delay_alu instid0(SALU_CYCLE_1)
	s_or_b32 s13, s13, vcc_lo
	s_or_b32 exec_lo, exec_lo, s31
	s_and_saveexec_b32 s30, s13
	s_cbranch_execnz .LBB4_5104
	s_branch .LBB4_5105
.LBB4_5855:                             ;   in Loop: Header=BB4_4876 Depth=3
	s_mov_b32 s13, -1
	s_mov_b32 s34, exec_lo
                                        ; implicit-def: $sgpr30
	v_cmpx_eq_u16_e32 0x80, v12
; %bb.5856:                             ;   in Loop: Header=BB4_4876 Depth=3
	s_mov_b32 s30, 0x7f800001
	s_xor_b32 s13, exec_lo, -1
; %bb.5857:                             ;   in Loop: Header=BB4_4876 Depth=3
	s_or_b32 exec_lo, exec_lo, s34
	s_delay_alu instid0(SALU_CYCLE_1)
	s_and_b32 s13, s13, exec_lo
	s_or_saveexec_b32 s31, s31
	v_mov_b32_e32 v13, s30
	s_xor_b32 exec_lo, exec_lo, s31
	s_cbranch_execz .LBB4_5115
.LBB4_5858:                             ;   in Loop: Header=BB4_4876 Depth=3
	v_cmp_ne_u16_e32 vcc_lo, 0, v12
	v_mov_b32_e32 v13, 0
	s_and_not1_b32 s13, s13, exec_lo
	s_and_b32 vcc_lo, vcc_lo, exec_lo
	s_delay_alu instid0(SALU_CYCLE_1)
	s_or_b32 s13, s13, vcc_lo
	s_or_b32 exec_lo, exec_lo, s31
	s_and_saveexec_b32 s30, s13
	s_cbranch_execnz .LBB4_5116
	s_branch .LBB4_5117
.LBB4_5859:                             ;   in Loop: Header=BB4_4876 Depth=3
	s_mov_b32 s13, -1
	s_mov_b32 s34, exec_lo
                                        ; implicit-def: $sgpr30
	v_cmpx_eq_u16_e32 0x80, v12
; %bb.5860:                             ;   in Loop: Header=BB4_4876 Depth=3
	s_mov_b32 s30, 0x7f800001
	s_xor_b32 s13, exec_lo, -1
; %bb.5861:                             ;   in Loop: Header=BB4_4876 Depth=3
	s_or_b32 exec_lo, exec_lo, s34
	s_delay_alu instid0(SALU_CYCLE_1)
	s_and_b32 s13, s13, exec_lo
                                        ; implicit-def: $vgpr12
	s_or_saveexec_b32 s31, s31
	v_mov_b32_e32 v8, s30
	s_xor_b32 exec_lo, exec_lo, s31
	s_cbranch_execz .LBB4_5127
.LBB4_5862:                             ;   in Loop: Header=BB4_4876 Depth=3
	v_cmp_ne_u16_e32 vcc_lo, 0, v12
	v_mov_b32_e32 v8, 0
	s_and_not1_b32 s13, s13, exec_lo
	s_and_b32 vcc_lo, vcc_lo, exec_lo
	s_delay_alu instid0(SALU_CYCLE_1)
	s_or_b32 s13, s13, vcc_lo
	s_or_b32 exec_lo, exec_lo, s31
	s_and_saveexec_b32 s30, s13
	s_cbranch_execnz .LBB4_5128
	s_branch .LBB4_5129
.LBB4_5863:                             ;   in Loop: Header=BB4_4876 Depth=3
	s_mov_b32 s13, -1
	s_mov_b32 s34, exec_lo
                                        ; implicit-def: $sgpr30
	v_cmpx_eq_u16_e32 0x80, v8
; %bb.5864:                             ;   in Loop: Header=BB4_4876 Depth=3
	s_mov_b32 s30, 0x7f800001
	s_xor_b32 s13, exec_lo, -1
; %bb.5865:                             ;   in Loop: Header=BB4_4876 Depth=3
	s_or_b32 exec_lo, exec_lo, s34
	s_delay_alu instid0(SALU_CYCLE_1)
	s_and_b32 s13, s13, exec_lo
	s_or_saveexec_b32 s31, s31
	v_mov_b32_e32 v12, s30
	s_xor_b32 exec_lo, exec_lo, s31
	s_cbranch_execz .LBB4_5139
.LBB4_5866:                             ;   in Loop: Header=BB4_4876 Depth=3
	v_cmp_ne_u16_e32 vcc_lo, 0, v8
	v_mov_b32_e32 v12, 0
	s_and_not1_b32 s13, s13, exec_lo
	s_and_b32 vcc_lo, vcc_lo, exec_lo
	s_delay_alu instid0(SALU_CYCLE_1)
	s_or_b32 s13, s13, vcc_lo
	s_or_b32 exec_lo, exec_lo, s31
	s_and_saveexec_b32 s30, s13
	s_cbranch_execnz .LBB4_5140
	s_branch .LBB4_5141
.LBB4_5867:                             ;   in Loop: Header=BB4_4876 Depth=3
	s_mov_b32 s13, -1
	s_mov_b32 s34, exec_lo
                                        ; implicit-def: $sgpr30
	v_cmpx_eq_u16_e32 0x80, v13
; %bb.5868:                             ;   in Loop: Header=BB4_4876 Depth=3
	s_mov_b32 s30, 0x7f800001
	s_xor_b32 s13, exec_lo, -1
; %bb.5869:                             ;   in Loop: Header=BB4_4876 Depth=3
	s_or_b32 exec_lo, exec_lo, s34
	s_delay_alu instid0(SALU_CYCLE_1)
	s_and_b32 s13, s13, exec_lo
                                        ; implicit-def: $vgpr13
	s_or_saveexec_b32 s31, s31
	v_mov_b32_e32 v12, s30
	s_xor_b32 exec_lo, exec_lo, s31
	s_cbranch_execz .LBB4_5151
.LBB4_5870:                             ;   in Loop: Header=BB4_4876 Depth=3
	v_cmp_ne_u16_e32 vcc_lo, 0, v13
	v_mov_b32_e32 v12, 0
	s_and_not1_b32 s13, s13, exec_lo
	s_and_b32 vcc_lo, vcc_lo, exec_lo
	s_delay_alu instid0(SALU_CYCLE_1)
	s_or_b32 s13, s13, vcc_lo
	s_or_b32 exec_lo, exec_lo, s31
	s_and_saveexec_b32 s30, s13
	s_cbranch_execnz .LBB4_5152
	s_branch .LBB4_5153
.LBB4_5871:                             ;   in Loop: Header=BB4_4876 Depth=3
	s_mov_b32 s13, -1
	s_mov_b32 s34, exec_lo
                                        ; implicit-def: $sgpr30
	v_cmpx_eq_u16_e32 0x80, v8
; %bb.5872:                             ;   in Loop: Header=BB4_4876 Depth=3
	s_mov_b32 s30, 0x7f800001
	s_xor_b32 s13, exec_lo, -1
; %bb.5873:                             ;   in Loop: Header=BB4_4876 Depth=3
	s_or_b32 exec_lo, exec_lo, s34
	s_delay_alu instid0(SALU_CYCLE_1)
	s_and_b32 s13, s13, exec_lo
	s_or_saveexec_b32 s31, s31
	v_mov_b32_e32 v12, s30
	s_xor_b32 exec_lo, exec_lo, s31
	s_cbranch_execz .LBB4_5163
.LBB4_5874:                             ;   in Loop: Header=BB4_4876 Depth=3
	v_cmp_ne_u16_e32 vcc_lo, 0, v8
	v_mov_b32_e32 v12, 0
	s_and_not1_b32 s13, s13, exec_lo
	s_and_b32 vcc_lo, vcc_lo, exec_lo
	s_delay_alu instid0(SALU_CYCLE_1)
	s_or_b32 s13, s13, vcc_lo
	s_or_b32 exec_lo, exec_lo, s31
	s_and_saveexec_b32 s30, s13
	s_cbranch_execnz .LBB4_5164
	s_branch .LBB4_5165
.LBB4_5875:                             ;   in Loop: Header=BB4_4876 Depth=3
	s_mov_b32 s13, -1
	s_mov_b32 s34, exec_lo
                                        ; implicit-def: $sgpr30
	v_cmpx_eq_u16_e32 0x80, v9
; %bb.5876:                             ;   in Loop: Header=BB4_4876 Depth=3
	s_mov_b32 s30, 0x7f800001
	s_xor_b32 s13, exec_lo, -1
; %bb.5877:                             ;   in Loop: Header=BB4_4876 Depth=3
	s_or_b32 exec_lo, exec_lo, s34
	s_delay_alu instid0(SALU_CYCLE_1)
	s_and_b32 s13, s13, exec_lo
                                        ; implicit-def: $vgpr9
	s_or_saveexec_b32 s31, s31
	v_mov_b32_e32 v8, s30
	s_xor_b32 exec_lo, exec_lo, s31
	s_cbranch_execz .LBB4_5175
.LBB4_5878:                             ;   in Loop: Header=BB4_4876 Depth=3
	v_cmp_ne_u16_e32 vcc_lo, 0, v9
	v_mov_b32_e32 v8, 0
	s_and_not1_b32 s13, s13, exec_lo
	s_and_b32 vcc_lo, vcc_lo, exec_lo
	s_delay_alu instid0(SALU_CYCLE_1)
	s_or_b32 s13, s13, vcc_lo
	s_or_b32 exec_lo, exec_lo, s31
	s_and_saveexec_b32 s30, s13
	s_cbranch_execnz .LBB4_5176
	s_branch .LBB4_5177
.LBB4_5879:                             ;   in Loop: Header=BB4_4876 Depth=3
	s_mov_b32 s13, -1
	s_mov_b32 s34, exec_lo
                                        ; implicit-def: $sgpr30
	v_cmpx_eq_u16_e32 0x80, v8
; %bb.5880:                             ;   in Loop: Header=BB4_4876 Depth=3
	s_mov_b32 s30, 0x7f800001
	s_xor_b32 s13, exec_lo, -1
; %bb.5881:                             ;   in Loop: Header=BB4_4876 Depth=3
	s_or_b32 exec_lo, exec_lo, s34
	s_delay_alu instid0(SALU_CYCLE_1)
	s_and_b32 s13, s13, exec_lo
	s_or_saveexec_b32 s31, s31
	v_mov_b32_e32 v9, s30
	s_xor_b32 exec_lo, exec_lo, s31
	s_cbranch_execz .LBB4_5187
.LBB4_5882:                             ;   in Loop: Header=BB4_4876 Depth=3
	v_cmp_ne_u16_e32 vcc_lo, 0, v8
	v_mov_b32_e32 v9, 0
	s_and_not1_b32 s13, s13, exec_lo
	s_and_b32 vcc_lo, vcc_lo, exec_lo
	s_delay_alu instid0(SALU_CYCLE_1)
	s_or_b32 s13, s13, vcc_lo
	s_or_b32 exec_lo, exec_lo, s31
	s_and_saveexec_b32 s30, s13
	s_cbranch_execnz .LBB4_5188
	s_branch .LBB4_5189
.LBB4_5883:                             ;   in Loop: Header=BB4_4876 Depth=3
	s_mov_b32 s13, -1
	s_mov_b32 s34, exec_lo
                                        ; implicit-def: $sgpr30
	v_cmpx_eq_u16_e32 0x80, v12
; %bb.5884:                             ;   in Loop: Header=BB4_4876 Depth=3
	s_mov_b32 s30, 0x7f800001
	s_xor_b32 s13, exec_lo, -1
; %bb.5885:                             ;   in Loop: Header=BB4_4876 Depth=3
	s_or_b32 exec_lo, exec_lo, s34
	s_delay_alu instid0(SALU_CYCLE_1)
	s_and_b32 s13, s13, exec_lo
                                        ; implicit-def: $vgpr12
	s_or_saveexec_b32 s31, s31
	v_mov_b32_e32 v9, s30
	s_xor_b32 exec_lo, exec_lo, s31
	s_cbranch_execz .LBB4_5199
.LBB4_5886:                             ;   in Loop: Header=BB4_4876 Depth=3
	v_cmp_ne_u16_e32 vcc_lo, 0, v12
	v_mov_b32_e32 v9, 0
	s_and_not1_b32 s13, s13, exec_lo
	s_and_b32 vcc_lo, vcc_lo, exec_lo
	s_delay_alu instid0(SALU_CYCLE_1)
	s_or_b32 s13, s13, vcc_lo
	s_or_b32 exec_lo, exec_lo, s31
	s_and_saveexec_b32 s30, s13
	s_cbranch_execnz .LBB4_5200
	s_branch .LBB4_5201
.LBB4_5887:                             ;   in Loop: Header=BB4_4876 Depth=3
	s_mov_b32 s13, -1
	s_mov_b32 s34, exec_lo
                                        ; implicit-def: $sgpr30
	v_cmpx_eq_u16_e32 0x80, v8
; %bb.5888:                             ;   in Loop: Header=BB4_4876 Depth=3
	s_mov_b32 s30, 0x7f800001
	s_xor_b32 s13, exec_lo, -1
; %bb.5889:                             ;   in Loop: Header=BB4_4876 Depth=3
	s_or_b32 exec_lo, exec_lo, s34
	s_delay_alu instid0(SALU_CYCLE_1)
	s_and_b32 s13, s13, exec_lo
	s_or_saveexec_b32 s31, s31
	v_mov_b32_e32 v9, s30
	s_xor_b32 exec_lo, exec_lo, s31
	s_cbranch_execz .LBB4_5211
.LBB4_5890:                             ;   in Loop: Header=BB4_4876 Depth=3
	v_cmp_ne_u16_e32 vcc_lo, 0, v8
	v_mov_b32_e32 v9, 0
	s_and_not1_b32 s13, s13, exec_lo
	s_and_b32 vcc_lo, vcc_lo, exec_lo
	s_delay_alu instid0(SALU_CYCLE_1)
	s_or_b32 s13, s13, vcc_lo
	s_or_b32 exec_lo, exec_lo, s31
	s_and_saveexec_b32 s30, s13
	s_cbranch_execnz .LBB4_5212
	s_branch .LBB4_5213
.LBB4_5891:                             ;   in Loop: Header=BB4_4876 Depth=3
	s_mov_b32 s13, -1
	s_mov_b32 s34, exec_lo
                                        ; implicit-def: $sgpr30
	v_cmpx_eq_u16_e32 0x80, v9
; %bb.5892:                             ;   in Loop: Header=BB4_4876 Depth=3
	s_mov_b32 s30, 0x7f800001
	s_xor_b32 s13, exec_lo, -1
; %bb.5893:                             ;   in Loop: Header=BB4_4876 Depth=3
	s_or_b32 exec_lo, exec_lo, s34
	s_delay_alu instid0(SALU_CYCLE_1)
	s_and_b32 s13, s13, exec_lo
                                        ; implicit-def: $vgpr9
	s_or_saveexec_b32 s31, s31
	v_mov_b32_e32 v8, s30
	s_xor_b32 exec_lo, exec_lo, s31
	s_cbranch_execz .LBB4_5223
.LBB4_5894:                             ;   in Loop: Header=BB4_4876 Depth=3
	v_cmp_ne_u16_e32 vcc_lo, 0, v9
	v_mov_b32_e32 v8, 0
	s_and_not1_b32 s13, s13, exec_lo
	s_and_b32 vcc_lo, vcc_lo, exec_lo
	s_delay_alu instid0(SALU_CYCLE_1)
	s_or_b32 s13, s13, vcc_lo
	s_or_b32 exec_lo, exec_lo, s31
	s_and_saveexec_b32 s30, s13
	s_cbranch_execnz .LBB4_5224
	s_branch .LBB4_5225
.LBB4_5895:                             ;   in Loop: Header=BB4_4876 Depth=3
	s_mov_b32 s13, -1
	s_mov_b32 s34, exec_lo
                                        ; implicit-def: $sgpr30
	v_cmpx_eq_u16_e32 0x80, v8
; %bb.5896:                             ;   in Loop: Header=BB4_4876 Depth=3
	s_mov_b32 s30, 0x7f800001
	s_xor_b32 s13, exec_lo, -1
; %bb.5897:                             ;   in Loop: Header=BB4_4876 Depth=3
	s_or_b32 exec_lo, exec_lo, s34
	s_delay_alu instid0(SALU_CYCLE_1)
	s_and_b32 s13, s13, exec_lo
	s_or_saveexec_b32 s31, s31
	v_mov_b32_e32 v9, s30
	s_xor_b32 exec_lo, exec_lo, s31
	s_cbranch_execz .LBB4_5235
.LBB4_5898:                             ;   in Loop: Header=BB4_4876 Depth=3
	v_cmp_ne_u16_e32 vcc_lo, 0, v8
	v_mov_b32_e32 v9, 0
	s_and_not1_b32 s13, s13, exec_lo
	s_and_b32 vcc_lo, vcc_lo, exec_lo
	s_delay_alu instid0(SALU_CYCLE_1)
	s_or_b32 s13, s13, vcc_lo
	s_or_b32 exec_lo, exec_lo, s31
	s_and_saveexec_b32 s30, s13
	s_cbranch_execnz .LBB4_5236
	s_branch .LBB4_5237
.LBB4_5899:                             ;   in Loop: Header=BB4_4876 Depth=3
	s_mov_b32 s13, -1
	s_mov_b32 s34, exec_lo
                                        ; implicit-def: $sgpr30
	v_cmpx_eq_u16_e32 0x80, v10
; %bb.5900:                             ;   in Loop: Header=BB4_4876 Depth=3
	s_mov_b32 s30, 0x7f800001
	s_xor_b32 s13, exec_lo, -1
; %bb.5901:                             ;   in Loop: Header=BB4_4876 Depth=3
	s_or_b32 exec_lo, exec_lo, s34
	s_delay_alu instid0(SALU_CYCLE_1)
	s_and_b32 s13, s13, exec_lo
                                        ; implicit-def: $vgpr10
	s_or_saveexec_b32 s31, s31
	v_mov_b32_e32 v9, s30
	s_xor_b32 exec_lo, exec_lo, s31
	s_cbranch_execz .LBB4_5247
.LBB4_5902:                             ;   in Loop: Header=BB4_4876 Depth=3
	v_cmp_ne_u16_e32 vcc_lo, 0, v10
	v_mov_b32_e32 v9, 0
	s_and_not1_b32 s13, s13, exec_lo
	s_and_b32 vcc_lo, vcc_lo, exec_lo
	s_delay_alu instid0(SALU_CYCLE_1)
	s_or_b32 s13, s13, vcc_lo
	s_or_b32 exec_lo, exec_lo, s31
	s_and_saveexec_b32 s30, s13
	s_cbranch_execnz .LBB4_5248
	s_branch .LBB4_5249
.LBB4_5903:                             ;   in Loop: Header=BB4_4876 Depth=3
	s_mov_b32 s13, -1
	s_mov_b32 s34, exec_lo
                                        ; implicit-def: $sgpr30
	v_cmpx_eq_u16_e32 0x80, v8
; %bb.5904:                             ;   in Loop: Header=BB4_4876 Depth=3
	s_mov_b32 s30, 0x7f800001
	s_xor_b32 s13, exec_lo, -1
; %bb.5905:                             ;   in Loop: Header=BB4_4876 Depth=3
	s_or_b32 exec_lo, exec_lo, s34
	s_delay_alu instid0(SALU_CYCLE_1)
	s_and_b32 s13, s13, exec_lo
	s_or_saveexec_b32 s31, s31
	v_mov_b32_e32 v9, s30
	s_xor_b32 exec_lo, exec_lo, s31
	s_cbranch_execz .LBB4_5259
.LBB4_5906:                             ;   in Loop: Header=BB4_4876 Depth=3
	v_cmp_ne_u16_e32 vcc_lo, 0, v8
	v_mov_b32_e32 v9, 0
	s_and_not1_b32 s13, s13, exec_lo
	s_and_b32 vcc_lo, vcc_lo, exec_lo
	s_delay_alu instid0(SALU_CYCLE_1)
	s_or_b32 s13, s13, vcc_lo
	s_or_b32 exec_lo, exec_lo, s31
	s_and_saveexec_b32 s30, s13
	s_cbranch_execnz .LBB4_5260
	s_branch .LBB4_5261
.LBB4_5907:                             ;   in Loop: Header=BB4_4876 Depth=3
	s_mov_b32 s13, -1
	s_mov_b32 s31, exec_lo
                                        ; implicit-def: $sgpr17
	v_cmpx_eq_u16_e32 0x80, v56
; %bb.5908:                             ;   in Loop: Header=BB4_4876 Depth=3
	s_mov_b32 s17, 0x7f800001
	s_xor_b32 s13, exec_lo, -1
; %bb.5909:                             ;   in Loop: Header=BB4_4876 Depth=3
	s_or_b32 exec_lo, exec_lo, s31
	s_delay_alu instid0(SALU_CYCLE_1)
	s_and_b32 s13, s13, exec_lo
                                        ; implicit-def: $vgpr56
	s_or_saveexec_b32 s30, s30
	v_mov_b32_e32 v47, s17
	s_xor_b32 exec_lo, exec_lo, s30
	s_cbranch_execz .LBB4_5271
.LBB4_5910:                             ;   in Loop: Header=BB4_4876 Depth=3
	v_cmp_ne_u16_e32 vcc_lo, 0, v56
	v_mov_b32_e32 v47, 0
	s_and_not1_b32 s13, s13, exec_lo
	s_and_b32 s17, vcc_lo, exec_lo
	s_delay_alu instid0(SALU_CYCLE_1)
	s_or_b32 s13, s13, s17
	s_or_b32 exec_lo, exec_lo, s30
	s_and_saveexec_b32 s17, s13
	s_cbranch_execnz .LBB4_5272
	s_branch .LBB4_5273
.LBB4_5911:                             ;   in Loop: Header=BB4_4876 Depth=3
	s_mov_b32 s13, -1
	s_mov_b32 s31, exec_lo
                                        ; implicit-def: $sgpr17
	v_cmpx_eq_u16_e32 0x80, v56
; %bb.5912:                             ;   in Loop: Header=BB4_4876 Depth=3
	s_mov_b32 s17, 0x7f800001
	s_xor_b32 s13, exec_lo, -1
; %bb.5913:                             ;   in Loop: Header=BB4_4876 Depth=3
	s_or_b32 exec_lo, exec_lo, s31
	s_delay_alu instid0(SALU_CYCLE_1)
	s_and_b32 s13, s13, exec_lo
                                        ; implicit-def: $vgpr56
	s_or_saveexec_b32 s30, s30
	v_mov_b32_e32 v135, s17
	s_xor_b32 exec_lo, exec_lo, s30
	s_cbranch_execz .LBB4_5275
.LBB4_5914:                             ;   in Loop: Header=BB4_4876 Depth=3
	v_cmp_ne_u16_e32 vcc_lo, 0, v56
	v_mov_b32_e32 v135, 0
	s_and_not1_b32 s13, s13, exec_lo
	s_and_b32 s17, vcc_lo, exec_lo
	s_delay_alu instid0(SALU_CYCLE_1)
	s_or_b32 s13, s13, s17
	s_or_b32 exec_lo, exec_lo, s30
	s_and_saveexec_b32 s17, s13
	s_cbranch_execnz .LBB4_5276
	s_branch .LBB4_5277
.LBB4_5915:                             ;   in Loop: Header=BB4_4876 Depth=3
	s_mov_b32 s13, -1
	s_mov_b32 s31, exec_lo
                                        ; implicit-def: $sgpr17
	v_cmpx_eq_u16_e32 0x80, v56
; %bb.5916:                             ;   in Loop: Header=BB4_4876 Depth=3
	s_mov_b32 s17, 0x7f800001
	s_xor_b32 s13, exec_lo, -1
; %bb.5917:                             ;   in Loop: Header=BB4_4876 Depth=3
	s_or_b32 exec_lo, exec_lo, s31
	s_delay_alu instid0(SALU_CYCLE_1)
	s_and_b32 s13, s13, exec_lo
                                        ; implicit-def: $vgpr56
	s_or_saveexec_b32 s30, s30
	v_mov_b32_e32 v47, s17
	s_xor_b32 exec_lo, exec_lo, s30
	s_cbranch_execz .LBB4_5287
.LBB4_5918:                             ;   in Loop: Header=BB4_4876 Depth=3
	v_cmp_ne_u16_e32 vcc_lo, 0, v56
	v_mov_b32_e32 v47, 0
	s_and_not1_b32 s13, s13, exec_lo
	s_and_b32 s17, vcc_lo, exec_lo
	s_delay_alu instid0(SALU_CYCLE_1)
	s_or_b32 s13, s13, s17
	s_or_b32 exec_lo, exec_lo, s30
	s_and_saveexec_b32 s17, s13
	s_cbranch_execnz .LBB4_5288
	s_branch .LBB4_5289
.LBB4_5919:                             ;   in Loop: Header=BB4_4876 Depth=3
	s_mov_b32 s13, -1
	s_mov_b32 s31, exec_lo
                                        ; implicit-def: $sgpr17
	v_cmpx_eq_u16_e64 0x80, v147
; %bb.5920:                             ;   in Loop: Header=BB4_4876 Depth=3
	s_mov_b32 s17, 0x7f800001
	s_xor_b32 s13, exec_lo, -1
; %bb.5921:                             ;   in Loop: Header=BB4_4876 Depth=3
	s_or_b32 exec_lo, exec_lo, s31
	s_delay_alu instid0(SALU_CYCLE_1)
	s_and_b32 s13, s13, exec_lo
	s_or_saveexec_b32 s30, s30
	v_mov_b32_e32 v56, s17
	s_xor_b32 exec_lo, exec_lo, s30
	s_cbranch_execz .LBB4_5291
.LBB4_5922:                             ;   in Loop: Header=BB4_4876 Depth=3
	v_cmp_ne_u16_e64 vcc_lo, 0, v147
	v_mov_b32_e32 v56, 0
	s_and_not1_b32 s13, s13, exec_lo
	s_delay_alu instid0(VALU_DEP_2) | instskip(NEXT) | instid1(SALU_CYCLE_1)
	s_and_b32 s17, vcc_lo, exec_lo
	s_or_b32 s13, s13, s17
	s_or_b32 exec_lo, exec_lo, s30
	s_and_saveexec_b32 s17, s13
	s_cbranch_execnz .LBB4_5292
	s_branch .LBB4_5293
.LBB4_5923:                             ;   in Loop: Header=BB4_4876 Depth=3
	s_mov_b32 s13, -1
	s_mov_b32 s31, exec_lo
                                        ; implicit-def: $sgpr17
	v_cmpx_eq_u16_e32 0x80, v56
; %bb.5924:                             ;   in Loop: Header=BB4_4876 Depth=3
	s_mov_b32 s17, 0x7f800001
	s_xor_b32 s13, exec_lo, -1
; %bb.5925:                             ;   in Loop: Header=BB4_4876 Depth=3
	s_or_b32 exec_lo, exec_lo, s31
	s_delay_alu instid0(SALU_CYCLE_1)
	s_and_b32 s13, s13, exec_lo
                                        ; implicit-def: $vgpr56
	s_or_saveexec_b32 s30, s30
	v_mov_b32_e32 v47, s17
	s_xor_b32 exec_lo, exec_lo, s30
	s_cbranch_execz .LBB4_5303
.LBB4_5926:                             ;   in Loop: Header=BB4_4876 Depth=3
	v_cmp_ne_u16_e32 vcc_lo, 0, v56
	v_mov_b32_e32 v47, 0
	s_and_not1_b32 s13, s13, exec_lo
	s_and_b32 s17, vcc_lo, exec_lo
	s_delay_alu instid0(SALU_CYCLE_1)
	s_or_b32 s13, s13, s17
	s_or_b32 exec_lo, exec_lo, s30
	s_and_saveexec_b32 s17, s13
	s_cbranch_execnz .LBB4_5304
	s_branch .LBB4_5305
.LBB4_5927:                             ;   in Loop: Header=BB4_4876 Depth=3
	s_mov_b32 s13, -1
	s_mov_b32 s31, exec_lo
                                        ; implicit-def: $sgpr17
	v_cmpx_eq_u16_e32 0x80, v57
; %bb.5928:                             ;   in Loop: Header=BB4_4876 Depth=3
	s_mov_b32 s17, 0x7f800001
	s_xor_b32 s13, exec_lo, -1
; %bb.5929:                             ;   in Loop: Header=BB4_4876 Depth=3
	s_or_b32 exec_lo, exec_lo, s31
	s_delay_alu instid0(SALU_CYCLE_1)
	s_and_b32 s13, s13, exec_lo
                                        ; implicit-def: $vgpr57
	s_or_saveexec_b32 s30, s30
	v_mov_b32_e32 v56, s17
	s_xor_b32 exec_lo, exec_lo, s30
	s_cbranch_execz .LBB4_5307
.LBB4_5930:                             ;   in Loop: Header=BB4_4876 Depth=3
	v_cmp_ne_u16_e32 vcc_lo, 0, v57
	v_mov_b32_e32 v56, 0
	s_and_not1_b32 s13, s13, exec_lo
	s_and_b32 s17, vcc_lo, exec_lo
	s_delay_alu instid0(SALU_CYCLE_1)
	s_or_b32 s13, s13, s17
	s_or_b32 exec_lo, exec_lo, s30
	s_and_saveexec_b32 s17, s13
	s_cbranch_execnz .LBB4_5308
	s_branch .LBB4_5309
.LBB4_5931:                             ;   in Loop: Header=BB4_4876 Depth=3
	s_mov_b32 s13, -1
	s_mov_b32 s31, exec_lo
                                        ; implicit-def: $sgpr17
	v_cmpx_eq_u16_e32 0x80, v56
; %bb.5932:                             ;   in Loop: Header=BB4_4876 Depth=3
	s_mov_b32 s17, 0x7f800001
	s_xor_b32 s13, exec_lo, -1
; %bb.5933:                             ;   in Loop: Header=BB4_4876 Depth=3
	s_or_b32 exec_lo, exec_lo, s31
	s_delay_alu instid0(SALU_CYCLE_1)
	s_and_b32 s13, s13, exec_lo
	s_or_saveexec_b32 s30, s30
	v_mov_b32_e32 v47, s17
	s_xor_b32 exec_lo, exec_lo, s30
	s_cbranch_execz .LBB4_5319
.LBB4_5934:                             ;   in Loop: Header=BB4_4876 Depth=3
	v_cmp_ne_u16_e32 vcc_lo, 0, v56
	v_mov_b32_e32 v47, 0
	s_and_not1_b32 s13, s13, exec_lo
	s_and_b32 s17, vcc_lo, exec_lo
	s_delay_alu instid0(SALU_CYCLE_1)
	s_or_b32 s13, s13, s17
	s_or_b32 exec_lo, exec_lo, s30
	s_and_saveexec_b32 s17, s13
	s_cbranch_execnz .LBB4_5320
	s_branch .LBB4_5321
.LBB4_5935:                             ;   in Loop: Header=BB4_4876 Depth=3
	s_mov_b32 s13, -1
	s_mov_b32 s31, exec_lo
                                        ; implicit-def: $sgpr17
	v_cmpx_eq_u16_e64 0x80, v179
; %bb.5936:                             ;   in Loop: Header=BB4_4876 Depth=3
	s_mov_b32 s17, 0x7f800001
	s_xor_b32 s13, exec_lo, -1
; %bb.5937:                             ;   in Loop: Header=BB4_4876 Depth=3
	s_or_b32 exec_lo, exec_lo, s31
	s_delay_alu instid0(SALU_CYCLE_1)
	s_and_b32 s13, s13, exec_lo
	s_or_saveexec_b32 s30, s30
	v_mov_b32_e32 v56, s17
	s_xor_b32 exec_lo, exec_lo, s30
	s_cbranch_execz .LBB4_5323
.LBB4_5938:                             ;   in Loop: Header=BB4_4876 Depth=3
	v_cmp_ne_u16_e64 vcc_lo, 0, v179
	v_mov_b32_e32 v56, 0
	s_and_not1_b32 s13, s13, exec_lo
	s_delay_alu instid0(VALU_DEP_2) | instskip(NEXT) | instid1(SALU_CYCLE_1)
	s_and_b32 s17, vcc_lo, exec_lo
	s_or_b32 s13, s13, s17
	s_or_b32 exec_lo, exec_lo, s30
	s_and_saveexec_b32 s17, s13
	s_cbranch_execnz .LBB4_5324
	s_branch .LBB4_5325
.LBB4_5939:                             ;   in Loop: Header=BB4_4876 Depth=3
	s_mov_b32 s13, -1
	s_mov_b32 s31, exec_lo
                                        ; implicit-def: $sgpr17
	v_cmpx_eq_u16_e64 0x80, v179
; %bb.5940:                             ;   in Loop: Header=BB4_4876 Depth=3
	s_mov_b32 s17, 0x7f800001
	s_xor_b32 s13, exec_lo, -1
; %bb.5941:                             ;   in Loop: Header=BB4_4876 Depth=3
	s_or_b32 exec_lo, exec_lo, s31
	s_delay_alu instid0(SALU_CYCLE_1)
	s_and_b32 s13, s13, exec_lo
                                        ; implicit-def: $vgpr179
	s_or_saveexec_b32 s30, s30
	v_mov_b32_e32 v176, s17
	s_xor_b32 exec_lo, exec_lo, s30
	s_cbranch_execz .LBB4_5335
.LBB4_5942:                             ;   in Loop: Header=BB4_4876 Depth=3
	v_cmp_ne_u16_e64 vcc_lo, 0, v179
	v_mov_b32_e32 v176, 0
	s_and_not1_b32 s13, s13, exec_lo
	s_delay_alu instid0(VALU_DEP_2) | instskip(NEXT) | instid1(SALU_CYCLE_1)
	s_and_b32 s17, vcc_lo, exec_lo
	s_or_b32 s13, s13, s17
	s_or_b32 exec_lo, exec_lo, s30
	s_and_saveexec_b32 s17, s13
	s_cbranch_execnz .LBB4_5336
	s_branch .LBB4_5337
.LBB4_5943:                             ;   in Loop: Header=BB4_4876 Depth=3
	s_mov_b32 s13, -1
	s_mov_b32 s31, exec_lo
                                        ; implicit-def: $sgpr17
	v_cmpx_eq_u16_e32 0x80, v47
; %bb.5944:                             ;   in Loop: Header=BB4_4876 Depth=3
	s_mov_b32 s17, 0x7f800001
	s_xor_b32 s13, exec_lo, -1
; %bb.5945:                             ;   in Loop: Header=BB4_4876 Depth=3
	s_or_b32 exec_lo, exec_lo, s31
	s_delay_alu instid0(SALU_CYCLE_1)
	s_and_b32 s13, s13, exec_lo
                                        ; implicit-def: $vgpr47
	s_or_saveexec_b32 s30, s30
	v_mov_b32_e32 v179, s17
	s_xor_b32 exec_lo, exec_lo, s30
	s_cbranch_execz .LBB4_5339
.LBB4_5946:                             ;   in Loop: Header=BB4_4876 Depth=3
	v_cmp_ne_u16_e32 vcc_lo, 0, v47
	v_mov_b32_e32 v179, 0
	s_and_not1_b32 s13, s13, exec_lo
	s_and_b32 s17, vcc_lo, exec_lo
	s_delay_alu instid0(SALU_CYCLE_1)
	s_or_b32 s13, s13, s17
	s_or_b32 exec_lo, exec_lo, s30
	s_and_saveexec_b32 s17, s13
	s_cbranch_execnz .LBB4_5340
	s_branch .LBB4_5341
.LBB4_5947:                             ;   in Loop: Header=BB4_4876 Depth=3
	s_mov_b32 s13, -1
	s_mov_b32 s31, exec_lo
                                        ; implicit-def: $sgpr17
	v_cmpx_eq_u16_e32 0x80, v47
; %bb.5948:                             ;   in Loop: Header=BB4_4876 Depth=3
	s_mov_b32 s17, 0x7f800001
	s_xor_b32 s13, exec_lo, -1
; %bb.5949:                             ;   in Loop: Header=BB4_4876 Depth=3
	s_or_b32 exec_lo, exec_lo, s31
	s_delay_alu instid0(SALU_CYCLE_1)
	s_and_b32 s13, s13, exec_lo
	s_or_saveexec_b32 s30, s30
	v_mov_b32_e32 v179, s17
	s_xor_b32 exec_lo, exec_lo, s30
	s_cbranch_execz .LBB4_5351
.LBB4_5950:                             ;   in Loop: Header=BB4_4876 Depth=3
	v_cmp_ne_u16_e32 vcc_lo, 0, v47
	v_mov_b32_e32 v179, 0
	s_and_not1_b32 s13, s13, exec_lo
	s_and_b32 s17, vcc_lo, exec_lo
	s_delay_alu instid0(SALU_CYCLE_1)
	s_or_b32 s13, s13, s17
	s_or_b32 exec_lo, exec_lo, s30
	s_and_saveexec_b32 s17, s13
	s_cbranch_execnz .LBB4_5352
	s_branch .LBB4_5353
.LBB4_5951:                             ;   in Loop: Header=BB4_4876 Depth=3
	s_mov_b32 s13, -1
	s_mov_b32 s31, exec_lo
                                        ; implicit-def: $sgpr17
	v_cmpx_eq_u16_e32 0x80, v47
; %bb.5952:                             ;   in Loop: Header=BB4_4876 Depth=3
	s_mov_b32 s17, 0x7f800001
	s_xor_b32 s13, exec_lo, -1
; %bb.5953:                             ;   in Loop: Header=BB4_4876 Depth=3
	s_or_b32 exec_lo, exec_lo, s31
	s_delay_alu instid0(SALU_CYCLE_1)
	s_and_b32 s13, s13, exec_lo
	s_or_saveexec_b32 s30, s30
	v_mov_b32_e32 v56, s17
	s_xor_b32 exec_lo, exec_lo, s30
	s_cbranch_execz .LBB4_5355
.LBB4_5954:                             ;   in Loop: Header=BB4_4876 Depth=3
	v_cmp_ne_u16_e32 vcc_lo, 0, v47
	v_mov_b32_e32 v56, 0
	s_and_not1_b32 s13, s13, exec_lo
	s_and_b32 s17, vcc_lo, exec_lo
	s_delay_alu instid0(SALU_CYCLE_1)
	s_or_b32 s13, s13, s17
	s_or_b32 exec_lo, exec_lo, s30
	s_and_saveexec_b32 s17, s13
	s_cbranch_execnz .LBB4_5356
	s_branch .LBB4_5357
.LBB4_5955:                             ;   in Loop: Header=BB4_4876 Depth=3
	s_mov_b32 s13, -1
	s_mov_b32 s31, exec_lo
                                        ; implicit-def: $sgpr17
	v_cmpx_eq_u16_e32 0x80, v47
; %bb.5956:                             ;   in Loop: Header=BB4_4876 Depth=3
	s_mov_b32 s17, 0x7f800001
	s_xor_b32 s13, exec_lo, -1
; %bb.5957:                             ;   in Loop: Header=BB4_4876 Depth=3
	s_or_b32 exec_lo, exec_lo, s31
	s_delay_alu instid0(SALU_CYCLE_1)
	s_and_b32 s13, s13, exec_lo
                                        ; implicit-def: $vgpr47
	s_or_saveexec_b32 s30, s30
	v_mov_b32_e32 v40, s17
	s_xor_b32 exec_lo, exec_lo, s30
	s_cbranch_execz .LBB4_5367
.LBB4_5958:                             ;   in Loop: Header=BB4_4876 Depth=3
	v_cmp_ne_u16_e32 vcc_lo, 0, v47
	v_mov_b32_e32 v40, 0
	s_and_not1_b32 s13, s13, exec_lo
	s_and_b32 s17, vcc_lo, exec_lo
	s_delay_alu instid0(SALU_CYCLE_1)
	s_or_b32 s13, s13, s17
	s_or_b32 exec_lo, exec_lo, s30
	v_lshl_or_b32 v45, v45, 16, v46
	s_and_saveexec_b32 s17, s13
	s_cbranch_execnz .LBB4_5368
	s_branch .LBB4_5369
.LBB4_5959:                             ;   in Loop: Header=BB4_4876 Depth=3
	s_mov_b32 s13, -1
	s_mov_b32 s31, exec_lo
                                        ; implicit-def: $sgpr17
	v_cmpx_eq_u16_e32 0x80, v56
; %bb.5960:                             ;   in Loop: Header=BB4_4876 Depth=3
	s_mov_b32 s17, 0x7f800001
	s_xor_b32 s13, exec_lo, -1
; %bb.5961:                             ;   in Loop: Header=BB4_4876 Depth=3
	s_or_b32 exec_lo, exec_lo, s31
	s_delay_alu instid0(SALU_CYCLE_1)
	s_and_b32 s13, s13, exec_lo
                                        ; implicit-def: $vgpr56
	s_or_saveexec_b32 s30, s30
	v_mov_b32_e32 v47, s17
	s_xor_b32 exec_lo, exec_lo, s30
	s_cbranch_execz .LBB4_5371
.LBB4_5962:                             ;   in Loop: Header=BB4_4876 Depth=3
	v_cmp_ne_u16_e32 vcc_lo, 0, v56
	v_mov_b32_e32 v47, 0
	s_and_not1_b32 s13, s13, exec_lo
	s_and_b32 s17, vcc_lo, exec_lo
	s_delay_alu instid0(SALU_CYCLE_1)
	s_or_b32 s13, s13, s17
	s_or_b32 exec_lo, exec_lo, s30
	s_and_saveexec_b32 s17, s13
	s_cbranch_execnz .LBB4_5372
	s_branch .LBB4_5373
.LBB4_5963:                             ;   in Loop: Header=BB4_4876 Depth=3
	s_mov_b32 s13, -1
	s_mov_b32 s31, exec_lo
                                        ; implicit-def: $sgpr17
	v_cmpx_eq_u16_e32 0x80, v47
; %bb.5964:                             ;   in Loop: Header=BB4_4876 Depth=3
	s_mov_b32 s17, 0x7f800001
	s_xor_b32 s13, exec_lo, -1
; %bb.5965:                             ;   in Loop: Header=BB4_4876 Depth=3
	s_or_b32 exec_lo, exec_lo, s31
	s_delay_alu instid0(SALU_CYCLE_1)
	s_and_b32 s13, s13, exec_lo
	s_or_saveexec_b32 s30, s30
	v_mov_b32_e32 v46, s17
	s_xor_b32 exec_lo, exec_lo, s30
	s_cbranch_execz .LBB4_5383
.LBB4_5966:                             ;   in Loop: Header=BB4_4876 Depth=3
	v_cmp_ne_u16_e32 vcc_lo, 0, v47
	v_mov_b32_e32 v46, 0
	s_and_not1_b32 s13, s13, exec_lo
	s_and_b32 s17, vcc_lo, exec_lo
	s_delay_alu instid0(SALU_CYCLE_1)
	s_or_b32 s13, s13, s17
	s_or_b32 exec_lo, exec_lo, s30
	s_and_saveexec_b32 s17, s13
	s_cbranch_execnz .LBB4_5384
	s_branch .LBB4_5385
.LBB4_5967:                             ;   in Loop: Header=BB4_4876 Depth=3
	s_mov_b32 s13, -1
	s_mov_b32 s31, exec_lo
                                        ; implicit-def: $sgpr17
	v_cmpx_eq_u16_e32 0x80, v45
; %bb.5968:                             ;   in Loop: Header=BB4_4876 Depth=3
	s_mov_b32 s17, 0x7f800001
	s_xor_b32 s13, exec_lo, -1
; %bb.5969:                             ;   in Loop: Header=BB4_4876 Depth=3
	s_or_b32 exec_lo, exec_lo, s31
	s_delay_alu instid0(SALU_CYCLE_1)
	s_and_b32 s13, s13, exec_lo
	s_or_saveexec_b32 s30, s30
	v_mov_b32_e32 v47, s17
	s_xor_b32 exec_lo, exec_lo, s30
	s_cbranch_execz .LBB4_5387
.LBB4_5970:                             ;   in Loop: Header=BB4_4876 Depth=3
	v_cmp_ne_u16_e32 vcc_lo, 0, v45
	v_mov_b32_e32 v47, 0
	s_and_not1_b32 s13, s13, exec_lo
	s_and_b32 s17, vcc_lo, exec_lo
	s_delay_alu instid0(SALU_CYCLE_1)
	s_or_b32 s13, s13, s17
	s_or_b32 exec_lo, exec_lo, s30
	s_and_saveexec_b32 s17, s13
	s_cbranch_execnz .LBB4_5388
	s_branch .LBB4_5389
.LBB4_5971:                             ;   in Loop: Header=BB4_4876 Depth=3
	s_mov_b32 s13, -1
	s_mov_b32 s31, exec_lo
                                        ; implicit-def: $sgpr17
	v_cmpx_eq_u16_e32 0x80, v46
; %bb.5972:                             ;   in Loop: Header=BB4_4876 Depth=3
	s_mov_b32 s17, 0x7f800001
	s_xor_b32 s13, exec_lo, -1
; %bb.5973:                             ;   in Loop: Header=BB4_4876 Depth=3
	s_or_b32 exec_lo, exec_lo, s31
	s_delay_alu instid0(SALU_CYCLE_1)
	s_and_b32 s13, s13, exec_lo
                                        ; implicit-def: $vgpr46
	s_or_saveexec_b32 s30, s30
	v_mov_b32_e32 v45, s17
	s_xor_b32 exec_lo, exec_lo, s30
	s_cbranch_execz .LBB4_5399
.LBB4_5974:                             ;   in Loop: Header=BB4_4876 Depth=3
	v_cmp_ne_u16_e32 vcc_lo, 0, v46
	v_mov_b32_e32 v45, 0
	s_and_not1_b32 s13, s13, exec_lo
	s_and_b32 s17, vcc_lo, exec_lo
	s_delay_alu instid0(SALU_CYCLE_1)
	s_or_b32 s13, s13, s17
	s_or_b32 exec_lo, exec_lo, s30
	s_and_saveexec_b32 s17, s13
	s_cbranch_execnz .LBB4_5400
	s_branch .LBB4_5401
.LBB4_5975:                             ;   in Loop: Header=BB4_4876 Depth=3
	s_mov_b32 s13, -1
	s_mov_b32 s31, exec_lo
                                        ; implicit-def: $sgpr17
	v_cmpx_eq_u16_e32 0x80, v46
; %bb.5976:                             ;   in Loop: Header=BB4_4876 Depth=3
	s_mov_b32 s17, 0x7f800001
	s_xor_b32 s13, exec_lo, -1
; %bb.5977:                             ;   in Loop: Header=BB4_4876 Depth=3
	s_or_b32 exec_lo, exec_lo, s31
	s_delay_alu instid0(SALU_CYCLE_1)
	s_and_b32 s13, s13, exec_lo
                                        ; implicit-def: $vgpr46
	s_or_saveexec_b32 s30, s30
	v_mov_b32_e32 v44, s17
	s_xor_b32 exec_lo, exec_lo, s30
	s_cbranch_execz .LBB4_5403
.LBB4_5978:                             ;   in Loop: Header=BB4_4876 Depth=3
	v_cmp_ne_u16_e32 vcc_lo, 0, v46
	v_mov_b32_e32 v44, 0
	s_and_not1_b32 s13, s13, exec_lo
	s_and_b32 s17, vcc_lo, exec_lo
	s_delay_alu instid0(SALU_CYCLE_1)
	s_or_b32 s13, s13, s17
	s_or_b32 exec_lo, exec_lo, s30
	s_and_saveexec_b32 s17, s13
	s_cbranch_execnz .LBB4_5404
	s_branch .LBB4_5405
.LBB4_5979:                             ;   in Loop: Header=BB4_4876 Depth=3
	s_mov_b32 s13, -1
	s_mov_b32 s31, exec_lo
                                        ; implicit-def: $sgpr17
	v_cmpx_eq_u16_e32 0x80, v46
; %bb.5980:                             ;   in Loop: Header=BB4_4876 Depth=3
	s_mov_b32 s17, 0x7f800001
	s_xor_b32 s13, exec_lo, -1
; %bb.5981:                             ;   in Loop: Header=BB4_4876 Depth=3
	s_or_b32 exec_lo, exec_lo, s31
	s_delay_alu instid0(SALU_CYCLE_1)
	s_and_b32 s13, s13, exec_lo
                                        ; implicit-def: $vgpr46
	s_or_saveexec_b32 s30, s30
	v_mov_b32_e32 v45, s17
	s_xor_b32 exec_lo, exec_lo, s30
	s_cbranch_execz .LBB4_5415
.LBB4_5982:                             ;   in Loop: Header=BB4_4876 Depth=3
	v_cmp_ne_u16_e32 vcc_lo, 0, v46
	v_mov_b32_e32 v45, 0
	s_and_not1_b32 s13, s13, exec_lo
	s_and_b32 s17, vcc_lo, exec_lo
	s_delay_alu instid0(SALU_CYCLE_1)
	s_or_b32 s13, s13, s17
	s_or_b32 exec_lo, exec_lo, s30
	s_and_saveexec_b32 s17, s13
	s_cbranch_execnz .LBB4_5416
	s_branch .LBB4_5417
.LBB4_5983:                             ;   in Loop: Header=BB4_4876 Depth=3
	s_mov_b32 s13, -1
	s_mov_b32 s31, exec_lo
                                        ; implicit-def: $sgpr17
	v_cmpx_eq_u16_e32 0x80, v42
; %bb.5984:                             ;   in Loop: Header=BB4_4876 Depth=3
	s_mov_b32 s17, 0x7f800001
	s_xor_b32 s13, exec_lo, -1
; %bb.5985:                             ;   in Loop: Header=BB4_4876 Depth=3
	s_or_b32 exec_lo, exec_lo, s31
	s_delay_alu instid0(SALU_CYCLE_1)
	s_and_b32 s13, s13, exec_lo
	s_or_saveexec_b32 s30, s30
	v_mov_b32_e32 v46, s17
	s_xor_b32 exec_lo, exec_lo, s30
	s_cbranch_execz .LBB4_5419
.LBB4_5986:                             ;   in Loop: Header=BB4_4876 Depth=3
	v_cmp_ne_u16_e32 vcc_lo, 0, v42
	v_mov_b32_e32 v46, 0
	s_and_not1_b32 s13, s13, exec_lo
	s_and_b32 s17, vcc_lo, exec_lo
	s_delay_alu instid0(SALU_CYCLE_1)
	s_or_b32 s13, s13, s17
	s_or_b32 exec_lo, exec_lo, s30
	s_and_saveexec_b32 s17, s13
	s_cbranch_execnz .LBB4_5420
	s_branch .LBB4_5421
.LBB4_5987:                             ;   in Loop: Header=BB4_4876 Depth=3
	s_mov_b32 s13, -1
	s_mov_b32 s31, exec_lo
                                        ; implicit-def: $sgpr17
	v_cmpx_eq_u16_e32 0x80, v46
; %bb.5988:                             ;   in Loop: Header=BB4_4876 Depth=3
	s_mov_b32 s17, 0x7f800001
	s_xor_b32 s13, exec_lo, -1
; %bb.5989:                             ;   in Loop: Header=BB4_4876 Depth=3
	s_or_b32 exec_lo, exec_lo, s31
	s_delay_alu instid0(SALU_CYCLE_1)
	s_and_b32 s13, s13, exec_lo
                                        ; implicit-def: $vgpr46
	s_or_saveexec_b32 s30, s30
	v_mov_b32_e32 v45, s17
	s_xor_b32 exec_lo, exec_lo, s30
	s_cbranch_execz .LBB4_5431
.LBB4_5990:                             ;   in Loop: Header=BB4_4876 Depth=3
	v_cmp_ne_u16_e32 vcc_lo, 0, v46
	v_mov_b32_e32 v45, 0
	s_and_not1_b32 s13, s13, exec_lo
	s_and_b32 s17, vcc_lo, exec_lo
	s_delay_alu instid0(SALU_CYCLE_1)
	s_or_b32 s13, s13, s17
	s_or_b32 exec_lo, exec_lo, s30
	s_and_saveexec_b32 s17, s13
	s_cbranch_execnz .LBB4_5432
	s_branch .LBB4_5433
.LBB4_5991:                             ;   in Loop: Header=BB4_4876 Depth=3
	s_mov_b32 s13, -1
	s_mov_b32 s31, exec_lo
                                        ; implicit-def: $sgpr17
	v_cmpx_eq_u16_e32 0x80, v47
; %bb.5992:                             ;   in Loop: Header=BB4_4876 Depth=3
	s_mov_b32 s17, 0x7f800001
	s_xor_b32 s13, exec_lo, -1
; %bb.5993:                             ;   in Loop: Header=BB4_4876 Depth=3
	s_or_b32 exec_lo, exec_lo, s31
	s_delay_alu instid0(SALU_CYCLE_1)
	s_and_b32 s13, s13, exec_lo
                                        ; implicit-def: $vgpr47
	s_or_saveexec_b32 s30, s30
	v_mov_b32_e32 v46, s17
	s_xor_b32 exec_lo, exec_lo, s30
	s_cbranch_execz .LBB4_5435
.LBB4_5994:                             ;   in Loop: Header=BB4_4876 Depth=3
	v_cmp_ne_u16_e32 vcc_lo, 0, v47
	v_mov_b32_e32 v46, 0
	s_and_not1_b32 s13, s13, exec_lo
	s_and_b32 s17, vcc_lo, exec_lo
	s_delay_alu instid0(SALU_CYCLE_1)
	s_or_b32 s13, s13, s17
	s_or_b32 exec_lo, exec_lo, s30
	s_and_saveexec_b32 s17, s13
	s_cbranch_execnz .LBB4_5436
	s_branch .LBB4_5437
.LBB4_5995:                             ;   in Loop: Header=BB4_4876 Depth=3
	s_mov_b32 s13, -1
	s_mov_b32 s31, exec_lo
                                        ; implicit-def: $sgpr17
	v_cmpx_eq_u16_e32 0x80, v46
; %bb.5996:                             ;   in Loop: Header=BB4_4876 Depth=3
	s_mov_b32 s17, 0x7f800001
	s_xor_b32 s13, exec_lo, -1
; %bb.5997:                             ;   in Loop: Header=BB4_4876 Depth=3
	s_or_b32 exec_lo, exec_lo, s31
	s_delay_alu instid0(SALU_CYCLE_1)
	s_and_b32 s13, s13, exec_lo
	s_or_saveexec_b32 s30, s30
	v_mov_b32_e32 v45, s17
	s_xor_b32 exec_lo, exec_lo, s30
	s_cbranch_execz .LBB4_5447
.LBB4_5998:                             ;   in Loop: Header=BB4_4876 Depth=3
	v_cmp_ne_u16_e32 vcc_lo, 0, v46
	v_mov_b32_e32 v45, 0
	s_and_not1_b32 s13, s13, exec_lo
	s_and_b32 s17, vcc_lo, exec_lo
	s_delay_alu instid0(SALU_CYCLE_1)
	s_or_b32 s13, s13, s17
	s_or_b32 exec_lo, exec_lo, s30
	s_and_saveexec_b32 s17, s13
	s_cbranch_execnz .LBB4_5448
	s_branch .LBB4_5449
.LBB4_5999:                             ;   in Loop: Header=BB4_4876 Depth=3
	s_mov_b32 s13, -1
	s_mov_b32 s31, exec_lo
                                        ; implicit-def: $sgpr17
	v_cmpx_eq_u16_e64 0x80, v182
; %bb.6000:                             ;   in Loop: Header=BB4_4876 Depth=3
	s_mov_b32 s17, 0x7f800001
	s_xor_b32 s13, exec_lo, -1
; %bb.6001:                             ;   in Loop: Header=BB4_4876 Depth=3
	s_or_b32 exec_lo, exec_lo, s31
	s_delay_alu instid0(SALU_CYCLE_1)
	s_and_b32 s13, s13, exec_lo
	s_or_saveexec_b32 s30, s30
	v_mov_b32_e32 v46, s17
	s_xor_b32 exec_lo, exec_lo, s30
	s_cbranch_execz .LBB4_5451
.LBB4_6002:                             ;   in Loop: Header=BB4_4876 Depth=3
	v_cmp_ne_u16_e64 vcc_lo, 0, v182
	v_mov_b32_e32 v46, 0
	s_and_not1_b32 s13, s13, exec_lo
	s_delay_alu instid0(VALU_DEP_2) | instskip(NEXT) | instid1(SALU_CYCLE_1)
	s_and_b32 s17, vcc_lo, exec_lo
	s_or_b32 s13, s13, s17
	s_or_b32 exec_lo, exec_lo, s30
	s_and_saveexec_b32 s17, s13
	s_cbranch_execnz .LBB4_5452
	s_branch .LBB4_5453
.LBB4_6003:                             ;   in Loop: Header=BB4_4876 Depth=3
	s_mov_b32 s13, -1
	s_mov_b32 s31, exec_lo
                                        ; implicit-def: $sgpr17
	v_cmpx_eq_u16_e64 0x80, v182
; %bb.6004:                             ;   in Loop: Header=BB4_4876 Depth=3
	s_mov_b32 s17, 0x7f800001
	s_xor_b32 s13, exec_lo, -1
; %bb.6005:                             ;   in Loop: Header=BB4_4876 Depth=3
	s_or_b32 exec_lo, exec_lo, s31
	s_delay_alu instid0(SALU_CYCLE_1)
	s_and_b32 s13, s13, exec_lo
                                        ; implicit-def: $vgpr182
	s_or_saveexec_b32 s30, s30
	v_mov_b32_e32 v181, s17
	s_xor_b32 exec_lo, exec_lo, s30
	s_cbranch_execz .LBB4_5463
.LBB4_6006:                             ;   in Loop: Header=BB4_4876 Depth=3
	v_cmp_ne_u16_e64 vcc_lo, 0, v182
	v_mov_b32_e32 v181, 0
	s_and_not1_b32 s13, s13, exec_lo
	s_delay_alu instid0(VALU_DEP_2) | instskip(NEXT) | instid1(SALU_CYCLE_1)
	s_and_b32 s17, vcc_lo, exec_lo
	s_or_b32 s13, s13, s17
	s_or_b32 exec_lo, exec_lo, s30
	s_and_saveexec_b32 s17, s13
	s_cbranch_execnz .LBB4_5464
	s_branch .LBB4_5465
.LBB4_6007:                             ;   in Loop: Header=BB4_4876 Depth=3
	s_mov_b32 s13, -1
	s_mov_b32 s31, exec_lo
                                        ; implicit-def: $sgpr17
	v_cmpx_eq_u16_e32 0x80, v45
; %bb.6008:                             ;   in Loop: Header=BB4_4876 Depth=3
	s_mov_b32 s17, 0x7f800001
	s_xor_b32 s13, exec_lo, -1
; %bb.6009:                             ;   in Loop: Header=BB4_4876 Depth=3
	s_or_b32 exec_lo, exec_lo, s31
	s_delay_alu instid0(SALU_CYCLE_1)
	s_and_b32 s13, s13, exec_lo
                                        ; implicit-def: $vgpr45
	s_or_saveexec_b32 s30, s30
	v_mov_b32_e32 v182, s17
	s_xor_b32 exec_lo, exec_lo, s30
	s_cbranch_execz .LBB4_5467
.LBB4_6010:                             ;   in Loop: Header=BB4_4876 Depth=3
	v_cmp_ne_u16_e32 vcc_lo, 0, v45
	v_mov_b32_e32 v182, 0
	s_and_not1_b32 s13, s13, exec_lo
	s_and_b32 s17, vcc_lo, exec_lo
	s_delay_alu instid0(SALU_CYCLE_1)
	s_or_b32 s13, s13, s17
	s_or_b32 exec_lo, exec_lo, s30
	s_and_saveexec_b32 s17, s13
	s_cbranch_execnz .LBB4_5468
	s_branch .LBB4_5469
.LBB4_6011:                             ;   in Loop: Header=BB4_4876 Depth=3
	s_mov_b32 s13, -1
	s_mov_b32 s31, exec_lo
                                        ; implicit-def: $sgpr17
	v_cmpx_eq_u16_e32 0x80, v45
; %bb.6012:                             ;   in Loop: Header=BB4_4876 Depth=3
	s_mov_b32 s17, 0x7f800001
	s_xor_b32 s13, exec_lo, -1
; %bb.6013:                             ;   in Loop: Header=BB4_4876 Depth=3
	s_or_b32 exec_lo, exec_lo, s31
	s_delay_alu instid0(SALU_CYCLE_1)
	s_and_b32 s13, s13, exec_lo
	s_or_saveexec_b32 s30, s30
	v_mov_b32_e32 v182, s17
	s_xor_b32 exec_lo, exec_lo, s30
	s_cbranch_execz .LBB4_5479
.LBB4_6014:                             ;   in Loop: Header=BB4_4876 Depth=3
	v_cmp_ne_u16_e32 vcc_lo, 0, v45
	v_mov_b32_e32 v182, 0
	s_and_not1_b32 s13, s13, exec_lo
	s_and_b32 s17, vcc_lo, exec_lo
	s_delay_alu instid0(SALU_CYCLE_1)
	s_or_b32 s13, s13, s17
	s_or_b32 exec_lo, exec_lo, s30
	s_and_saveexec_b32 s17, s13
	s_cbranch_execnz .LBB4_5480
	s_branch .LBB4_5481
.LBB4_6015:                             ;   in Loop: Header=BB4_4876 Depth=3
	s_mov_b32 s13, -1
	s_mov_b32 s31, exec_lo
                                        ; implicit-def: $sgpr17
	v_cmpx_eq_u16_e32 0x80, v45
; %bb.6016:                             ;   in Loop: Header=BB4_4876 Depth=3
	s_mov_b32 s17, 0x7f800001
	s_xor_b32 s13, exec_lo, -1
; %bb.6017:                             ;   in Loop: Header=BB4_4876 Depth=3
	s_or_b32 exec_lo, exec_lo, s31
	s_delay_alu instid0(SALU_CYCLE_1)
	s_and_b32 s13, s13, exec_lo
	s_or_saveexec_b32 s30, s30
	v_mov_b32_e32 v46, s17
	s_xor_b32 exec_lo, exec_lo, s30
	s_cbranch_execz .LBB4_5483
.LBB4_6018:                             ;   in Loop: Header=BB4_4876 Depth=3
	v_cmp_ne_u16_e32 vcc_lo, 0, v45
	v_mov_b32_e32 v46, 0
	s_and_not1_b32 s13, s13, exec_lo
	s_and_b32 s17, vcc_lo, exec_lo
	s_delay_alu instid0(SALU_CYCLE_1)
	s_or_b32 s13, s13, s17
	s_or_b32 exec_lo, exec_lo, s30
	s_and_saveexec_b32 s17, s13
	s_cbranch_execnz .LBB4_5484
	s_branch .LBB4_5485
.LBB4_6019:                             ;   in Loop: Header=BB4_4876 Depth=3
	s_mov_b32 s13, -1
	s_mov_b32 s31, exec_lo
                                        ; implicit-def: $sgpr17
	v_cmpx_eq_u16_e32 0x80, v45
; %bb.6020:                             ;   in Loop: Header=BB4_4876 Depth=3
	s_mov_b32 s17, 0x7f800001
	s_xor_b32 s13, exec_lo, -1
; %bb.6021:                             ;   in Loop: Header=BB4_4876 Depth=3
	s_or_b32 exec_lo, exec_lo, s31
	s_delay_alu instid0(SALU_CYCLE_1)
	s_and_b32 s13, s13, exec_lo
                                        ; implicit-def: $vgpr45
	s_or_saveexec_b32 s30, s30
	v_mov_b32_e32 v180, s17
	s_xor_b32 exec_lo, exec_lo, s30
	s_cbranch_execz .LBB4_5495
.LBB4_6022:                             ;   in Loop: Header=BB4_4876 Depth=3
	v_cmp_ne_u16_e32 vcc_lo, 0, v45
	v_mov_b32_e32 v180, 0
	s_and_not1_b32 s13, s13, exec_lo
	s_and_b32 s17, vcc_lo, exec_lo
	s_delay_alu instid0(SALU_CYCLE_1)
	s_or_b32 s13, s13, s17
	s_or_b32 exec_lo, exec_lo, s30
	v_lshl_or_b32 v183, v183, 16, v43
	s_and_saveexec_b32 s17, s13
	s_cbranch_execnz .LBB4_5496
	s_branch .LBB4_5497
.LBB4_6023:                             ;   in Loop: Header=BB4_4876 Depth=3
	s_mov_b32 s13, -1
	s_mov_b32 s31, exec_lo
                                        ; implicit-def: $sgpr17
	v_cmpx_eq_u16_e32 0x80, v46
; %bb.6024:                             ;   in Loop: Header=BB4_4876 Depth=3
	s_mov_b32 s17, 0x7f800001
	s_xor_b32 s13, exec_lo, -1
; %bb.6025:                             ;   in Loop: Header=BB4_4876 Depth=3
	s_or_b32 exec_lo, exec_lo, s31
	s_delay_alu instid0(SALU_CYCLE_1)
	s_and_b32 s13, s13, exec_lo
                                        ; implicit-def: $vgpr46
	s_or_saveexec_b32 s30, s30
	v_mov_b32_e32 v45, s17
	s_xor_b32 exec_lo, exec_lo, s30
	s_cbranch_execz .LBB4_5499
.LBB4_6026:                             ;   in Loop: Header=BB4_4876 Depth=3
	v_cmp_ne_u16_e32 vcc_lo, 0, v46
	v_mov_b32_e32 v45, 0
	s_and_not1_b32 s13, s13, exec_lo
	s_and_b32 s17, vcc_lo, exec_lo
	s_delay_alu instid0(SALU_CYCLE_1)
	s_or_b32 s13, s13, s17
	s_or_b32 exec_lo, exec_lo, s30
	s_and_saveexec_b32 s17, s13
	s_cbranch_execnz .LBB4_5500
	s_branch .LBB4_5501
.LBB4_6027:                             ;   in Loop: Header=BB4_4876 Depth=3
	s_mov_b32 s13, -1
	s_mov_b32 s31, exec_lo
                                        ; implicit-def: $sgpr17
	v_cmpx_eq_u16_e32 0x80, v45
; %bb.6028:                             ;   in Loop: Header=BB4_4876 Depth=3
	s_mov_b32 s17, 0x7f800001
	s_xor_b32 s13, exec_lo, -1
; %bb.6029:                             ;   in Loop: Header=BB4_4876 Depth=3
	s_or_b32 exec_lo, exec_lo, s31
	s_delay_alu instid0(SALU_CYCLE_1)
	s_and_b32 s13, s13, exec_lo
	s_or_saveexec_b32 s30, s30
	v_mov_b32_e32 v43, s17
	s_xor_b32 exec_lo, exec_lo, s30
	s_cbranch_execz .LBB4_5511
.LBB4_6030:                             ;   in Loop: Header=BB4_4876 Depth=3
	v_cmp_ne_u16_e32 vcc_lo, 0, v45
	v_mov_b32_e32 v43, 0
	s_and_not1_b32 s13, s13, exec_lo
	s_and_b32 s17, vcc_lo, exec_lo
	s_delay_alu instid0(SALU_CYCLE_1)
	s_or_b32 s13, s13, s17
	s_or_b32 exec_lo, exec_lo, s30
	s_and_saveexec_b32 s17, s13
	s_cbranch_execnz .LBB4_5512
	s_branch .LBB4_5513
.LBB4_6031:                             ;   in Loop: Header=BB4_4876 Depth=3
	s_mov_b32 s13, -1
	s_mov_b32 s31, exec_lo
                                        ; implicit-def: $sgpr17
	v_cmpx_eq_u16_e64 0x80, v183
; %bb.6032:                             ;   in Loop: Header=BB4_4876 Depth=3
	s_mov_b32 s17, 0x7f800001
	s_xor_b32 s13, exec_lo, -1
; %bb.6033:                             ;   in Loop: Header=BB4_4876 Depth=3
	s_or_b32 exec_lo, exec_lo, s31
	s_delay_alu instid0(SALU_CYCLE_1)
	s_and_b32 s13, s13, exec_lo
	s_or_saveexec_b32 s30, s30
	v_mov_b32_e32 v45, s17
	s_xor_b32 exec_lo, exec_lo, s30
	s_cbranch_execz .LBB4_5515
.LBB4_6034:                             ;   in Loop: Header=BB4_4876 Depth=3
	v_cmp_ne_u16_e64 vcc_lo, 0, v183
	v_mov_b32_e32 v45, 0
	s_and_not1_b32 s13, s13, exec_lo
	s_delay_alu instid0(VALU_DEP_2) | instskip(NEXT) | instid1(SALU_CYCLE_1)
	s_and_b32 s17, vcc_lo, exec_lo
	s_or_b32 s13, s13, s17
	s_or_b32 exec_lo, exec_lo, s30
	s_and_saveexec_b32 s17, s13
	s_cbranch_execnz .LBB4_5516
	s_branch .LBB4_5517
.LBB4_6035:                             ;   in Loop: Header=BB4_4876 Depth=3
	s_mov_b32 s13, -1
	s_mov_b32 s31, exec_lo
                                        ; implicit-def: $sgpr17
	v_cmpx_eq_u16_e32 0x80, v43
; %bb.6036:                             ;   in Loop: Header=BB4_4876 Depth=3
	s_mov_b32 s17, 0x7f800001
	s_xor_b32 s13, exec_lo, -1
; %bb.6037:                             ;   in Loop: Header=BB4_4876 Depth=3
	s_or_b32 exec_lo, exec_lo, s31
	s_delay_alu instid0(SALU_CYCLE_1)
	s_and_b32 s13, s13, exec_lo
                                        ; implicit-def: $vgpr43
	s_or_saveexec_b32 s30, s30
	v_mov_b32_e32 v183, s17
	s_xor_b32 exec_lo, exec_lo, s30
	s_cbranch_execz .LBB4_5527
.LBB4_6038:                             ;   in Loop: Header=BB4_4876 Depth=3
	v_cmp_ne_u16_e32 vcc_lo, 0, v43
	v_mov_b32_e32 v183, 0
	s_and_not1_b32 s13, s13, exec_lo
	s_and_b32 s17, vcc_lo, exec_lo
	s_delay_alu instid0(SALU_CYCLE_1)
	s_or_b32 s13, s13, s17
	s_or_b32 exec_lo, exec_lo, s30
	s_and_saveexec_b32 s17, s13
	s_cbranch_execnz .LBB4_5528
	s_branch .LBB4_5529
.LBB4_6039:                             ;   in Loop: Header=BB4_4876 Depth=3
	s_mov_b32 s13, -1
	s_mov_b32 s31, exec_lo
                                        ; implicit-def: $sgpr17
	v_cmpx_eq_u16_e32 0x80, v43
; %bb.6040:                             ;   in Loop: Header=BB4_4876 Depth=3
	s_mov_b32 s17, 0x7f800001
	s_xor_b32 s13, exec_lo, -1
; %bb.6041:                             ;   in Loop: Header=BB4_4876 Depth=3
	s_or_b32 exec_lo, exec_lo, s31
	s_delay_alu instid0(SALU_CYCLE_1)
	s_and_b32 s13, s13, exec_lo
                                        ; implicit-def: $vgpr43
	s_or_saveexec_b32 s30, s30
	v_mov_b32_e32 v178, s17
	s_xor_b32 exec_lo, exec_lo, s30
	s_cbranch_execz .LBB4_5531
.LBB4_6042:                             ;   in Loop: Header=BB4_4876 Depth=3
	v_cmp_ne_u16_e32 vcc_lo, 0, v43
	v_mov_b32_e32 v178, 0
	s_and_not1_b32 s13, s13, exec_lo
	s_and_b32 s17, vcc_lo, exec_lo
	s_delay_alu instid0(SALU_CYCLE_1)
	s_or_b32 s13, s13, s17
	s_or_b32 exec_lo, exec_lo, s30
	s_and_saveexec_b32 s17, s13
	s_cbranch_execnz .LBB4_5532
	s_branch .LBB4_5533
.LBB4_6043:                             ;   in Loop: Header=BB4_4876 Depth=3
	s_mov_b32 s13, -1
	s_mov_b32 s31, exec_lo
                                        ; implicit-def: $sgpr17
	v_cmpx_eq_u16_e32 0x80, v43
; %bb.6044:                             ;   in Loop: Header=BB4_4876 Depth=3
	s_mov_b32 s17, 0x7f800001
	s_xor_b32 s13, exec_lo, -1
; %bb.6045:                             ;   in Loop: Header=BB4_4876 Depth=3
	s_or_b32 exec_lo, exec_lo, s31
	s_delay_alu instid0(SALU_CYCLE_1)
	s_and_b32 s13, s13, exec_lo
                                        ; implicit-def: $vgpr43
	s_or_saveexec_b32 s30, s30
	v_mov_b32_e32 v183, s17
	s_xor_b32 exec_lo, exec_lo, s30
	s_cbranch_execz .LBB4_5543
.LBB4_6046:                             ;   in Loop: Header=BB4_4876 Depth=3
	v_cmp_ne_u16_e32 vcc_lo, 0, v43
	v_mov_b32_e32 v183, 0
	s_and_not1_b32 s13, s13, exec_lo
	s_and_b32 s17, vcc_lo, exec_lo
	s_delay_alu instid0(SALU_CYCLE_1)
	s_or_b32 s13, s13, s17
	s_or_b32 exec_lo, exec_lo, s30
	s_and_saveexec_b32 s17, s13
	s_cbranch_execnz .LBB4_5544
	s_branch .LBB4_5545
.LBB4_6047:                             ;   in Loop: Header=BB4_4876 Depth=3
	s_mov_b32 s13, -1
	s_mov_b32 s31, exec_lo
                                        ; implicit-def: $sgpr17
	v_cmpx_eq_u16_e64 0x80, v167
; %bb.6048:                             ;   in Loop: Header=BB4_4876 Depth=3
	s_mov_b32 s17, 0x7f800001
	s_xor_b32 s13, exec_lo, -1
; %bb.6049:                             ;   in Loop: Header=BB4_4876 Depth=3
	s_or_b32 exec_lo, exec_lo, s31
	s_delay_alu instid0(SALU_CYCLE_1)
	s_and_b32 s13, s13, exec_lo
	s_or_saveexec_b32 s30, s30
	v_mov_b32_e32 v43, s17
	s_xor_b32 exec_lo, exec_lo, s30
	s_cbranch_execz .LBB4_5547
.LBB4_6050:                             ;   in Loop: Header=BB4_4876 Depth=3
	v_cmp_ne_u16_e64 vcc_lo, 0, v167
	v_mov_b32_e32 v43, 0
	s_and_not1_b32 s13, s13, exec_lo
	s_delay_alu instid0(VALU_DEP_2) | instskip(NEXT) | instid1(SALU_CYCLE_1)
	s_and_b32 s17, vcc_lo, exec_lo
	s_or_b32 s13, s13, s17
	s_or_b32 exec_lo, exec_lo, s30
	s_and_saveexec_b32 s17, s13
	s_cbranch_execnz .LBB4_5548
	s_branch .LBB4_5549
.LBB4_6051:                             ;   in Loop: Header=BB4_4876 Depth=3
	s_mov_b32 s13, -1
	s_mov_b32 s31, exec_lo
                                        ; implicit-def: $sgpr17
	v_cmpx_eq_u16_e32 0x80, v43
; %bb.6052:                             ;   in Loop: Header=BB4_4876 Depth=3
	s_mov_b32 s17, 0x7f800001
	s_xor_b32 s13, exec_lo, -1
; %bb.6053:                             ;   in Loop: Header=BB4_4876 Depth=3
	s_or_b32 exec_lo, exec_lo, s31
	s_delay_alu instid0(SALU_CYCLE_1)
	s_and_b32 s13, s13, exec_lo
                                        ; implicit-def: $vgpr43
	s_or_saveexec_b32 s30, s30
	v_mov_b32_e32 v183, s17
	s_xor_b32 exec_lo, exec_lo, s30
	s_cbranch_execz .LBB4_5559
.LBB4_6054:                             ;   in Loop: Header=BB4_4876 Depth=3
	v_cmp_ne_u16_e32 vcc_lo, 0, v43
	v_mov_b32_e32 v183, 0
	s_and_not1_b32 s13, s13, exec_lo
	s_and_b32 s17, vcc_lo, exec_lo
	s_delay_alu instid0(SALU_CYCLE_1)
	s_or_b32 s13, s13, s17
	s_or_b32 exec_lo, exec_lo, s30
	s_and_saveexec_b32 s17, s13
	s_cbranch_execnz .LBB4_5560
	s_branch .LBB4_5561
.LBB4_6055:                             ;   in Loop: Header=BB4_4876 Depth=3
	s_mov_b32 s13, -1
	s_mov_b32 s31, exec_lo
                                        ; implicit-def: $sgpr17
	v_cmpx_eq_u16_e32 0x80, v45
; %bb.6056:                             ;   in Loop: Header=BB4_4876 Depth=3
	s_mov_b32 s17, 0x7f800001
	s_xor_b32 s13, exec_lo, -1
; %bb.6057:                             ;   in Loop: Header=BB4_4876 Depth=3
	s_or_b32 exec_lo, exec_lo, s31
	s_delay_alu instid0(SALU_CYCLE_1)
	s_and_b32 s13, s13, exec_lo
                                        ; implicit-def: $vgpr45
	s_or_saveexec_b32 s30, s30
	v_mov_b32_e32 v43, s17
	s_xor_b32 exec_lo, exec_lo, s30
	s_cbranch_execz .LBB4_5563
.LBB4_6058:                             ;   in Loop: Header=BB4_4876 Depth=3
	v_cmp_ne_u16_e32 vcc_lo, 0, v45
	v_mov_b32_e32 v43, 0
	s_and_not1_b32 s13, s13, exec_lo
	s_and_b32 s17, vcc_lo, exec_lo
	s_delay_alu instid0(SALU_CYCLE_1)
	s_or_b32 s13, s13, s17
	s_or_b32 exec_lo, exec_lo, s30
	s_and_saveexec_b32 s17, s13
	s_cbranch_execnz .LBB4_5564
	s_branch .LBB4_5565
.LBB4_6059:                             ;   in Loop: Header=BB4_4876 Depth=3
	s_mov_b32 s13, -1
	s_mov_b32 s31, exec_lo
                                        ; implicit-def: $sgpr17
	v_cmpx_eq_u16_e32 0x80, v43
; %bb.6060:                             ;   in Loop: Header=BB4_4876 Depth=3
	s_mov_b32 s17, 0x7f800001
	s_xor_b32 s13, exec_lo, -1
; %bb.6061:                             ;   in Loop: Header=BB4_4876 Depth=3
	s_or_b32 exec_lo, exec_lo, s31
	s_delay_alu instid0(SALU_CYCLE_1)
	s_and_b32 s13, s13, exec_lo
	s_or_saveexec_b32 s30, s30
	v_mov_b32_e32 v183, s17
	s_xor_b32 exec_lo, exec_lo, s30
	s_cbranch_execz .LBB4_5575
.LBB4_6062:                             ;   in Loop: Header=BB4_4876 Depth=3
	v_cmp_ne_u16_e32 vcc_lo, 0, v43
	v_mov_b32_e32 v183, 0
	s_and_not1_b32 s13, s13, exec_lo
	s_and_b32 s17, vcc_lo, exec_lo
	s_delay_alu instid0(SALU_CYCLE_1)
	s_or_b32 s13, s13, s17
	s_or_b32 exec_lo, exec_lo, s30
	s_and_saveexec_b32 s17, s13
	s_cbranch_execnz .LBB4_5576
	s_branch .LBB4_5577
.LBB4_6063:                             ;   in Loop: Header=BB4_4876 Depth=3
	s_mov_b32 s13, -1
	s_mov_b32 s31, exec_lo
                                        ; implicit-def: $sgpr17
	v_cmpx_eq_u16_e64 0x80, v164
; %bb.6064:                             ;   in Loop: Header=BB4_4876 Depth=3
	s_mov_b32 s17, 0x7f800001
	s_xor_b32 s13, exec_lo, -1
; %bb.6065:                             ;   in Loop: Header=BB4_4876 Depth=3
	s_or_b32 exec_lo, exec_lo, s31
	s_delay_alu instid0(SALU_CYCLE_1)
	s_and_b32 s13, s13, exec_lo
	s_or_saveexec_b32 s30, s30
	v_mov_b32_e32 v43, s17
	s_xor_b32 exec_lo, exec_lo, s30
	s_cbranch_execz .LBB4_5579
.LBB4_6066:                             ;   in Loop: Header=BB4_4876 Depth=3
	v_cmp_ne_u16_e64 vcc_lo, 0, v164
	v_mov_b32_e32 v43, 0
	s_and_not1_b32 s13, s13, exec_lo
	s_delay_alu instid0(VALU_DEP_2) | instskip(NEXT) | instid1(SALU_CYCLE_1)
	s_and_b32 s17, vcc_lo, exec_lo
	s_or_b32 s13, s13, s17
	s_or_b32 exec_lo, exec_lo, s30
	s_and_saveexec_b32 s17, s13
	s_cbranch_execnz .LBB4_5580
	s_branch .LBB4_5581
.LBB4_6067:                             ;   in Loop: Header=BB4_4876 Depth=3
	s_mov_b32 s13, -1
	s_mov_b32 s31, exec_lo
                                        ; implicit-def: $sgpr17
	v_cmpx_eq_u16_e64 0x80, v164
; %bb.6068:                             ;   in Loop: Header=BB4_4876 Depth=3
	s_mov_b32 s17, 0x7f800001
	s_xor_b32 s13, exec_lo, -1
; %bb.6069:                             ;   in Loop: Header=BB4_4876 Depth=3
	s_or_b32 exec_lo, exec_lo, s31
	s_delay_alu instid0(SALU_CYCLE_1)
	s_and_b32 s13, s13, exec_lo
                                        ; implicit-def: $vgpr164
	s_or_saveexec_b32 s30, s30
	v_mov_b32_e32 v163, s17
	s_xor_b32 exec_lo, exec_lo, s30
	s_cbranch_execz .LBB4_5591
.LBB4_6070:                             ;   in Loop: Header=BB4_4876 Depth=3
	v_cmp_ne_u16_e64 vcc_lo, 0, v164
	v_mov_b32_e32 v163, 0
	s_and_not1_b32 s13, s13, exec_lo
	s_delay_alu instid0(VALU_DEP_2) | instskip(NEXT) | instid1(SALU_CYCLE_1)
	s_and_b32 s17, vcc_lo, exec_lo
	s_or_b32 s13, s13, s17
	s_or_b32 exec_lo, exec_lo, s30
	s_and_saveexec_b32 s17, s13
	s_cbranch_execnz .LBB4_5592
	s_branch .LBB4_5593
.LBB4_6071:                             ;   in Loop: Header=BB4_4876 Depth=3
	s_mov_b32 s13, -1
	s_mov_b32 s31, exec_lo
                                        ; implicit-def: $sgpr17
	v_cmpx_eq_u16_e64 0x80, v183
; %bb.6072:                             ;   in Loop: Header=BB4_4876 Depth=3
	s_mov_b32 s17, 0x7f800001
	s_xor_b32 s13, exec_lo, -1
; %bb.6073:                             ;   in Loop: Header=BB4_4876 Depth=3
	s_or_b32 exec_lo, exec_lo, s31
	s_delay_alu instid0(SALU_CYCLE_1)
	s_and_b32 s13, s13, exec_lo
                                        ; implicit-def: $vgpr183
	s_or_saveexec_b32 s30, s30
	v_mov_b32_e32 v164, s17
	s_xor_b32 exec_lo, exec_lo, s30
	s_cbranch_execz .LBB4_5595
.LBB4_6074:                             ;   in Loop: Header=BB4_4876 Depth=3
	v_cmp_ne_u16_e64 vcc_lo, 0, v183
	v_mov_b32_e32 v164, 0
	s_and_not1_b32 s13, s13, exec_lo
	s_delay_alu instid0(VALU_DEP_2) | instskip(NEXT) | instid1(SALU_CYCLE_1)
	s_and_b32 s17, vcc_lo, exec_lo
	s_or_b32 s13, s13, s17
	s_or_b32 exec_lo, exec_lo, s30
	s_and_saveexec_b32 s17, s13
	s_cbranch_execnz .LBB4_5596
	s_branch .LBB4_5597
.LBB4_6075:                             ;   in Loop: Header=BB4_4876 Depth=3
	s_mov_b32 s13, -1
	s_mov_b32 s31, exec_lo
                                        ; implicit-def: $sgpr17
	v_cmpx_eq_u16_e64 0x80, v183
; %bb.6076:                             ;   in Loop: Header=BB4_4876 Depth=3
	s_mov_b32 s17, 0x7f800001
	s_xor_b32 s13, exec_lo, -1
; %bb.6077:                             ;   in Loop: Header=BB4_4876 Depth=3
	s_or_b32 exec_lo, exec_lo, s31
	s_delay_alu instid0(SALU_CYCLE_1)
	s_and_b32 s13, s13, exec_lo
	s_or_saveexec_b32 s30, s30
	v_mov_b32_e32 v164, s17
	s_xor_b32 exec_lo, exec_lo, s30
	s_cbranch_execz .LBB4_5607
.LBB4_6078:                             ;   in Loop: Header=BB4_4876 Depth=3
	v_cmp_ne_u16_e64 vcc_lo, 0, v183
	v_mov_b32_e32 v164, 0
	s_and_not1_b32 s13, s13, exec_lo
	s_delay_alu instid0(VALU_DEP_2) | instskip(NEXT) | instid1(SALU_CYCLE_1)
	s_and_b32 s17, vcc_lo, exec_lo
	s_or_b32 s13, s13, s17
	s_or_b32 exec_lo, exec_lo, s30
	s_and_saveexec_b32 s17, s13
	s_cbranch_execnz .LBB4_5608
	s_branch .LBB4_5609
.LBB4_6079:                             ;   in Loop: Header=BB4_4876 Depth=3
	s_mov_b32 s13, -1
	s_mov_b32 s31, exec_lo
                                        ; implicit-def: $sgpr17
	v_cmpx_eq_u16_e64 0x80, v183
; %bb.6080:                             ;   in Loop: Header=BB4_4876 Depth=3
	s_mov_b32 s17, 0x7f800001
	s_xor_b32 s13, exec_lo, -1
; %bb.6081:                             ;   in Loop: Header=BB4_4876 Depth=3
	s_or_b32 exec_lo, exec_lo, s31
	s_delay_alu instid0(SALU_CYCLE_1)
	s_and_b32 s13, s13, exec_lo
	s_or_saveexec_b32 s30, s30
	v_mov_b32_e32 v43, s17
	s_xor_b32 exec_lo, exec_lo, s30
	s_cbranch_execz .LBB4_5611
.LBB4_6082:                             ;   in Loop: Header=BB4_4876 Depth=3
	v_cmp_ne_u16_e64 vcc_lo, 0, v183
	v_mov_b32_e32 v43, 0
	s_and_not1_b32 s13, s13, exec_lo
	s_delay_alu instid0(VALU_DEP_2) | instskip(NEXT) | instid1(SALU_CYCLE_1)
	s_and_b32 s17, vcc_lo, exec_lo
	s_or_b32 s13, s13, s17
	s_or_b32 exec_lo, exec_lo, s30
	s_and_saveexec_b32 s17, s13
	s_cbranch_execnz .LBB4_5612
	s_branch .LBB4_5613
.LBB4_6083:                             ;   in Loop: Header=BB4_4876 Depth=3
	s_mov_b32 s13, -1
	s_mov_b32 s31, exec_lo
                                        ; implicit-def: $sgpr17
	v_cmpx_eq_u16_e64 0x80, v183
; %bb.6084:                             ;   in Loop: Header=BB4_4876 Depth=3
	s_mov_b32 s17, 0x7f800001
	s_xor_b32 s13, exec_lo, -1
; %bb.6085:                             ;   in Loop: Header=BB4_4876 Depth=3
	s_or_b32 exec_lo, exec_lo, s31
	s_delay_alu instid0(SALU_CYCLE_1)
	s_and_b32 s13, s13, exec_lo
                                        ; implicit-def: $vgpr183
	s_or_saveexec_b32 s30, s30
	v_mov_b32_e32 v162, s17
	s_xor_b32 exec_lo, exec_lo, s30
	s_cbranch_execz .LBB4_5623
.LBB4_6086:                             ;   in Loop: Header=BB4_4876 Depth=3
	v_cmp_ne_u16_e64 vcc_lo, 0, v183
	v_mov_b32_e32 v162, 0
	s_and_not1_b32 s13, s13, exec_lo
	s_delay_alu instid0(VALU_DEP_2) | instskip(NEXT) | instid1(SALU_CYCLE_1)
	s_and_b32 s17, vcc_lo, exec_lo
	s_or_b32 s13, s13, s17
	s_or_b32 exec_lo, exec_lo, s30
	v_lshl_or_b32 v165, v165, 16, v177
	s_and_saveexec_b32 s17, s13
	s_cbranch_execnz .LBB4_5624
	s_branch .LBB4_5625
.LBB4_6087:                             ;   in Loop: Header=BB4_4876 Depth=3
	s_mov_b32 s13, -1
	s_mov_b32 s31, exec_lo
                                        ; implicit-def: $sgpr17
	v_cmpx_eq_u16_e32 0x80, v43
; %bb.6088:                             ;   in Loop: Header=BB4_4876 Depth=3
	s_mov_b32 s17, 0x7f800001
	s_xor_b32 s13, exec_lo, -1
; %bb.6089:                             ;   in Loop: Header=BB4_4876 Depth=3
	s_or_b32 exec_lo, exec_lo, s31
	s_delay_alu instid0(SALU_CYCLE_1)
	s_and_b32 s13, s13, exec_lo
                                        ; implicit-def: $vgpr43
	s_or_saveexec_b32 s30, s30
	v_mov_b32_e32 v183, s17
	s_xor_b32 exec_lo, exec_lo, s30
	s_cbranch_execz .LBB4_5627
.LBB4_6090:                             ;   in Loop: Header=BB4_4876 Depth=3
	v_cmp_ne_u16_e32 vcc_lo, 0, v43
	v_mov_b32_e32 v183, 0
	s_and_not1_b32 s13, s13, exec_lo
	s_and_b32 s17, vcc_lo, exec_lo
	s_delay_alu instid0(SALU_CYCLE_1)
	s_or_b32 s13, s13, s17
	s_or_b32 exec_lo, exec_lo, s30
	s_and_saveexec_b32 s17, s13
	s_cbranch_execnz .LBB4_5628
	s_branch .LBB4_5629
.LBB4_6091:                             ;   in Loop: Header=BB4_4876 Depth=3
	s_mov_b32 s13, -1
	s_mov_b32 s31, exec_lo
                                        ; implicit-def: $sgpr17
	v_cmpx_eq_u16_e64 0x80, v183
; %bb.6092:                             ;   in Loop: Header=BB4_4876 Depth=3
	s_mov_b32 s17, 0x7f800001
	s_xor_b32 s13, exec_lo, -1
; %bb.6093:                             ;   in Loop: Header=BB4_4876 Depth=3
	s_or_b32 exec_lo, exec_lo, s31
	s_delay_alu instid0(SALU_CYCLE_1)
	s_and_b32 s13, s13, exec_lo
	s_or_saveexec_b32 s30, s30
	v_mov_b32_e32 v177, s17
	s_xor_b32 exec_lo, exec_lo, s30
	s_cbranch_execz .LBB4_5639
.LBB4_6094:                             ;   in Loop: Header=BB4_4876 Depth=3
	v_cmp_ne_u16_e64 vcc_lo, 0, v183
	v_mov_b32_e32 v177, 0
	s_and_not1_b32 s13, s13, exec_lo
	s_delay_alu instid0(VALU_DEP_2) | instskip(NEXT) | instid1(SALU_CYCLE_1)
	s_and_b32 s17, vcc_lo, exec_lo
	s_or_b32 s13, s13, s17
	s_or_b32 exec_lo, exec_lo, s30
	s_and_saveexec_b32 s17, s13
	s_cbranch_execnz .LBB4_5640
	s_branch .LBB4_5641
.LBB4_6095:                             ;   in Loop: Header=BB4_4876 Depth=3
	s_mov_b32 s13, -1
	s_mov_b32 s31, exec_lo
                                        ; implicit-def: $sgpr17
	v_cmpx_eq_u16_e64 0x80, v165
; %bb.6096:                             ;   in Loop: Header=BB4_4876 Depth=3
	s_mov_b32 s17, 0x7f800001
	s_xor_b32 s13, exec_lo, -1
; %bb.6097:                             ;   in Loop: Header=BB4_4876 Depth=3
	s_or_b32 exec_lo, exec_lo, s31
	s_delay_alu instid0(SALU_CYCLE_1)
	s_and_b32 s13, s13, exec_lo
	s_or_saveexec_b32 s30, s30
	v_mov_b32_e32 v183, s17
	s_xor_b32 exec_lo, exec_lo, s30
	s_cbranch_execz .LBB4_5643
.LBB4_6098:                             ;   in Loop: Header=BB4_4876 Depth=3
	v_cmp_ne_u16_e64 vcc_lo, 0, v165
	v_mov_b32_e32 v183, 0
	s_and_not1_b32 s13, s13, exec_lo
	s_delay_alu instid0(VALU_DEP_2) | instskip(NEXT) | instid1(SALU_CYCLE_1)
	s_and_b32 s17, vcc_lo, exec_lo
	s_or_b32 s13, s13, s17
	s_or_b32 exec_lo, exec_lo, s30
	s_and_saveexec_b32 s17, s13
	s_cbranch_execnz .LBB4_5644
	s_branch .LBB4_5645
.LBB4_6099:                             ;   in Loop: Header=BB4_4876 Depth=3
	s_mov_b32 s13, -1
	s_mov_b32 s31, exec_lo
                                        ; implicit-def: $sgpr17
	v_cmpx_eq_u16_e64 0x80, v177
; %bb.6100:                             ;   in Loop: Header=BB4_4876 Depth=3
	s_mov_b32 s17, 0x7f800001
	s_xor_b32 s13, exec_lo, -1
; %bb.6101:                             ;   in Loop: Header=BB4_4876 Depth=3
	s_or_b32 exec_lo, exec_lo, s31
	s_delay_alu instid0(SALU_CYCLE_1)
	s_and_b32 s13, s13, exec_lo
                                        ; implicit-def: $vgpr177
	s_or_saveexec_b32 s30, s30
	v_mov_b32_e32 v165, s17
	s_xor_b32 exec_lo, exec_lo, s30
	s_cbranch_execz .LBB4_5655
.LBB4_6102:                             ;   in Loop: Header=BB4_4876 Depth=3
	v_cmp_ne_u16_e64 vcc_lo, 0, v177
	v_mov_b32_e32 v165, 0
	s_and_not1_b32 s13, s13, exec_lo
	s_delay_alu instid0(VALU_DEP_2) | instskip(NEXT) | instid1(SALU_CYCLE_1)
	s_and_b32 s17, vcc_lo, exec_lo
	s_or_b32 s13, s13, s17
	s_or_b32 exec_lo, exec_lo, s30
	s_and_saveexec_b32 s17, s13
	s_cbranch_execnz .LBB4_5656
	s_branch .LBB4_5657
.LBB4_6103:                             ;   in Loop: Header=BB4_4876 Depth=3
	s_mov_b32 s13, -1
	s_mov_b32 s31, exec_lo
                                        ; implicit-def: $sgpr17
	v_cmpx_eq_u16_e64 0x80, v177
; %bb.6104:                             ;   in Loop: Header=BB4_4876 Depth=3
	s_mov_b32 s17, 0x7f800001
	s_xor_b32 s13, exec_lo, -1
; %bb.6105:                             ;   in Loop: Header=BB4_4876 Depth=3
	s_or_b32 exec_lo, exec_lo, s31
	s_delay_alu instid0(SALU_CYCLE_1)
	s_and_b32 s13, s13, exec_lo
                                        ; implicit-def: $vgpr177
	s_or_saveexec_b32 s30, s30
	v_mov_b32_e32 v160, s17
	s_xor_b32 exec_lo, exec_lo, s30
	s_cbranch_execz .LBB4_5659
.LBB4_6106:                             ;   in Loop: Header=BB4_4876 Depth=3
	v_cmp_ne_u16_e64 vcc_lo, 0, v177
	v_mov_b32_e32 v160, 0
	s_and_not1_b32 s13, s13, exec_lo
	s_delay_alu instid0(VALU_DEP_2) | instskip(NEXT) | instid1(SALU_CYCLE_1)
	s_and_b32 s17, vcc_lo, exec_lo
	s_or_b32 s13, s13, s17
	s_or_b32 exec_lo, exec_lo, s30
	s_and_saveexec_b32 s17, s13
	s_cbranch_execnz .LBB4_5660
	s_branch .LBB4_5661
.LBB4_6107:                             ;   in Loop: Header=BB4_4876 Depth=3
	s_mov_b32 s13, -1
	s_mov_b32 s31, exec_lo
                                        ; implicit-def: $sgpr17
	v_cmpx_eq_u16_e64 0x80, v177
; %bb.6108:                             ;   in Loop: Header=BB4_4876 Depth=3
	s_mov_b32 s17, 0x7f800001
	s_xor_b32 s13, exec_lo, -1
; %bb.6109:                             ;   in Loop: Header=BB4_4876 Depth=3
	s_or_b32 exec_lo, exec_lo, s31
	s_delay_alu instid0(SALU_CYCLE_1)
	s_and_b32 s13, s13, exec_lo
                                        ; implicit-def: $vgpr177
	s_or_saveexec_b32 s30, s30
	v_mov_b32_e32 v165, s17
	s_xor_b32 exec_lo, exec_lo, s30
	s_cbranch_execz .LBB4_5671
.LBB4_6110:                             ;   in Loop: Header=BB4_4876 Depth=3
	v_cmp_ne_u16_e64 vcc_lo, 0, v177
	v_mov_b32_e32 v165, 0
	s_and_not1_b32 s13, s13, exec_lo
	s_delay_alu instid0(VALU_DEP_2) | instskip(NEXT) | instid1(SALU_CYCLE_1)
	s_and_b32 s17, vcc_lo, exec_lo
	s_or_b32 s13, s13, s17
	s_or_b32 exec_lo, exec_lo, s30
	s_and_saveexec_b32 s17, s13
	s_cbranch_execnz .LBB4_5672
	s_branch .LBB4_5673
.LBB4_6111:                             ;   in Loop: Header=BB4_4876 Depth=3
	s_mov_b32 s13, -1
	s_mov_b32 s31, exec_lo
                                        ; implicit-def: $sgpr17
	v_cmpx_eq_u16_e64 0x80, v150
; %bb.6112:                             ;   in Loop: Header=BB4_4876 Depth=3
	s_mov_b32 s17, 0x7f800001
	s_xor_b32 s13, exec_lo, -1
; %bb.6113:                             ;   in Loop: Header=BB4_4876 Depth=3
	s_or_b32 exec_lo, exec_lo, s31
	s_delay_alu instid0(SALU_CYCLE_1)
	s_and_b32 s13, s13, exec_lo
	s_or_saveexec_b32 s30, s30
	v_mov_b32_e32 v177, s17
	s_xor_b32 exec_lo, exec_lo, s30
	s_cbranch_execz .LBB4_5675
.LBB4_6114:                             ;   in Loop: Header=BB4_4876 Depth=3
	v_cmp_ne_u16_e64 vcc_lo, 0, v150
	v_mov_b32_e32 v177, 0
	s_and_not1_b32 s13, s13, exec_lo
	s_delay_alu instid0(VALU_DEP_2) | instskip(NEXT) | instid1(SALU_CYCLE_1)
	s_and_b32 s17, vcc_lo, exec_lo
	s_or_b32 s13, s13, s17
	s_or_b32 exec_lo, exec_lo, s30
	s_and_saveexec_b32 s17, s13
	s_cbranch_execnz .LBB4_5676
	s_branch .LBB4_5677
.LBB4_6115:                             ;   in Loop: Header=BB4_4876 Depth=3
	s_mov_b32 s13, -1
	s_mov_b32 s31, exec_lo
                                        ; implicit-def: $sgpr17
	v_cmpx_eq_u16_e64 0x80, v177
; %bb.6116:                             ;   in Loop: Header=BB4_4876 Depth=3
	s_mov_b32 s17, 0x7f800001
	s_xor_b32 s13, exec_lo, -1
; %bb.6117:                             ;   in Loop: Header=BB4_4876 Depth=3
	s_or_b32 exec_lo, exec_lo, s31
	s_delay_alu instid0(SALU_CYCLE_1)
	s_and_b32 s13, s13, exec_lo
                                        ; implicit-def: $vgpr177
	s_or_saveexec_b32 s30, s30
	v_mov_b32_e32 v165, s17
	s_xor_b32 exec_lo, exec_lo, s30
	s_cbranch_execz .LBB4_5687
.LBB4_6118:                             ;   in Loop: Header=BB4_4876 Depth=3
	v_cmp_ne_u16_e64 vcc_lo, 0, v177
	v_mov_b32_e32 v165, 0
	s_and_not1_b32 s13, s13, exec_lo
	s_delay_alu instid0(VALU_DEP_2) | instskip(NEXT) | instid1(SALU_CYCLE_1)
	s_and_b32 s17, vcc_lo, exec_lo
	s_or_b32 s13, s13, s17
	s_or_b32 exec_lo, exec_lo, s30
	s_and_saveexec_b32 s17, s13
	s_cbranch_execnz .LBB4_5688
	s_branch .LBB4_5689
.LBB4_6119:                             ;   in Loop: Header=BB4_4876 Depth=3
	s_mov_b32 s13, -1
	s_mov_b32 s31, exec_lo
                                        ; implicit-def: $sgpr17
	v_cmpx_eq_u16_e64 0x80, v183
; %bb.6120:                             ;   in Loop: Header=BB4_4876 Depth=3
	s_mov_b32 s17, 0x7f800001
	s_xor_b32 s13, exec_lo, -1
; %bb.6121:                             ;   in Loop: Header=BB4_4876 Depth=3
	s_or_b32 exec_lo, exec_lo, s31
	s_delay_alu instid0(SALU_CYCLE_1)
	s_and_b32 s13, s13, exec_lo
                                        ; implicit-def: $vgpr183
	s_or_saveexec_b32 s30, s30
	v_mov_b32_e32 v177, s17
	s_xor_b32 exec_lo, exec_lo, s30
	s_cbranch_execz .LBB4_5691
.LBB4_6122:                             ;   in Loop: Header=BB4_4876 Depth=3
	v_cmp_ne_u16_e64 vcc_lo, 0, v183
	v_mov_b32_e32 v177, 0
	s_and_not1_b32 s13, s13, exec_lo
	s_delay_alu instid0(VALU_DEP_2) | instskip(NEXT) | instid1(SALU_CYCLE_1)
	s_and_b32 s17, vcc_lo, exec_lo
	s_or_b32 s13, s13, s17
	s_or_b32 exec_lo, exec_lo, s30
	s_and_saveexec_b32 s17, s13
	s_cbranch_execnz .LBB4_5692
	s_branch .LBB4_5693
.LBB4_6123:                             ;   in Loop: Header=BB4_4876 Depth=3
	s_mov_b32 s13, -1
	s_mov_b32 s31, exec_lo
                                        ; implicit-def: $sgpr17
	v_cmpx_eq_u16_e64 0x80, v177
; %bb.6124:                             ;   in Loop: Header=BB4_4876 Depth=3
	s_mov_b32 s17, 0x7f800001
	s_xor_b32 s13, exec_lo, -1
; %bb.6125:                             ;   in Loop: Header=BB4_4876 Depth=3
	s_or_b32 exec_lo, exec_lo, s31
	s_delay_alu instid0(SALU_CYCLE_1)
	s_and_b32 s13, s13, exec_lo
	s_or_saveexec_b32 s30, s30
	v_mov_b32_e32 v165, s17
	s_xor_b32 exec_lo, exec_lo, s30
	s_cbranch_execz .LBB4_5703
.LBB4_6126:                             ;   in Loop: Header=BB4_4876 Depth=3
	v_cmp_ne_u16_e64 vcc_lo, 0, v177
	v_mov_b32_e32 v165, 0
	s_and_not1_b32 s13, s13, exec_lo
	s_delay_alu instid0(VALU_DEP_2) | instskip(NEXT) | instid1(SALU_CYCLE_1)
	s_and_b32 s17, vcc_lo, exec_lo
	s_or_b32 s13, s13, s17
	s_or_b32 exec_lo, exec_lo, s30
	s_and_saveexec_b32 s17, s13
	s_cbranch_execnz .LBB4_5704
	s_branch .LBB4_5705
.LBB4_6127:                             ;   in Loop: Header=BB4_4876 Depth=3
	s_mov_b32 s13, -1
	s_mov_b32 s31, exec_lo
                                        ; implicit-def: $sgpr17
	v_cmpx_eq_u16_e64 0x80, v146
; %bb.6128:                             ;   in Loop: Header=BB4_4876 Depth=3
	s_mov_b32 s17, 0x7f800001
	s_xor_b32 s13, exec_lo, -1
; %bb.6129:                             ;   in Loop: Header=BB4_4876 Depth=3
	s_or_b32 exec_lo, exec_lo, s31
	s_delay_alu instid0(SALU_CYCLE_1)
	s_and_b32 s13, s13, exec_lo
	s_or_saveexec_b32 s30, s30
	v_mov_b32_e32 v177, s17
	s_xor_b32 exec_lo, exec_lo, s30
	s_cbranch_execz .LBB4_5707
.LBB4_6130:                             ;   in Loop: Header=BB4_4876 Depth=3
	v_cmp_ne_u16_e64 vcc_lo, 0, v146
	v_mov_b32_e32 v177, 0
	s_and_not1_b32 s13, s13, exec_lo
	s_delay_alu instid0(VALU_DEP_2) | instskip(NEXT) | instid1(SALU_CYCLE_1)
	s_and_b32 s17, vcc_lo, exec_lo
	s_or_b32 s13, s13, s17
	s_or_b32 exec_lo, exec_lo, s30
	s_and_saveexec_b32 s17, s13
	s_cbranch_execnz .LBB4_5708
	s_branch .LBB4_5709
.LBB4_6131:                             ;   in Loop: Header=BB4_4876 Depth=3
	s_mov_b32 s13, -1
	s_mov_b32 s31, exec_lo
                                        ; implicit-def: $sgpr17
	v_cmpx_eq_u16_e64 0x80, v146
; %bb.6132:                             ;   in Loop: Header=BB4_4876 Depth=3
	s_mov_b32 s17, 0x7f800001
	s_xor_b32 s13, exec_lo, -1
; %bb.6133:                             ;   in Loop: Header=BB4_4876 Depth=3
	s_or_b32 exec_lo, exec_lo, s31
	s_delay_alu instid0(SALU_CYCLE_1)
	s_and_b32 s13, s13, exec_lo
                                        ; implicit-def: $vgpr146
	s_or_saveexec_b32 s30, s30
	v_mov_b32_e32 v145, s17
	s_xor_b32 exec_lo, exec_lo, s30
	s_cbranch_execz .LBB4_5719
.LBB4_6134:                             ;   in Loop: Header=BB4_4876 Depth=3
	v_cmp_ne_u16_e64 vcc_lo, 0, v146
	v_mov_b32_e32 v145, 0
	s_and_not1_b32 s13, s13, exec_lo
	s_delay_alu instid0(VALU_DEP_2) | instskip(NEXT) | instid1(SALU_CYCLE_1)
	s_and_b32 s17, vcc_lo, exec_lo
	s_or_b32 s13, s13, s17
	s_or_b32 exec_lo, exec_lo, s30
	s_and_saveexec_b32 s17, s13
	s_cbranch_execnz .LBB4_5720
	s_branch .LBB4_5721
.LBB4_6135:                             ;   in Loop: Header=BB4_4876 Depth=3
	s_mov_b32 s13, -1
	s_mov_b32 s31, exec_lo
                                        ; implicit-def: $sgpr17
	v_cmpx_eq_u16_e64 0x80, v165
; %bb.6136:                             ;   in Loop: Header=BB4_4876 Depth=3
	s_mov_b32 s17, 0x7f800001
	s_xor_b32 s13, exec_lo, -1
; %bb.6137:                             ;   in Loop: Header=BB4_4876 Depth=3
	s_or_b32 exec_lo, exec_lo, s31
	s_delay_alu instid0(SALU_CYCLE_1)
	s_and_b32 s13, s13, exec_lo
                                        ; implicit-def: $vgpr165
	s_or_saveexec_b32 s30, s30
	v_mov_b32_e32 v146, s17
	s_xor_b32 exec_lo, exec_lo, s30
	s_cbranch_execz .LBB4_5723
.LBB4_6138:                             ;   in Loop: Header=BB4_4876 Depth=3
	v_cmp_ne_u16_e64 vcc_lo, 0, v165
	v_mov_b32_e32 v146, 0
	s_and_not1_b32 s13, s13, exec_lo
	s_delay_alu instid0(VALU_DEP_2) | instskip(NEXT) | instid1(SALU_CYCLE_1)
	s_and_b32 s17, vcc_lo, exec_lo
	s_or_b32 s13, s13, s17
	s_or_b32 exec_lo, exec_lo, s30
	s_and_saveexec_b32 s17, s13
	s_cbranch_execnz .LBB4_5724
	s_branch .LBB4_5725
.LBB4_6139:                             ;   in Loop: Header=BB4_4876 Depth=3
	s_mov_b32 s13, -1
	s_mov_b32 s31, exec_lo
                                        ; implicit-def: $sgpr17
	v_cmpx_eq_u16_e64 0x80, v165
; %bb.6140:                             ;   in Loop: Header=BB4_4876 Depth=3
	s_mov_b32 s17, 0x7f800001
	s_xor_b32 s13, exec_lo, -1
; %bb.6141:                             ;   in Loop: Header=BB4_4876 Depth=3
	s_or_b32 exec_lo, exec_lo, s31
	s_delay_alu instid0(SALU_CYCLE_1)
	s_and_b32 s13, s13, exec_lo
	s_or_saveexec_b32 s30, s30
	v_mov_b32_e32 v146, s17
	s_xor_b32 exec_lo, exec_lo, s30
	s_cbranch_execz .LBB4_5735
.LBB4_6142:                             ;   in Loop: Header=BB4_4876 Depth=3
	v_cmp_ne_u16_e64 vcc_lo, 0, v165
	v_mov_b32_e32 v146, 0
	s_and_not1_b32 s13, s13, exec_lo
	s_delay_alu instid0(VALU_DEP_2) | instskip(NEXT) | instid1(SALU_CYCLE_1)
	s_and_b32 s17, vcc_lo, exec_lo
	s_or_b32 s13, s13, s17
	s_or_b32 exec_lo, exec_lo, s30
	s_and_saveexec_b32 s17, s13
	s_cbranch_execnz .LBB4_5736
	s_branch .LBB4_5737
.LBB4_6143:                             ;   in Loop: Header=BB4_4876 Depth=3
	s_mov_b32 s13, -1
	s_mov_b32 s31, exec_lo
                                        ; implicit-def: $sgpr17
	v_cmpx_eq_u16_e64 0x80, v165
; %bb.6144:                             ;   in Loop: Header=BB4_4876 Depth=3
	s_mov_b32 s17, 0x7f800001
	s_xor_b32 s13, exec_lo, -1
; %bb.6145:                             ;   in Loop: Header=BB4_4876 Depth=3
	s_or_b32 exec_lo, exec_lo, s31
	s_delay_alu instid0(SALU_CYCLE_1)
	s_and_b32 s13, s13, exec_lo
	s_or_saveexec_b32 s30, s30
	v_mov_b32_e32 v177, s17
	s_xor_b32 exec_lo, exec_lo, s30
	s_cbranch_execz .LBB4_5739
.LBB4_6146:                             ;   in Loop: Header=BB4_4876 Depth=3
	v_cmp_ne_u16_e64 vcc_lo, 0, v165
	v_mov_b32_e32 v177, 0
	s_and_not1_b32 s13, s13, exec_lo
	s_delay_alu instid0(VALU_DEP_2) | instskip(NEXT) | instid1(SALU_CYCLE_1)
	s_and_b32 s17, vcc_lo, exec_lo
	s_or_b32 s13, s13, s17
	s_or_b32 exec_lo, exec_lo, s30
	s_and_saveexec_b32 s17, s13
	s_cbranch_execnz .LBB4_5740
	s_branch .LBB4_5741
.LBB4_6147:                             ;   in Loop: Header=BB4_4876 Depth=3
	s_mov_b32 s13, -1
	s_mov_b32 s31, exec_lo
                                        ; implicit-def: $sgpr17
	v_cmpx_eq_u16_e64 0x80, v165
; %bb.6148:                             ;   in Loop: Header=BB4_4876 Depth=3
	s_mov_b32 s17, 0x7f800001
	s_xor_b32 s13, exec_lo, -1
; %bb.6149:                             ;   in Loop: Header=BB4_4876 Depth=3
	s_or_b32 exec_lo, exec_lo, s31
	s_delay_alu instid0(SALU_CYCLE_1)
	s_and_b32 s13, s13, exec_lo
                                        ; implicit-def: $vgpr165
	s_or_saveexec_b32 s30, s30
	v_mov_b32_e32 v144, s17
	s_xor_b32 exec_lo, exec_lo, s30
	s_cbranch_execz .LBB4_5751
.LBB4_6150:                             ;   in Loop: Header=BB4_4876 Depth=3
	v_cmp_ne_u16_e64 vcc_lo, 0, v165
	v_mov_b32_e32 v144, 0
	s_and_not1_b32 s13, s13, exec_lo
	s_delay_alu instid0(VALU_DEP_2) | instskip(NEXT) | instid1(SALU_CYCLE_1)
	s_and_b32 s17, vcc_lo, exec_lo
	s_or_b32 s13, s13, s17
	s_or_b32 exec_lo, exec_lo, s30
	v_lshl_or_b32 v148, v148, 16, v151
	s_and_saveexec_b32 s17, s13
	s_cbranch_execnz .LBB4_5752
	s_branch .LBB4_5753
.LBB4_6151:                             ;   in Loop: Header=BB4_4876 Depth=3
	s_mov_b32 s13, -1
	s_mov_b32 s31, exec_lo
                                        ; implicit-def: $sgpr17
	v_cmpx_eq_u16_e64 0x80, v177
; %bb.6152:                             ;   in Loop: Header=BB4_4876 Depth=3
	s_mov_b32 s17, 0x7f800001
	s_xor_b32 s13, exec_lo, -1
; %bb.6153:                             ;   in Loop: Header=BB4_4876 Depth=3
	s_or_b32 exec_lo, exec_lo, s31
	s_delay_alu instid0(SALU_CYCLE_1)
	s_and_b32 s13, s13, exec_lo
                                        ; implicit-def: $vgpr177
	s_or_saveexec_b32 s30, s30
	v_mov_b32_e32 v165, s17
	s_xor_b32 exec_lo, exec_lo, s30
	s_cbranch_execz .LBB4_5755
.LBB4_6154:                             ;   in Loop: Header=BB4_4876 Depth=3
	v_cmp_ne_u16_e64 vcc_lo, 0, v177
	v_mov_b32_e32 v165, 0
	s_and_not1_b32 s13, s13, exec_lo
	s_delay_alu instid0(VALU_DEP_2) | instskip(NEXT) | instid1(SALU_CYCLE_1)
	s_and_b32 s17, vcc_lo, exec_lo
	s_or_b32 s13, s13, s17
	s_or_b32 exec_lo, exec_lo, s30
	s_and_saveexec_b32 s17, s13
	s_cbranch_execnz .LBB4_5756
	s_branch .LBB4_5757
.LBB4_6155:                             ;   in Loop: Header=BB4_4876 Depth=3
	s_mov_b32 s13, -1
	s_mov_b32 s31, exec_lo
                                        ; implicit-def: $sgpr17
	v_cmpx_eq_u16_e64 0x80, v165
; %bb.6156:                             ;   in Loop: Header=BB4_4876 Depth=3
	s_mov_b32 s17, 0x7f800001
	s_xor_b32 s13, exec_lo, -1
; %bb.6157:                             ;   in Loop: Header=BB4_4876 Depth=3
	s_or_b32 exec_lo, exec_lo, s31
	s_delay_alu instid0(SALU_CYCLE_1)
	s_and_b32 s13, s13, exec_lo
	s_or_saveexec_b32 s30, s30
	v_mov_b32_e32 v151, s17
	s_xor_b32 exec_lo, exec_lo, s30
	s_cbranch_execz .LBB4_5767
.LBB4_6158:                             ;   in Loop: Header=BB4_4876 Depth=3
	v_cmp_ne_u16_e64 vcc_lo, 0, v165
	v_mov_b32_e32 v151, 0
	s_and_not1_b32 s13, s13, exec_lo
	s_delay_alu instid0(VALU_DEP_2) | instskip(NEXT) | instid1(SALU_CYCLE_1)
	s_and_b32 s17, vcc_lo, exec_lo
	s_or_b32 s13, s13, s17
	s_or_b32 exec_lo, exec_lo, s30
	s_and_saveexec_b32 s17, s13
	s_cbranch_execnz .LBB4_5768
	s_branch .LBB4_5769
.LBB4_6159:                             ;   in Loop: Header=BB4_4876 Depth=3
	s_mov_b32 s13, -1
	s_mov_b32 s31, exec_lo
                                        ; implicit-def: $sgpr17
	v_cmpx_eq_u16_e64 0x80, v148
; %bb.6160:                             ;   in Loop: Header=BB4_4876 Depth=3
	s_mov_b32 s17, 0x7f800001
	s_xor_b32 s13, exec_lo, -1
; %bb.6161:                             ;   in Loop: Header=BB4_4876 Depth=3
	s_or_b32 exec_lo, exec_lo, s31
	s_delay_alu instid0(SALU_CYCLE_1)
	s_and_b32 s13, s13, exec_lo
	s_or_saveexec_b32 s30, s30
	v_mov_b32_e32 v165, s17
	s_xor_b32 exec_lo, exec_lo, s30
	s_cbranch_execz .LBB4_5771
.LBB4_6162:                             ;   in Loop: Header=BB4_4876 Depth=3
	v_cmp_ne_u16_e64 vcc_lo, 0, v148
	v_mov_b32_e32 v165, 0
	s_and_not1_b32 s13, s13, exec_lo
	s_delay_alu instid0(VALU_DEP_2) | instskip(NEXT) | instid1(SALU_CYCLE_1)
	s_and_b32 s17, vcc_lo, exec_lo
	s_or_b32 s13, s13, s17
	s_or_b32 exec_lo, exec_lo, s30
	s_and_saveexec_b32 s17, s13
	s_cbranch_execnz .LBB4_5772
	s_branch .LBB4_5773
.LBB4_6163:                             ;   in Loop: Header=BB4_4786 Depth=2
	s_mov_b32 s13, -1
	s_branch .LBB4_7541
.LBB4_6164:                             ;   in Loop: Header=BB4_4786 Depth=2
	s_or_b32 exec_lo, exec_lo, s15
.LBB4_6165:                             ;   in Loop: Header=BB4_4786 Depth=2
	s_delay_alu instid0(SALU_CYCLE_1) | instskip(SKIP_4) | instid1(VALU_DEP_2)
	s_or_b32 exec_lo, exec_lo, s14
	v_lshlrev_b32_e32 v66, 10, v133
	v_mov_b32_e32 v64, 0
	s_mov_b32 s13, 0
	s_mov_b32 s16, exec_lo
                                        ; implicit-def: $vgpr65
                                        ; implicit-def: $vgpr67
                                        ; implicit-def: $vgpr8
	v_cmpx_ne_u32_e64 v132, v66
	s_cbranch_execz .LBB4_6825
; %bb.6166:                             ;   in Loop: Header=BB4_4786 Depth=2
	v_lshlrev_b32_e32 v2, 5, v2
	v_sub_nc_u32_e32 v9, v132, v66
	s_mov_b32 s17, exec_lo
	s_delay_alu instid0(VALU_DEP_2) | instskip(NEXT) | instid1(VALU_DEP_2)
	v_sub_nc_u32_e32 v2, v84, v2
	v_ashrrev_i32_e32 v10, 31, v9
	s_delay_alu instid0(VALU_DEP_2) | instskip(NEXT) | instid1(VALU_DEP_2)
	v_ashrrev_i32_e32 v8, 31, v2
	v_lshrrev_b32_e32 v10, 23, v10
	s_delay_alu instid0(VALU_DEP_2) | instskip(NEXT) | instid1(VALU_DEP_2)
	v_lshrrev_b32_e32 v8, 27, v8
	v_add_nc_u32_e32 v10, v9, v10
	s_delay_alu instid0(VALU_DEP_2) | instskip(NEXT) | instid1(VALU_DEP_1)
	v_add_nc_u32_e32 v8, v2, v8
	v_and_b32_e32 v11, 0xffffffe0, v8
	s_delay_alu instid0(VALU_DEP_1) | instskip(NEXT) | instid1(VALU_DEP_4)
	v_sub_nc_u32_e32 v68, v2, v11
	v_and_b32_e32 v2, 0xfffffe00, v10
	v_ashrrev_i32_e32 v11, 5, v8
	v_ashrrev_i32_e32 v10, 9, v10
	s_delay_alu instid0(VALU_DEP_4) | instskip(NEXT) | instid1(VALU_DEP_4)
	v_lshlrev_b32_e32 v8, 4, v68
	v_sub_nc_u32_e32 v69, v9, v2
	s_delay_alu instid0(VALU_DEP_2) | instskip(NEXT) | instid1(VALU_DEP_2)
	v_lshl_add_u32 v8, v11, 9, v8
	v_cmp_lt_i32_e64 s13, 15, v69
	s_delay_alu instid0(VALU_DEP_2) | instskip(NEXT) | instid1(VALU_DEP_2)
	v_sub_nc_u32_e32 v67, v9, v8
	v_add_co_ci_u32_e64 v10, vcc_lo, 0, v10, s13
	s_delay_alu instid0(VALU_DEP_1) | instskip(NEXT) | instid1(VALU_DEP_3)
	v_sub_nc_u32_e32 v133, v10, v11
	v_cmpx_lt_i32_e32 15, v67
	s_cbranch_execz .LBB4_6822
; %bb.6167:                             ;   in Loop: Header=BB4_4786 Depth=2
	s_cbranch_execz .LBB4_6168
; %bb.11709:
	s_getpc_b64 s[48:49]
.Lpost_getpc263:
	s_add_u32 s48, s48, (.LBB4_11329-.Lpost_getpc263)&4294967295
	s_addc_u32 s49, s49, (.LBB4_11329-.Lpost_getpc263)>>32
	s_setpc_b64 s[48:49]
.LBB4_6168:                             ;   in Loop: Header=BB4_4786 Depth=2
	ds_load_b64 v[9:10], v0
	ds_load_b128 v[12:15], v0
	v_add_nc_u32_e32 v8, v8, v66
	s_waitcnt lgkmcnt(1)
	s_delay_alu instid0(VALU_DEP_1) | instskip(SKIP_3) | instid1(VALU_DEP_3)
	v_ashrrev_i32_e32 v10, 31, v8
	v_readfirstlane_b32 s14, v9
	s_waitcnt lgkmcnt(0)
	v_add_co_u32 v12, vcc_lo, v12, v8
	v_add_co_ci_u32_e32 v13, vcc_lo, v13, v10, vcc_lo
	s_delay_alu instid0(VALU_DEP_3)
	s_and_b32 s15, s14, 3
	v_add_co_u32 v14, vcc_lo, v14, v8
	s_clz_i32_u32 s30, s15
	v_add_co_ci_u32_e32 v15, vcc_lo, v15, v10, vcc_lo
	s_min_u32 s30, s30, 32
	s_bfe_u32 s31, s14, 0x50002
	s_sub_i32 vcc_lo, s30, 29
	s_delay_alu instid0(VALU_DEP_1)
	v_mov_b32_e32 v65, v15
	s_lshl_b32 vcc_lo, s14, vcc_lo
	s_sub_i32 s30, 30, s30
	s_and_b32 vcc_lo, vcc_lo, 3
	s_cmp_eq_u32 s31, 0
	v_mov_b32_e32 v54, v13
	s_cselect_b32 s30, s30, s31
	s_cselect_b32 s15, vcc_lo, s15
	s_lshl_b32 s14, s14, 24
	s_lshl_b32 vcc_lo, s30, 23
	s_and_b32 s14, s14, 0x80000000
	s_add_i32 vcc_lo, vcc_lo, 0x37800000
	v_dual_mov_b32 v53, v12 :: v_dual_and_b32 v134, 0xff, v9
	v_mov_b32_e32 v64, v14
	s_lshl_b32 s15, s15, 21
	s_or_b32 s14, s14, vcc_lo
	s_mov_b32 s30, 0
	s_or_b32 s31, s14, s15
.LBB4_6169:                             ;   Parent Loop BB4_51 Depth=1
                                        ;     Parent Loop BB4_4786 Depth=2
                                        ; =>    This Loop Header: Depth=3
                                        ;         Child Loop BB4_6627 Depth 4
	v_cmp_gt_i16_e64 vcc_lo, 0x80, v134
	s_delay_alu instid0(VALU_DEP_1)
	s_and_b32 vcc_lo, exec_lo, vcc_lo
	s_cbranch_vccnz .LBB4_6173
; %bb.6170:                             ;   in Loop: Header=BB4_6169 Depth=3
	v_cmp_eq_u16_e64 vcc_lo, 0x80, v134
	s_mov_b32 s14, -1
                                        ; implicit-def: $sgpr15
	s_delay_alu instid0(VALU_DEP_1)
	s_and_b32 vcc_lo, exec_lo, vcc_lo
	s_cbranch_vccz .LBB4_6172
; %bb.6171:                             ;   in Loop: Header=BB4_6169 Depth=3
	s_mov_b32 s14, 0
	s_mov_b32 s15, 0x7f800001
.LBB4_6172:                             ;   in Loop: Header=BB4_6169 Depth=3
	s_mov_b32 vcc_lo, 0
	s_branch .LBB4_6174
.LBB4_6173:                             ;   in Loop: Header=BB4_6169 Depth=3
	s_mov_b32 vcc_lo, -1
	s_mov_b32 s14, 0
                                        ; implicit-def: $sgpr15
.LBB4_6174:                             ;   in Loop: Header=BB4_6169 Depth=3
	s_and_b32 vcc_lo, exec_lo, vcc_lo
	s_cbranch_vccz .LBB4_6176
; %bb.6175:                             ;   in Loop: Header=BB4_6169 Depth=3
	v_cmp_ne_u16_e64 s14, 0, v134
	s_mov_b32 s15, 0
.LBB4_6176:                             ;   in Loop: Header=BB4_6169 Depth=3
	s_delay_alu instid0(VALU_DEP_1)
	s_and_not1_b32 vcc_lo, exec_lo, s14
	s_cbranch_vccnz .LBB4_6178
; %bb.6177:                             ;   in Loop: Header=BB4_6169 Depth=3
	s_mov_b32 s15, s31
.LBB4_6178:                             ;   in Loop: Header=BB4_6169 Depth=3
	global_load_b128 v[8:11], v[53:54], off slc dlc
	s_mov_b32 s14, 0
	s_mov_b32 s35, exec_lo
                                        ; implicit-def: $sgpr34
	s_waitcnt vmcnt(0)
	v_and_b32_e32 v144, 0xff, v8
	s_delay_alu instid0(VALU_DEP_1)
	v_cmpx_lt_i16_e64 0x7f, v144
	s_xor_b32 s35, exec_lo, s35
	s_cbranch_execnz .LBB4_6629
; %bb.6179:                             ;   in Loop: Header=BB4_6169 Depth=3
	s_or_saveexec_b32 s35, s35
	v_mov_b32_e32 v135, s34
	s_xor_b32 exec_lo, exec_lo, s35
	s_cbranch_execnz .LBB4_6632
.LBB4_6180:                             ;   in Loop: Header=BB4_6169 Depth=3
	s_or_b32 exec_lo, exec_lo, s35
	s_and_saveexec_b32 s34, s14
	s_cbranch_execz .LBB4_6182
.LBB4_6181:                             ;   in Loop: Header=BB4_6169 Depth=3
	v_and_b32_e32 v135, 3, v8
	v_bfe_u32 v146, v8, 2, 5
	v_lshlrev_b32_e32 v147, 24, v8
	s_delay_alu instid0(VALU_DEP_3) | instskip(NEXT) | instid1(VALU_DEP_3)
	v_clz_i32_u32_e32 v144, v135
	v_cmp_eq_u32_e32 vcc_lo, 0, v146
	s_delay_alu instid0(VALU_DEP_2) | instskip(NEXT) | instid1(VALU_DEP_1)
	v_min_u32_e32 v144, 32, v144
	v_subrev_nc_u32_e32 v145, 29, v144
	v_sub_nc_u32_e32 v144, 30, v144
	s_delay_alu instid0(VALU_DEP_2) | instskip(NEXT) | instid1(VALU_DEP_1)
	v_lshlrev_b32_e32 v145, v145, v8
	v_dual_cndmask_b32 v144, v146, v144 :: v_dual_and_b32 v145, 3, v145
	s_delay_alu instid0(VALU_DEP_1) | instskip(NEXT) | instid1(VALU_DEP_2)
	v_lshl_add_u32 v144, v144, 23, 0x37800000
	v_cndmask_b32_e32 v135, v135, v145, vcc_lo
	v_and_b32_e32 v145, 0x80000000, v147
	s_delay_alu instid0(VALU_DEP_2) | instskip(NEXT) | instid1(VALU_DEP_1)
	v_lshlrev_b32_e32 v135, 21, v135
	v_or3_b32 v135, v145, v144, v135
.LBB4_6182:                             ;   in Loop: Header=BB4_6169 Depth=3
	s_or_b32 exec_lo, exec_lo, s34
	s_delay_alu instid0(VALU_DEP_1) | instskip(NEXT) | instid1(VALU_DEP_1)
	v_mul_f32_e32 v144, s15, v135
	v_and_b32_e32 v135, 0x7f800000, v144
	s_delay_alu instid0(VALU_DEP_1)
	v_cmp_ne_u32_e32 vcc_lo, 0x7f800000, v135
	v_mov_b32_e32 v135, 0x80
	s_and_saveexec_b32 s34, vcc_lo
	s_cbranch_execz .LBB4_6190
; %bb.6183:                             ;   in Loop: Header=BB4_6169 Depth=3
	v_mov_b32_e32 v135, 0
	s_mov_b32 s35, exec_lo
	v_cmpx_ne_u32_e32 0, v144
	s_cbranch_execz .LBB4_6189
; %bb.6184:                             ;   in Loop: Header=BB4_6169 Depth=3
	v_bfe_u32 v135, v144, 23, 8
	s_delay_alu instid0(VALU_DEP_1) | instskip(SKIP_1) | instid1(VALU_DEP_2)
	v_sub_nc_u32_e32 v146, 0x70, v135
	v_cmp_gt_u32_e32 vcc_lo, 0x71, v135
	v_dual_cndmask_b32 v146, 0, v146 :: v_dual_and_b32 v145, 0x7fffff, v144
	s_delay_alu instid0(VALU_DEP_1) | instskip(SKIP_2) | instid1(VALU_DEP_4)
	v_or_b32_e32 v147, 0x800000, v145
	v_cmp_eq_u32_e32 vcc_lo, 0, v135
	v_add_nc_u32_e32 v135, 0xffffff91, v135
	v_cndmask_b32_e64 v146, v146, 0x6f, vcc_lo
	s_delay_alu instid0(VALU_DEP_2) | instskip(SKIP_1) | instid1(VALU_DEP_3)
	v_cndmask_b32_e64 v135, v135, 0xffffff92, vcc_lo
	v_cndmask_b32_e32 v145, v147, v145, vcc_lo
	v_lshl_add_u32 v147, 0x200000, v146, -1
	v_lshlrev_b32_e64 v150, v146, 0x100000
	s_delay_alu instid0(VALU_DEP_3) | instskip(SKIP_1) | instid1(VALU_DEP_4)
	v_lshrrev_b32_e32 v148, v146, v145
	v_add_nc_u32_e32 v146, v146, v135
	v_and_b32_e32 v145, v147, v145
	s_delay_alu instid0(VALU_DEP_3) | instskip(NEXT) | instid1(VALU_DEP_2)
	v_bfe_u32 v149, v148, 21, 1
	v_cmp_eq_u32_e64 s14, v145, v150
	s_delay_alu instid0(VALU_DEP_2) | instskip(NEXT) | instid1(VALU_DEP_1)
	v_add_nc_u32_e32 v147, -1, v149
	v_cndmask_b32_e64 v145, 0, v147, s14
	v_lshrrev_b32_e32 v147, 23, v148
	s_mov_b32 s14, exec_lo
	s_delay_alu instid0(VALU_DEP_2) | instskip(NEXT) | instid1(VALU_DEP_2)
	v_add_nc_u32_e32 v145, v145, v148
	v_xor_b32_e32 v147, 1, v147
	s_delay_alu instid0(VALU_DEP_2) | instskip(NEXT) | instid1(VALU_DEP_1)
	v_and_b32_e32 v135, 0x1fffff, v145
	v_add_nc_u32_e32 v145, v135, v148
                                        ; implicit-def: $vgpr135
	s_delay_alu instid0(VALU_DEP_3)
	v_cmpx_ne_u32_e64 v146, v147
	s_xor_b32 s14, exec_lo, s14
; %bb.6185:                             ;   in Loop: Header=BB4_6169 Depth=3
	s_delay_alu instid0(VALU_DEP_2) | instskip(SKIP_2) | instid1(VALU_DEP_2)
	v_cmp_lt_u32_e32 vcc_lo, 0xffffff, v145
	v_sub_nc_u32_e32 v135, v146, v147
	v_cndmask_b32_e64 v146, 0, 1, vcc_lo
	v_add_co_ci_u32_e32 v135, vcc_lo, 0, v135, vcc_lo
	s_delay_alu instid0(VALU_DEP_2)
	v_lshrrev_b32_e32 v145, v146, v145
; %bb.6186:                             ;   in Loop: Header=BB4_6169 Depth=3
	s_and_not1_saveexec_b32 s14, s14
; %bb.6187:                             ;   in Loop: Header=BB4_6169 Depth=3
	s_delay_alu instid0(VALU_DEP_1)
	v_bfe_u32 v135, v145, 23, 1
; %bb.6188:                             ;   in Loop: Header=BB4_6169 Depth=3
	s_or_b32 exec_lo, exec_lo, s14
	v_lshrrev_b32_e32 v145, 21, v145
	s_delay_alu instid0(VALU_DEP_2) | instskip(SKIP_2) | instid1(VALU_DEP_2)
	v_cmp_gt_i32_e32 vcc_lo, 32, v135
	v_lshrrev_b32_e32 v144, 24, v144
	v_min_i32_e32 v146, 31, v135
	v_dual_cndmask_b32 v145, 3, v145 :: v_dual_and_b32 v144, 0x80, v144
	s_delay_alu instid0(VALU_DEP_1) | instskip(SKIP_1) | instid1(VALU_DEP_2)
	v_or_b32_e32 v135, v135, v145
	v_and_b32_e32 v147, 3, v145
	v_cmp_ne_u32_e32 vcc_lo, 0, v135
	v_lshlrev_b32_e32 v146, 2, v146
	s_delay_alu instid0(VALU_DEP_1) | instskip(NEXT) | instid1(VALU_DEP_1)
	v_or3_b32 v144, v146, v144, v147
	v_cndmask_b32_e32 v135, 0, v144, vcc_lo
.LBB4_6189:                             ;   in Loop: Header=BB4_6169 Depth=3
	s_or_b32 exec_lo, exec_lo, s35
.LBB4_6190:                             ;   in Loop: Header=BB4_6169 Depth=3
	s_delay_alu instid0(SALU_CYCLE_1) | instskip(SKIP_3) | instid1(VALU_DEP_1)
	s_or_b32 exec_lo, exec_lo, s34
	v_lshrrev_b16 v144, 8, v8
	s_mov_b32 s14, 0
	s_mov_b32 s35, exec_lo
                                        ; implicit-def: $sgpr34
	v_cmpx_lt_i16_e64 0x7f, v144
	s_xor_b32 s35, exec_lo, s35
	s_cbranch_execnz .LBB4_6633
; %bb.6191:                             ;   in Loop: Header=BB4_6169 Depth=3
	s_or_saveexec_b32 s35, s35
	v_mov_b32_e32 v145, s34
	s_xor_b32 exec_lo, exec_lo, s35
	s_cbranch_execnz .LBB4_6636
.LBB4_6192:                             ;   in Loop: Header=BB4_6169 Depth=3
	s_or_b32 exec_lo, exec_lo, s35
	s_and_saveexec_b32 s34, s14
	s_cbranch_execz .LBB4_6194
.LBB4_6193:                             ;   in Loop: Header=BB4_6169 Depth=3
	v_and_b32_e32 v145, 0xffff, v144
	v_lshlrev_b32_e32 v144, 24, v144
	s_delay_alu instid0(VALU_DEP_2) | instskip(NEXT) | instid1(VALU_DEP_2)
	v_and_b32_e32 v146, 3, v145
	v_and_b32_e32 v144, 0x80000000, v144
	s_delay_alu instid0(VALU_DEP_2) | instskip(NEXT) | instid1(VALU_DEP_1)
	v_clz_i32_u32_e32 v147, v146
	v_min_u32_e32 v147, 32, v147
	s_delay_alu instid0(VALU_DEP_1) | instskip(SKIP_1) | instid1(VALU_DEP_2)
	v_subrev_nc_u32_e32 v148, 29, v147
	v_sub_nc_u32_e32 v147, 30, v147
	v_lshlrev_b32_e32 v148, v148, v145
	v_bfe_u32 v145, v145, 2, 5
	s_delay_alu instid0(VALU_DEP_2) | instskip(NEXT) | instid1(VALU_DEP_2)
	v_and_b32_e32 v148, 3, v148
	v_cmp_eq_u32_e32 vcc_lo, 0, v145
	s_delay_alu instid0(VALU_DEP_2) | instskip(NEXT) | instid1(VALU_DEP_1)
	v_dual_cndmask_b32 v145, v145, v147 :: v_dual_cndmask_b32 v146, v146, v148
	v_lshl_add_u32 v145, v145, 23, 0x37800000
	s_delay_alu instid0(VALU_DEP_2) | instskip(NEXT) | instid1(VALU_DEP_1)
	v_lshlrev_b32_e32 v146, 21, v146
	v_or3_b32 v145, v144, v145, v146
.LBB4_6194:                             ;   in Loop: Header=BB4_6169 Depth=3
	s_or_b32 exec_lo, exec_lo, s34
	s_delay_alu instid0(VALU_DEP_1) | instskip(SKIP_1) | instid1(VALU_DEP_1)
	v_dual_mul_f32 v144, s15, v145 :: v_dual_mov_b32 v147, 0x80
	s_mov_b32 s34, exec_lo
	v_and_b32_e32 v145, 0x7f800000, v144
	s_delay_alu instid0(VALU_DEP_1)
	v_cmpx_ne_u32_e32 0x7f800000, v145
	s_cbranch_execz .LBB4_6202
; %bb.6195:                             ;   in Loop: Header=BB4_6169 Depth=3
	v_mov_b32_e32 v147, 0
	s_mov_b32 s35, exec_lo
	v_cmpx_ne_u32_e32 0, v144
	s_cbranch_execz .LBB4_6201
; %bb.6196:                             ;   in Loop: Header=BB4_6169 Depth=3
	v_bfe_u32 v145, v144, 23, 8
	s_delay_alu instid0(VALU_DEP_1) | instskip(SKIP_1) | instid1(VALU_DEP_2)
	v_sub_nc_u32_e32 v147, 0x70, v145
	v_cmp_gt_u32_e32 vcc_lo, 0x71, v145
	v_dual_cndmask_b32 v147, 0, v147 :: v_dual_and_b32 v146, 0x7fffff, v144
	s_delay_alu instid0(VALU_DEP_1) | instskip(SKIP_2) | instid1(VALU_DEP_4)
	v_or_b32_e32 v148, 0x800000, v146
	v_cmp_eq_u32_e32 vcc_lo, 0, v145
	v_add_nc_u32_e32 v145, 0xffffff91, v145
	v_cndmask_b32_e64 v147, v147, 0x6f, vcc_lo
	s_delay_alu instid0(VALU_DEP_4) | instskip(NEXT) | instid1(VALU_DEP_3)
	v_cndmask_b32_e32 v146, v148, v146, vcc_lo
	v_cndmask_b32_e64 v145, v145, 0xffffff92, vcc_lo
	s_delay_alu instid0(VALU_DEP_3) | instskip(NEXT) | instid1(VALU_DEP_3)
	v_lshl_add_u32 v148, 0x200000, v147, -1
	v_lshrrev_b32_e32 v149, v147, v146
	v_lshlrev_b32_e64 v151, v147, 0x100000
	s_delay_alu instid0(VALU_DEP_4) | instskip(NEXT) | instid1(VALU_DEP_4)
	v_add_nc_u32_e32 v147, v147, v145
	v_and_b32_e32 v146, v148, v146
	s_delay_alu instid0(VALU_DEP_4) | instskip(NEXT) | instid1(VALU_DEP_2)
	v_bfe_u32 v150, v149, 21, 1
	v_cmp_eq_u32_e64 s14, v146, v151
	s_delay_alu instid0(VALU_DEP_2) | instskip(NEXT) | instid1(VALU_DEP_1)
	v_add_nc_u32_e32 v148, -1, v150
	v_cndmask_b32_e64 v146, 0, v148, s14
	v_lshrrev_b32_e32 v148, 23, v149
	s_mov_b32 s14, exec_lo
	s_delay_alu instid0(VALU_DEP_2) | instskip(NEXT) | instid1(VALU_DEP_2)
	v_add_nc_u32_e32 v146, v146, v149
	v_xor_b32_e32 v148, 1, v148
	s_delay_alu instid0(VALU_DEP_2) | instskip(NEXT) | instid1(VALU_DEP_1)
	v_and_b32_e32 v145, 0x1fffff, v146
	v_add_nc_u32_e32 v146, v145, v149
                                        ; implicit-def: $vgpr145
	s_delay_alu instid0(VALU_DEP_3)
	v_cmpx_ne_u32_e64 v147, v148
	s_xor_b32 s14, exec_lo, s14
; %bb.6197:                             ;   in Loop: Header=BB4_6169 Depth=3
	s_delay_alu instid0(VALU_DEP_2) | instskip(SKIP_2) | instid1(VALU_DEP_2)
	v_cmp_lt_u32_e32 vcc_lo, 0xffffff, v146
	v_sub_nc_u32_e32 v145, v147, v148
	v_cndmask_b32_e64 v147, 0, 1, vcc_lo
	v_add_co_ci_u32_e32 v145, vcc_lo, 0, v145, vcc_lo
	s_delay_alu instid0(VALU_DEP_2)
	v_lshrrev_b32_e32 v146, v147, v146
; %bb.6198:                             ;   in Loop: Header=BB4_6169 Depth=3
	s_and_not1_saveexec_b32 s14, s14
; %bb.6199:                             ;   in Loop: Header=BB4_6169 Depth=3
	s_delay_alu instid0(VALU_DEP_1)
	v_bfe_u32 v145, v146, 23, 1
; %bb.6200:                             ;   in Loop: Header=BB4_6169 Depth=3
	s_or_b32 exec_lo, exec_lo, s14
	v_lshrrev_b32_e32 v146, 21, v146
	s_delay_alu instid0(VALU_DEP_2) | instskip(SKIP_2) | instid1(VALU_DEP_2)
	v_cmp_gt_i32_e32 vcc_lo, 32, v145
	v_min_i32_e32 v147, 31, v145
	v_lshrrev_b32_e32 v144, 24, v144
	v_dual_cndmask_b32 v146, 3, v146 :: v_dual_lshlrev_b32 v147, 2, v147
	s_delay_alu instid0(VALU_DEP_2) | instskip(NEXT) | instid1(VALU_DEP_2)
	v_and_b32_e32 v144, 0x80, v144
	v_or_b32_e32 v145, v145, v146
	s_delay_alu instid0(VALU_DEP_1) | instskip(SKIP_1) | instid1(VALU_DEP_1)
	v_cmp_ne_u32_e32 vcc_lo, 0, v145
	v_and_b32_e32 v148, 3, v146
	v_or3_b32 v144, v147, v144, v148
	s_delay_alu instid0(VALU_DEP_1)
	v_cndmask_b32_e32 v147, 0, v144, vcc_lo
.LBB4_6201:                             ;   in Loop: Header=BB4_6169 Depth=3
	s_or_b32 exec_lo, exec_lo, s35
.LBB4_6202:                             ;   in Loop: Header=BB4_6169 Depth=3
	s_delay_alu instid0(SALU_CYCLE_1) | instskip(SKIP_3) | instid1(VALU_DEP_1)
	s_or_b32 exec_lo, exec_lo, s34
	v_lshrrev_b32_e32 v144, 16, v8
	s_mov_b32 s14, 0
	s_mov_b32 s35, exec_lo
                                        ; implicit-def: $sgpr34
	v_and_b32_e32 v146, 0xff, v144
	s_delay_alu instid0(VALU_DEP_1)
	v_cmpx_lt_i16_e64 0x7f, v146
	s_xor_b32 s35, exec_lo, s35
	s_cbranch_execnz .LBB4_6637
; %bb.6203:                             ;   in Loop: Header=BB4_6169 Depth=3
	s_or_saveexec_b32 s35, s35
	v_mov_b32_e32 v145, s34
	s_xor_b32 exec_lo, exec_lo, s35
	s_cbranch_execnz .LBB4_6640
.LBB4_6204:                             ;   in Loop: Header=BB4_6169 Depth=3
	s_or_b32 exec_lo, exec_lo, s35
	s_and_saveexec_b32 s34, s14
	s_cbranch_execz .LBB4_6206
.LBB4_6205:                             ;   in Loop: Header=BB4_6169 Depth=3
	v_bfe_u32 v145, v8, 16, 2
	s_delay_alu instid0(VALU_DEP_1) | instskip(NEXT) | instid1(VALU_DEP_1)
	v_clz_i32_u32_e32 v146, v145
	v_min_u32_e32 v146, 32, v146
	s_delay_alu instid0(VALU_DEP_1) | instskip(SKIP_1) | instid1(VALU_DEP_2)
	v_subrev_nc_u32_e32 v148, 29, v146
	v_sub_nc_u32_e32 v146, 30, v146
	v_lshlrev_b32_e32 v144, v148, v144
	v_bfe_u32 v148, v8, 18, 5
	s_delay_alu instid0(VALU_DEP_2) | instskip(NEXT) | instid1(VALU_DEP_2)
	v_and_b32_e32 v144, 3, v144
	v_cmp_eq_u32_e32 vcc_lo, 0, v148
	v_dual_cndmask_b32 v146, v148, v146 :: v_dual_lshlrev_b32 v149, 8, v8
	s_delay_alu instid0(VALU_DEP_1) | instskip(NEXT) | instid1(VALU_DEP_2)
	v_dual_cndmask_b32 v144, v145, v144 :: v_dual_and_b32 v145, 0x80000000, v149
	v_lshl_add_u32 v146, v146, 23, 0x37800000
	s_delay_alu instid0(VALU_DEP_2) | instskip(NEXT) | instid1(VALU_DEP_1)
	v_lshlrev_b32_e32 v144, 21, v144
	v_or3_b32 v145, v145, v146, v144
.LBB4_6206:                             ;   in Loop: Header=BB4_6169 Depth=3
	s_or_b32 exec_lo, exec_lo, s34
	s_delay_alu instid0(VALU_DEP_1) | instskip(SKIP_1) | instid1(VALU_DEP_1)
	v_dual_mul_f32 v144, s15, v145 :: v_dual_mov_b32 v161, 0x80
	s_mov_b32 s34, exec_lo
	v_and_b32_e32 v145, 0x7f800000, v144
	s_delay_alu instid0(VALU_DEP_1)
	v_cmpx_ne_u32_e32 0x7f800000, v145
	s_cbranch_execz .LBB4_6214
; %bb.6207:                             ;   in Loop: Header=BB4_6169 Depth=3
	v_mov_b32_e32 v161, 0
	s_mov_b32 s35, exec_lo
	v_cmpx_ne_u32_e32 0, v144
	s_cbranch_execz .LBB4_6213
; %bb.6208:                             ;   in Loop: Header=BB4_6169 Depth=3
	v_bfe_u32 v145, v144, 23, 8
	v_and_b32_e32 v146, 0x7fffff, v144
	s_delay_alu instid0(VALU_DEP_2) | instskip(SKIP_1) | instid1(VALU_DEP_3)
	v_sub_nc_u32_e32 v148, 0x70, v145
	v_cmp_gt_u32_e32 vcc_lo, 0x71, v145
	v_or_b32_e32 v149, 0x800000, v146
	s_delay_alu instid0(VALU_DEP_3) | instskip(SKIP_2) | instid1(VALU_DEP_3)
	v_cndmask_b32_e32 v148, 0, v148, vcc_lo
	v_cmp_eq_u32_e32 vcc_lo, 0, v145
	v_add_nc_u32_e32 v145, 0xffffff91, v145
	v_cndmask_b32_e64 v148, v148, 0x6f, vcc_lo
	v_cndmask_b32_e32 v146, v149, v146, vcc_lo
	s_delay_alu instid0(VALU_DEP_3) | instskip(NEXT) | instid1(VALU_DEP_3)
	v_cndmask_b32_e64 v145, v145, 0xffffff92, vcc_lo
	v_lshl_add_u32 v149, 0x200000, v148, -1
	s_delay_alu instid0(VALU_DEP_3) | instskip(SKIP_1) | instid1(VALU_DEP_4)
	v_lshrrev_b32_e32 v150, v148, v146
	v_lshlrev_b32_e64 v160, v148, 0x100000
	v_add_nc_u32_e32 v148, v148, v145
	s_delay_alu instid0(VALU_DEP_4) | instskip(NEXT) | instid1(VALU_DEP_4)
	v_and_b32_e32 v146, v149, v146
	v_bfe_u32 v151, v150, 21, 1
	s_delay_alu instid0(VALU_DEP_2) | instskip(NEXT) | instid1(VALU_DEP_2)
	v_cmp_eq_u32_e64 s14, v146, v160
	v_add_nc_u32_e32 v149, -1, v151
	s_delay_alu instid0(VALU_DEP_1) | instskip(SKIP_2) | instid1(VALU_DEP_2)
	v_cndmask_b32_e64 v146, 0, v149, s14
	v_lshrrev_b32_e32 v149, 23, v150
	s_mov_b32 s14, exec_lo
	v_add_nc_u32_e32 v146, v146, v150
	s_delay_alu instid0(VALU_DEP_2) | instskip(NEXT) | instid1(VALU_DEP_2)
	v_xor_b32_e32 v149, 1, v149
	v_and_b32_e32 v145, 0x1fffff, v146
	s_delay_alu instid0(VALU_DEP_1) | instskip(NEXT) | instid1(VALU_DEP_3)
	v_add_nc_u32_e32 v146, v145, v150
                                        ; implicit-def: $vgpr145
	v_cmpx_ne_u32_e64 v148, v149
	s_xor_b32 s14, exec_lo, s14
; %bb.6209:                             ;   in Loop: Header=BB4_6169 Depth=3
	s_delay_alu instid0(VALU_DEP_2) | instskip(SKIP_2) | instid1(VALU_DEP_2)
	v_cmp_lt_u32_e32 vcc_lo, 0xffffff, v146
	v_sub_nc_u32_e32 v145, v148, v149
	v_cndmask_b32_e64 v148, 0, 1, vcc_lo
	v_add_co_ci_u32_e32 v145, vcc_lo, 0, v145, vcc_lo
	s_delay_alu instid0(VALU_DEP_2)
	v_lshrrev_b32_e32 v146, v148, v146
; %bb.6210:                             ;   in Loop: Header=BB4_6169 Depth=3
	s_and_not1_saveexec_b32 s14, s14
; %bb.6211:                             ;   in Loop: Header=BB4_6169 Depth=3
	s_delay_alu instid0(VALU_DEP_1)
	v_bfe_u32 v145, v146, 23, 1
; %bb.6212:                             ;   in Loop: Header=BB4_6169 Depth=3
	s_or_b32 exec_lo, exec_lo, s14
	v_lshrrev_b32_e32 v146, 21, v146
	s_delay_alu instid0(VALU_DEP_2) | instskip(SKIP_2) | instid1(VALU_DEP_4)
	v_cmp_gt_i32_e32 vcc_lo, 32, v145
	v_lshrrev_b32_e32 v144, 24, v144
	v_min_i32_e32 v148, 31, v145
	v_cndmask_b32_e32 v146, 3, v146, vcc_lo
	s_delay_alu instid0(VALU_DEP_3) | instskip(NEXT) | instid1(VALU_DEP_3)
	v_and_b32_e32 v144, 0x80, v144
	v_lshlrev_b32_e32 v148, 2, v148
	s_delay_alu instid0(VALU_DEP_3) | instskip(SKIP_1) | instid1(VALU_DEP_2)
	v_and_b32_e32 v149, 3, v146
	v_or_b32_e32 v145, v145, v146
	v_or3_b32 v144, v148, v144, v149
	s_delay_alu instid0(VALU_DEP_2) | instskip(NEXT) | instid1(VALU_DEP_2)
	v_cmp_ne_u32_e32 vcc_lo, 0, v145
	v_cndmask_b32_e32 v161, 0, v144, vcc_lo
.LBB4_6213:                             ;   in Loop: Header=BB4_6169 Depth=3
	s_or_b32 exec_lo, exec_lo, s35
.LBB4_6214:                             ;   in Loop: Header=BB4_6169 Depth=3
	s_delay_alu instid0(SALU_CYCLE_1) | instskip(SKIP_3) | instid1(VALU_DEP_1)
	s_or_b32 exec_lo, exec_lo, s34
	v_lshrrev_b32_e32 v144, 24, v8
	s_mov_b32 s14, 0
	s_mov_b32 s35, exec_lo
                                        ; implicit-def: $sgpr34
	v_cmpx_lt_i16_e64 0x7f, v144
	s_xor_b32 s35, exec_lo, s35
	s_cbranch_execnz .LBB4_6641
; %bb.6215:                             ;   in Loop: Header=BB4_6169 Depth=3
	s_or_saveexec_b32 s35, s35
	v_mov_b32_e32 v145, s34
	s_xor_b32 exec_lo, exec_lo, s35
	s_cbranch_execnz .LBB4_6644
.LBB4_6216:                             ;   in Loop: Header=BB4_6169 Depth=3
	s_or_b32 exec_lo, exec_lo, s35
	s_and_saveexec_b32 s34, s14
	s_cbranch_execz .LBB4_6218
.LBB4_6217:                             ;   in Loop: Header=BB4_6169 Depth=3
	v_bfe_u32 v145, v8, 24, 2
	s_delay_alu instid0(VALU_DEP_1) | instskip(NEXT) | instid1(VALU_DEP_1)
	v_clz_i32_u32_e32 v146, v145
	v_min_u32_e32 v146, 32, v146
	s_delay_alu instid0(VALU_DEP_1) | instskip(SKIP_1) | instid1(VALU_DEP_2)
	v_subrev_nc_u32_e32 v148, 29, v146
	v_sub_nc_u32_e32 v146, 30, v146
	v_lshlrev_b32_e32 v144, v148, v144
	v_bfe_u32 v148, v8, 26, 5
	v_and_b32_e32 v8, 0x80000000, v8
	s_delay_alu instid0(VALU_DEP_3) | instskip(NEXT) | instid1(VALU_DEP_3)
	v_and_b32_e32 v144, 3, v144
	v_cmp_eq_u32_e32 vcc_lo, 0, v148
	v_cndmask_b32_e32 v146, v148, v146, vcc_lo
	s_delay_alu instid0(VALU_DEP_3) | instskip(NEXT) | instid1(VALU_DEP_2)
	v_cndmask_b32_e32 v144, v145, v144, vcc_lo
	v_lshl_add_u32 v145, v146, 23, 0x37800000
	s_delay_alu instid0(VALU_DEP_2) | instskip(NEXT) | instid1(VALU_DEP_1)
	v_lshlrev_b32_e32 v144, 21, v144
	v_or3_b32 v145, v8, v145, v144
.LBB4_6218:                             ;   in Loop: Header=BB4_6169 Depth=3
	s_or_b32 exec_lo, exec_lo, s34
	s_delay_alu instid0(VALU_DEP_1) | instskip(SKIP_2) | instid1(VALU_DEP_2)
	v_mul_f32_e32 v8, s15, v145
	v_mov_b32_e32 v164, 0x80
	s_mov_b32 s34, exec_lo
	v_and_b32_e32 v144, 0x7f800000, v8
	s_delay_alu instid0(VALU_DEP_1)
	v_cmpx_ne_u32_e32 0x7f800000, v144
	s_cbranch_execz .LBB4_6226
; %bb.6219:                             ;   in Loop: Header=BB4_6169 Depth=3
	v_mov_b32_e32 v164, 0
	s_mov_b32 s35, exec_lo
	v_cmpx_ne_u32_e32 0, v8
	s_cbranch_execz .LBB4_6225
; %bb.6220:                             ;   in Loop: Header=BB4_6169 Depth=3
	v_bfe_u32 v144, v8, 23, 8
	s_delay_alu instid0(VALU_DEP_1) | instskip(SKIP_1) | instid1(VALU_DEP_2)
	v_sub_nc_u32_e32 v146, 0x70, v144
	v_cmp_gt_u32_e32 vcc_lo, 0x71, v144
	v_dual_cndmask_b32 v146, 0, v146 :: v_dual_and_b32 v145, 0x7fffff, v8
	s_delay_alu instid0(VALU_DEP_1) | instskip(SKIP_2) | instid1(VALU_DEP_4)
	v_or_b32_e32 v148, 0x800000, v145
	v_cmp_eq_u32_e32 vcc_lo, 0, v144
	v_add_nc_u32_e32 v144, 0xffffff91, v144
	v_cndmask_b32_e64 v146, v146, 0x6f, vcc_lo
	s_delay_alu instid0(VALU_DEP_4) | instskip(NEXT) | instid1(VALU_DEP_3)
	v_cndmask_b32_e32 v145, v148, v145, vcc_lo
	v_cndmask_b32_e64 v144, v144, 0xffffff92, vcc_lo
	s_delay_alu instid0(VALU_DEP_3) | instskip(NEXT) | instid1(VALU_DEP_3)
	v_lshl_add_u32 v148, 0x200000, v146, -1
	v_lshrrev_b32_e32 v149, v146, v145
	v_lshlrev_b32_e64 v151, v146, 0x100000
	s_delay_alu instid0(VALU_DEP_4) | instskip(NEXT) | instid1(VALU_DEP_4)
	v_add_nc_u32_e32 v146, v146, v144
	v_and_b32_e32 v145, v148, v145
	s_delay_alu instid0(VALU_DEP_4) | instskip(NEXT) | instid1(VALU_DEP_2)
	v_bfe_u32 v150, v149, 21, 1
	v_cmp_eq_u32_e64 s14, v145, v151
	s_delay_alu instid0(VALU_DEP_2) | instskip(NEXT) | instid1(VALU_DEP_1)
	v_add_nc_u32_e32 v148, -1, v150
	v_cndmask_b32_e64 v145, 0, v148, s14
	v_lshrrev_b32_e32 v148, 23, v149
	s_mov_b32 s14, exec_lo
	s_delay_alu instid0(VALU_DEP_2) | instskip(NEXT) | instid1(VALU_DEP_2)
	v_add_nc_u32_e32 v145, v145, v149
	v_xor_b32_e32 v148, 1, v148
	s_delay_alu instid0(VALU_DEP_2) | instskip(NEXT) | instid1(VALU_DEP_1)
	v_and_b32_e32 v144, 0x1fffff, v145
	v_add_nc_u32_e32 v145, v144, v149
                                        ; implicit-def: $vgpr144
	s_delay_alu instid0(VALU_DEP_3)
	v_cmpx_ne_u32_e64 v146, v148
	s_xor_b32 s14, exec_lo, s14
; %bb.6221:                             ;   in Loop: Header=BB4_6169 Depth=3
	s_delay_alu instid0(VALU_DEP_2) | instskip(SKIP_2) | instid1(VALU_DEP_2)
	v_cmp_lt_u32_e32 vcc_lo, 0xffffff, v145
	v_sub_nc_u32_e32 v144, v146, v148
	v_cndmask_b32_e64 v146, 0, 1, vcc_lo
	v_add_co_ci_u32_e32 v144, vcc_lo, 0, v144, vcc_lo
	s_delay_alu instid0(VALU_DEP_2)
	v_lshrrev_b32_e32 v145, v146, v145
; %bb.6222:                             ;   in Loop: Header=BB4_6169 Depth=3
	s_and_not1_saveexec_b32 s14, s14
; %bb.6223:                             ;   in Loop: Header=BB4_6169 Depth=3
	s_delay_alu instid0(VALU_DEP_1)
	v_bfe_u32 v144, v145, 23, 1
; %bb.6224:                             ;   in Loop: Header=BB4_6169 Depth=3
	s_or_b32 exec_lo, exec_lo, s14
	v_lshrrev_b32_e32 v145, 21, v145
	s_delay_alu instid0(VALU_DEP_2) | instskip(SKIP_2) | instid1(VALU_DEP_2)
	v_cmp_gt_i32_e32 vcc_lo, 32, v144
	v_lshrrev_b32_e32 v8, 24, v8
	v_min_i32_e32 v146, 31, v144
	v_dual_cndmask_b32 v145, 3, v145 :: v_dual_and_b32 v8, 0x80, v8
	s_delay_alu instid0(VALU_DEP_2) | instskip(NEXT) | instid1(VALU_DEP_2)
	v_lshlrev_b32_e32 v146, 2, v146
	v_and_b32_e32 v148, 3, v145
	v_or_b32_e32 v144, v144, v145
	s_delay_alu instid0(VALU_DEP_2) | instskip(NEXT) | instid1(VALU_DEP_2)
	v_or3_b32 v8, v146, v8, v148
	v_cmp_ne_u32_e32 vcc_lo, 0, v144
	s_delay_alu instid0(VALU_DEP_2)
	v_cndmask_b32_e32 v164, 0, v8, vcc_lo
.LBB4_6225:                             ;   in Loop: Header=BB4_6169 Depth=3
	s_or_b32 exec_lo, exec_lo, s35
.LBB4_6226:                             ;   in Loop: Header=BB4_6169 Depth=3
	s_delay_alu instid0(SALU_CYCLE_1) | instskip(SKIP_3) | instid1(VALU_DEP_1)
	s_or_b32 exec_lo, exec_lo, s34
	v_and_b32_e32 v144, 0xff, v9
	s_mov_b32 s14, 0
	s_mov_b32 s35, exec_lo
                                        ; implicit-def: $sgpr34
	v_cmpx_lt_i16_e64 0x7f, v144
	s_xor_b32 s35, exec_lo, s35
	s_cbranch_execnz .LBB4_6645
; %bb.6227:                             ;   in Loop: Header=BB4_6169 Depth=3
	s_or_saveexec_b32 s35, s35
	v_mov_b32_e32 v8, s34
	s_xor_b32 exec_lo, exec_lo, s35
	s_cbranch_execnz .LBB4_6648
.LBB4_6228:                             ;   in Loop: Header=BB4_6169 Depth=3
	s_or_b32 exec_lo, exec_lo, s35
	s_and_saveexec_b32 s34, s14
	s_cbranch_execz .LBB4_6230
.LBB4_6229:                             ;   in Loop: Header=BB4_6169 Depth=3
	v_and_b32_e32 v8, 3, v9
	v_bfe_u32 v146, v9, 2, 5
	v_lshlrev_b32_e32 v148, 24, v9
	s_delay_alu instid0(VALU_DEP_3) | instskip(NEXT) | instid1(VALU_DEP_3)
	v_clz_i32_u32_e32 v144, v8
	v_cmp_eq_u32_e32 vcc_lo, 0, v146
	s_delay_alu instid0(VALU_DEP_2) | instskip(NEXT) | instid1(VALU_DEP_1)
	v_min_u32_e32 v144, 32, v144
	v_subrev_nc_u32_e32 v145, 29, v144
	v_sub_nc_u32_e32 v144, 30, v144
	s_delay_alu instid0(VALU_DEP_1) | instskip(NEXT) | instid1(VALU_DEP_1)
	v_dual_cndmask_b32 v144, v146, v144 :: v_dual_lshlrev_b32 v145, v145, v9
	v_and_b32_e32 v145, 3, v145
	s_delay_alu instid0(VALU_DEP_2) | instskip(NEXT) | instid1(VALU_DEP_2)
	v_lshl_add_u32 v144, v144, 23, 0x37800000
	v_dual_cndmask_b32 v8, v8, v145 :: v_dual_and_b32 v145, 0x80000000, v148
	s_delay_alu instid0(VALU_DEP_1) | instskip(NEXT) | instid1(VALU_DEP_1)
	v_lshlrev_b32_e32 v8, 21, v8
	v_or3_b32 v8, v145, v144, v8
.LBB4_6230:                             ;   in Loop: Header=BB4_6169 Depth=3
	s_or_b32 exec_lo, exec_lo, s34
	s_delay_alu instid0(VALU_DEP_1) | instskip(SKIP_1) | instid1(VALU_DEP_1)
	v_dual_mul_f32 v8, s15, v8 :: v_dual_mov_b32 v163, 0x80
	s_mov_b32 s34, exec_lo
	v_and_b32_e32 v144, 0x7f800000, v8
	s_delay_alu instid0(VALU_DEP_1)
	v_cmpx_ne_u32_e32 0x7f800000, v144
	s_cbranch_execz .LBB4_6238
; %bb.6231:                             ;   in Loop: Header=BB4_6169 Depth=3
	v_mov_b32_e32 v163, 0
	s_mov_b32 s35, exec_lo
	v_cmpx_ne_u32_e32 0, v8
	s_cbranch_execz .LBB4_6237
; %bb.6232:                             ;   in Loop: Header=BB4_6169 Depth=3
	v_bfe_u32 v144, v8, 23, 8
	s_delay_alu instid0(VALU_DEP_1) | instskip(SKIP_1) | instid1(VALU_DEP_2)
	v_sub_nc_u32_e32 v146, 0x70, v144
	v_cmp_gt_u32_e32 vcc_lo, 0x71, v144
	v_dual_cndmask_b32 v146, 0, v146 :: v_dual_and_b32 v145, 0x7fffff, v8
	s_delay_alu instid0(VALU_DEP_1) | instskip(SKIP_2) | instid1(VALU_DEP_4)
	v_or_b32_e32 v148, 0x800000, v145
	v_cmp_eq_u32_e32 vcc_lo, 0, v144
	v_add_nc_u32_e32 v144, 0xffffff91, v144
	v_cndmask_b32_e64 v146, v146, 0x6f, vcc_lo
	s_delay_alu instid0(VALU_DEP_4) | instskip(NEXT) | instid1(VALU_DEP_3)
	v_cndmask_b32_e32 v145, v148, v145, vcc_lo
	v_cndmask_b32_e64 v144, v144, 0xffffff92, vcc_lo
	s_delay_alu instid0(VALU_DEP_3) | instskip(NEXT) | instid1(VALU_DEP_3)
	v_lshl_add_u32 v148, 0x200000, v146, -1
	v_lshrrev_b32_e32 v149, v146, v145
	v_lshlrev_b32_e64 v151, v146, 0x100000
	s_delay_alu instid0(VALU_DEP_4) | instskip(NEXT) | instid1(VALU_DEP_4)
	v_add_nc_u32_e32 v146, v146, v144
	v_and_b32_e32 v145, v148, v145
	s_delay_alu instid0(VALU_DEP_4) | instskip(NEXT) | instid1(VALU_DEP_2)
	v_bfe_u32 v150, v149, 21, 1
	v_cmp_eq_u32_e64 s14, v145, v151
	s_delay_alu instid0(VALU_DEP_2) | instskip(NEXT) | instid1(VALU_DEP_1)
	v_add_nc_u32_e32 v148, -1, v150
	v_cndmask_b32_e64 v145, 0, v148, s14
	v_lshrrev_b32_e32 v148, 23, v149
	s_mov_b32 s14, exec_lo
	s_delay_alu instid0(VALU_DEP_2) | instskip(NEXT) | instid1(VALU_DEP_2)
	v_add_nc_u32_e32 v145, v145, v149
	v_xor_b32_e32 v148, 1, v148
	s_delay_alu instid0(VALU_DEP_2) | instskip(NEXT) | instid1(VALU_DEP_1)
	v_and_b32_e32 v144, 0x1fffff, v145
	v_add_nc_u32_e32 v145, v144, v149
                                        ; implicit-def: $vgpr144
	s_delay_alu instid0(VALU_DEP_3)
	v_cmpx_ne_u32_e64 v146, v148
	s_xor_b32 s14, exec_lo, s14
; %bb.6233:                             ;   in Loop: Header=BB4_6169 Depth=3
	s_delay_alu instid0(VALU_DEP_2) | instskip(SKIP_2) | instid1(VALU_DEP_2)
	v_cmp_lt_u32_e32 vcc_lo, 0xffffff, v145
	v_sub_nc_u32_e32 v144, v146, v148
	v_cndmask_b32_e64 v146, 0, 1, vcc_lo
	v_add_co_ci_u32_e32 v144, vcc_lo, 0, v144, vcc_lo
	s_delay_alu instid0(VALU_DEP_2)
	v_lshrrev_b32_e32 v145, v146, v145
; %bb.6234:                             ;   in Loop: Header=BB4_6169 Depth=3
	s_and_not1_saveexec_b32 s14, s14
; %bb.6235:                             ;   in Loop: Header=BB4_6169 Depth=3
	s_delay_alu instid0(VALU_DEP_1)
	v_bfe_u32 v144, v145, 23, 1
; %bb.6236:                             ;   in Loop: Header=BB4_6169 Depth=3
	s_or_b32 exec_lo, exec_lo, s14
	v_lshrrev_b32_e32 v145, 21, v145
	s_delay_alu instid0(VALU_DEP_2) | instskip(SKIP_2) | instid1(VALU_DEP_2)
	v_cmp_gt_i32_e32 vcc_lo, 32, v144
	v_min_i32_e32 v146, 31, v144
	v_lshrrev_b32_e32 v8, 24, v8
	v_dual_cndmask_b32 v145, 3, v145 :: v_dual_lshlrev_b32 v146, 2, v146
	s_delay_alu instid0(VALU_DEP_2) | instskip(NEXT) | instid1(VALU_DEP_2)
	v_and_b32_e32 v8, 0x80, v8
	v_or_b32_e32 v144, v144, v145
	s_delay_alu instid0(VALU_DEP_3) | instskip(NEXT) | instid1(VALU_DEP_2)
	v_and_b32_e32 v146, 0xfc, v146
	v_cmp_ne_u32_e32 vcc_lo, 0, v144
	v_and_b32_e32 v148, 3, v145
	s_delay_alu instid0(VALU_DEP_1) | instskip(NEXT) | instid1(VALU_DEP_1)
	v_or3_b32 v8, v146, v8, v148
	v_cndmask_b32_e32 v163, 0, v8, vcc_lo
.LBB4_6237:                             ;   in Loop: Header=BB4_6169 Depth=3
	s_or_b32 exec_lo, exec_lo, s35
.LBB4_6238:                             ;   in Loop: Header=BB4_6169 Depth=3
	s_delay_alu instid0(SALU_CYCLE_1) | instskip(SKIP_3) | instid1(VALU_DEP_1)
	s_or_b32 exec_lo, exec_lo, s34
	v_lshrrev_b16 v8, 8, v9
	s_mov_b32 s14, 0
	s_mov_b32 s35, exec_lo
                                        ; implicit-def: $sgpr34
	v_cmpx_lt_i16_e32 0x7f, v8
	s_xor_b32 s35, exec_lo, s35
	s_cbranch_execnz .LBB4_6649
; %bb.6239:                             ;   in Loop: Header=BB4_6169 Depth=3
	s_or_saveexec_b32 s35, s35
	v_mov_b32_e32 v144, s34
	s_xor_b32 exec_lo, exec_lo, s35
	s_cbranch_execnz .LBB4_6652
.LBB4_6240:                             ;   in Loop: Header=BB4_6169 Depth=3
	s_or_b32 exec_lo, exec_lo, s35
	s_and_saveexec_b32 s34, s14
	s_cbranch_execz .LBB4_6242
.LBB4_6241:                             ;   in Loop: Header=BB4_6169 Depth=3
	v_and_b32_e32 v144, 0xffff, v8
	v_lshlrev_b32_e32 v8, 24, v8
	s_delay_alu instid0(VALU_DEP_2) | instskip(NEXT) | instid1(VALU_DEP_2)
	v_and_b32_e32 v145, 3, v144
	v_and_b32_e32 v8, 0x80000000, v8
	s_delay_alu instid0(VALU_DEP_2) | instskip(NEXT) | instid1(VALU_DEP_1)
	v_clz_i32_u32_e32 v146, v145
	v_min_u32_e32 v146, 32, v146
	s_delay_alu instid0(VALU_DEP_1) | instskip(SKIP_1) | instid1(VALU_DEP_2)
	v_subrev_nc_u32_e32 v148, 29, v146
	v_sub_nc_u32_e32 v146, 30, v146
	v_lshlrev_b32_e32 v148, v148, v144
	v_bfe_u32 v144, v144, 2, 5
	s_delay_alu instid0(VALU_DEP_2) | instskip(NEXT) | instid1(VALU_DEP_2)
	v_and_b32_e32 v148, 3, v148
	v_cmp_eq_u32_e32 vcc_lo, 0, v144
	s_delay_alu instid0(VALU_DEP_2) | instskip(NEXT) | instid1(VALU_DEP_1)
	v_dual_cndmask_b32 v144, v144, v146 :: v_dual_cndmask_b32 v145, v145, v148
	v_lshl_add_u32 v144, v144, 23, 0x37800000
	s_delay_alu instid0(VALU_DEP_2) | instskip(NEXT) | instid1(VALU_DEP_1)
	v_lshlrev_b32_e32 v145, 21, v145
	v_or3_b32 v144, v8, v144, v145
.LBB4_6242:                             ;   in Loop: Header=BB4_6169 Depth=3
	s_or_b32 exec_lo, exec_lo, s34
	s_delay_alu instid0(VALU_DEP_1) | instskip(SKIP_2) | instid1(VALU_DEP_2)
	v_mul_f32_e32 v8, s15, v144
	v_mov_b32_e32 v166, 0x8000
	s_mov_b32 s34, exec_lo
	v_and_b32_e32 v144, 0x7f800000, v8
	s_delay_alu instid0(VALU_DEP_1)
	v_cmpx_ne_u32_e32 0x7f800000, v144
	s_cbranch_execz .LBB4_6250
; %bb.6243:                             ;   in Loop: Header=BB4_6169 Depth=3
	v_mov_b32_e32 v166, 0
	s_mov_b32 s35, exec_lo
	v_cmpx_ne_u32_e32 0, v8
	s_cbranch_execz .LBB4_6249
; %bb.6244:                             ;   in Loop: Header=BB4_6169 Depth=3
	v_bfe_u32 v144, v8, 23, 8
	s_delay_alu instid0(VALU_DEP_1) | instskip(SKIP_1) | instid1(VALU_DEP_2)
	v_sub_nc_u32_e32 v146, 0x70, v144
	v_cmp_gt_u32_e32 vcc_lo, 0x71, v144
	v_dual_cndmask_b32 v146, 0, v146 :: v_dual_and_b32 v145, 0x7fffff, v8
	s_delay_alu instid0(VALU_DEP_1) | instskip(SKIP_2) | instid1(VALU_DEP_4)
	v_or_b32_e32 v148, 0x800000, v145
	v_cmp_eq_u32_e32 vcc_lo, 0, v144
	v_add_nc_u32_e32 v144, 0xffffff91, v144
	v_cndmask_b32_e64 v146, v146, 0x6f, vcc_lo
	s_delay_alu instid0(VALU_DEP_4) | instskip(NEXT) | instid1(VALU_DEP_3)
	v_cndmask_b32_e32 v145, v148, v145, vcc_lo
	v_cndmask_b32_e64 v144, v144, 0xffffff92, vcc_lo
	s_delay_alu instid0(VALU_DEP_3) | instskip(NEXT) | instid1(VALU_DEP_3)
	v_lshl_add_u32 v148, 0x200000, v146, -1
	v_lshrrev_b32_e32 v149, v146, v145
	v_lshlrev_b32_e64 v151, v146, 0x100000
	s_delay_alu instid0(VALU_DEP_4) | instskip(NEXT) | instid1(VALU_DEP_4)
	v_add_nc_u32_e32 v146, v146, v144
	v_and_b32_e32 v145, v148, v145
	s_delay_alu instid0(VALU_DEP_4) | instskip(NEXT) | instid1(VALU_DEP_2)
	v_bfe_u32 v150, v149, 21, 1
	v_cmp_eq_u32_e64 s14, v145, v151
	s_delay_alu instid0(VALU_DEP_2) | instskip(NEXT) | instid1(VALU_DEP_1)
	v_add_nc_u32_e32 v148, -1, v150
	v_cndmask_b32_e64 v145, 0, v148, s14
	v_lshrrev_b32_e32 v148, 23, v149
	s_mov_b32 s14, exec_lo
	s_delay_alu instid0(VALU_DEP_2) | instskip(NEXT) | instid1(VALU_DEP_2)
	v_add_nc_u32_e32 v145, v145, v149
	v_xor_b32_e32 v148, 1, v148
	s_delay_alu instid0(VALU_DEP_2) | instskip(NEXT) | instid1(VALU_DEP_1)
	v_and_b32_e32 v144, 0x1fffff, v145
	v_add_nc_u32_e32 v145, v144, v149
                                        ; implicit-def: $vgpr144
	s_delay_alu instid0(VALU_DEP_3)
	v_cmpx_ne_u32_e64 v146, v148
	s_xor_b32 s14, exec_lo, s14
; %bb.6245:                             ;   in Loop: Header=BB4_6169 Depth=3
	s_delay_alu instid0(VALU_DEP_2) | instskip(SKIP_2) | instid1(VALU_DEP_2)
	v_cmp_lt_u32_e32 vcc_lo, 0xffffff, v145
	v_sub_nc_u32_e32 v144, v146, v148
	v_cndmask_b32_e64 v146, 0, 1, vcc_lo
	v_add_co_ci_u32_e32 v144, vcc_lo, 0, v144, vcc_lo
	s_delay_alu instid0(VALU_DEP_2)
	v_lshrrev_b32_e32 v145, v146, v145
; %bb.6246:                             ;   in Loop: Header=BB4_6169 Depth=3
	s_and_not1_saveexec_b32 s14, s14
; %bb.6247:                             ;   in Loop: Header=BB4_6169 Depth=3
	s_delay_alu instid0(VALU_DEP_1)
	v_bfe_u32 v144, v145, 23, 1
; %bb.6248:                             ;   in Loop: Header=BB4_6169 Depth=3
	s_or_b32 exec_lo, exec_lo, s14
	v_lshrrev_b32_e32 v145, 21, v145
	s_delay_alu instid0(VALU_DEP_2) | instskip(SKIP_2) | instid1(VALU_DEP_3)
	v_min_i32_e32 v146, 31, v144
	v_cmp_gt_i32_e32 vcc_lo, 32, v144
	v_lshrrev_b32_e32 v8, 24, v8
	v_dual_cndmask_b32 v145, 3, v145 :: v_dual_lshlrev_b32 v146, 2, v146
	s_delay_alu instid0(VALU_DEP_2) | instskip(NEXT) | instid1(VALU_DEP_2)
	v_and_b32_e32 v8, 0x80, v8
	v_and_b32_e32 v146, 0xfc, v146
	s_delay_alu instid0(VALU_DEP_3) | instskip(SKIP_1) | instid1(VALU_DEP_2)
	v_and_b32_e32 v148, 3, v145
	v_or_b32_e32 v144, v144, v145
	v_or3_b32 v8, v8, v146, v148
	s_delay_alu instid0(VALU_DEP_2) | instskip(NEXT) | instid1(VALU_DEP_2)
	v_cmp_ne_u32_e32 vcc_lo, 0, v144
	v_lshlrev_b32_e32 v8, 8, v8
	s_delay_alu instid0(VALU_DEP_1)
	v_cndmask_b32_e32 v166, 0, v8, vcc_lo
.LBB4_6249:                             ;   in Loop: Header=BB4_6169 Depth=3
	s_or_b32 exec_lo, exec_lo, s35
.LBB4_6250:                             ;   in Loop: Header=BB4_6169 Depth=3
	s_delay_alu instid0(SALU_CYCLE_1) | instskip(SKIP_3) | instid1(VALU_DEP_1)
	s_or_b32 exec_lo, exec_lo, s34
	v_lshrrev_b32_e32 v8, 16, v9
	s_mov_b32 s14, 0
	s_mov_b32 s35, exec_lo
                                        ; implicit-def: $sgpr34
	v_and_b32_e32 v145, 0xff, v8
	s_delay_alu instid0(VALU_DEP_1)
	v_cmpx_lt_i16_e64 0x7f, v145
	s_xor_b32 s35, exec_lo, s35
	s_cbranch_execnz .LBB4_6653
; %bb.6251:                             ;   in Loop: Header=BB4_6169 Depth=3
	s_or_saveexec_b32 s35, s35
	v_mov_b32_e32 v144, s34
	s_xor_b32 exec_lo, exec_lo, s35
	s_cbranch_execnz .LBB4_6656
.LBB4_6252:                             ;   in Loop: Header=BB4_6169 Depth=3
	s_or_b32 exec_lo, exec_lo, s35
	s_and_saveexec_b32 s34, s14
	s_cbranch_execz .LBB4_6254
.LBB4_6253:                             ;   in Loop: Header=BB4_6169 Depth=3
	v_bfe_u32 v144, v9, 16, 2
	v_lshlrev_b32_e32 v148, 8, v9
	s_delay_alu instid0(VALU_DEP_2) | instskip(NEXT) | instid1(VALU_DEP_1)
	v_clz_i32_u32_e32 v145, v144
	v_min_u32_e32 v145, 32, v145
	s_delay_alu instid0(VALU_DEP_1) | instskip(SKIP_1) | instid1(VALU_DEP_2)
	v_subrev_nc_u32_e32 v146, 29, v145
	v_sub_nc_u32_e32 v145, 30, v145
	v_lshlrev_b32_e32 v8, v146, v8
	v_bfe_u32 v146, v9, 18, 5
	s_delay_alu instid0(VALU_DEP_1) | instskip(NEXT) | instid1(VALU_DEP_3)
	v_cmp_eq_u32_e32 vcc_lo, 0, v146
	v_dual_cndmask_b32 v145, v146, v145 :: v_dual_and_b32 v8, 3, v8
	s_delay_alu instid0(VALU_DEP_1) | instskip(SKIP_1) | instid1(VALU_DEP_3)
	v_cndmask_b32_e32 v8, v144, v8, vcc_lo
	v_and_b32_e32 v144, 0x80000000, v148
	v_lshl_add_u32 v145, v145, 23, 0x37800000
	s_delay_alu instid0(VALU_DEP_3) | instskip(NEXT) | instid1(VALU_DEP_1)
	v_lshlrev_b32_e32 v8, 21, v8
	v_or3_b32 v144, v144, v145, v8
.LBB4_6254:                             ;   in Loop: Header=BB4_6169 Depth=3
	s_or_b32 exec_lo, exec_lo, s34
	s_delay_alu instid0(VALU_DEP_1) | instskip(SKIP_2) | instid1(VALU_DEP_2)
	v_mul_f32_e32 v8, s15, v144
	v_mov_b32_e32 v162, 0x80
	s_mov_b32 s34, exec_lo
	v_and_b32_e32 v144, 0x7f800000, v8
	s_delay_alu instid0(VALU_DEP_1)
	v_cmpx_ne_u32_e32 0x7f800000, v144
	s_cbranch_execz .LBB4_6262
; %bb.6255:                             ;   in Loop: Header=BB4_6169 Depth=3
	v_mov_b32_e32 v162, 0
	s_mov_b32 s35, exec_lo
	v_cmpx_ne_u32_e32 0, v8
	s_cbranch_execz .LBB4_6261
; %bb.6256:                             ;   in Loop: Header=BB4_6169 Depth=3
	v_bfe_u32 v144, v8, 23, 8
	s_delay_alu instid0(VALU_DEP_1) | instskip(SKIP_1) | instid1(VALU_DEP_2)
	v_sub_nc_u32_e32 v146, 0x70, v144
	v_cmp_gt_u32_e32 vcc_lo, 0x71, v144
	v_dual_cndmask_b32 v146, 0, v146 :: v_dual_and_b32 v145, 0x7fffff, v8
	s_delay_alu instid0(VALU_DEP_1) | instskip(SKIP_2) | instid1(VALU_DEP_4)
	v_or_b32_e32 v148, 0x800000, v145
	v_cmp_eq_u32_e32 vcc_lo, 0, v144
	v_add_nc_u32_e32 v144, 0xffffff91, v144
	v_cndmask_b32_e64 v146, v146, 0x6f, vcc_lo
	s_delay_alu instid0(VALU_DEP_4) | instskip(NEXT) | instid1(VALU_DEP_3)
	v_cndmask_b32_e32 v145, v148, v145, vcc_lo
	v_cndmask_b32_e64 v144, v144, 0xffffff92, vcc_lo
	s_delay_alu instid0(VALU_DEP_3) | instskip(NEXT) | instid1(VALU_DEP_3)
	v_lshl_add_u32 v148, 0x200000, v146, -1
	v_lshrrev_b32_e32 v149, v146, v145
	v_lshlrev_b32_e64 v151, v146, 0x100000
	s_delay_alu instid0(VALU_DEP_4) | instskip(NEXT) | instid1(VALU_DEP_4)
	v_add_nc_u32_e32 v146, v146, v144
	v_and_b32_e32 v145, v148, v145
	s_delay_alu instid0(VALU_DEP_4) | instskip(NEXT) | instid1(VALU_DEP_2)
	v_bfe_u32 v150, v149, 21, 1
	v_cmp_eq_u32_e64 s14, v145, v151
	s_delay_alu instid0(VALU_DEP_2) | instskip(NEXT) | instid1(VALU_DEP_1)
	v_add_nc_u32_e32 v148, -1, v150
	v_cndmask_b32_e64 v145, 0, v148, s14
	v_lshrrev_b32_e32 v148, 23, v149
	s_mov_b32 s14, exec_lo
	s_delay_alu instid0(VALU_DEP_2) | instskip(NEXT) | instid1(VALU_DEP_2)
	v_add_nc_u32_e32 v145, v145, v149
	v_xor_b32_e32 v148, 1, v148
	s_delay_alu instid0(VALU_DEP_2) | instskip(NEXT) | instid1(VALU_DEP_1)
	v_and_b32_e32 v144, 0x1fffff, v145
	v_add_nc_u32_e32 v145, v144, v149
                                        ; implicit-def: $vgpr144
	s_delay_alu instid0(VALU_DEP_3)
	v_cmpx_ne_u32_e64 v146, v148
	s_xor_b32 s14, exec_lo, s14
; %bb.6257:                             ;   in Loop: Header=BB4_6169 Depth=3
	s_delay_alu instid0(VALU_DEP_2) | instskip(SKIP_2) | instid1(VALU_DEP_2)
	v_cmp_lt_u32_e32 vcc_lo, 0xffffff, v145
	v_sub_nc_u32_e32 v144, v146, v148
	v_cndmask_b32_e64 v146, 0, 1, vcc_lo
	v_add_co_ci_u32_e32 v144, vcc_lo, 0, v144, vcc_lo
	s_delay_alu instid0(VALU_DEP_2)
	v_lshrrev_b32_e32 v145, v146, v145
; %bb.6258:                             ;   in Loop: Header=BB4_6169 Depth=3
	s_and_not1_saveexec_b32 s14, s14
; %bb.6259:                             ;   in Loop: Header=BB4_6169 Depth=3
	s_delay_alu instid0(VALU_DEP_1)
	v_bfe_u32 v144, v145, 23, 1
; %bb.6260:                             ;   in Loop: Header=BB4_6169 Depth=3
	s_or_b32 exec_lo, exec_lo, s14
	v_lshrrev_b32_e32 v145, 21, v145
	s_delay_alu instid0(VALU_DEP_2) | instskip(SKIP_2) | instid1(VALU_DEP_3)
	v_min_i32_e32 v146, 31, v144
	v_cmp_gt_i32_e32 vcc_lo, 32, v144
	v_lshrrev_b32_e32 v8, 24, v8
	v_dual_cndmask_b32 v145, 3, v145 :: v_dual_lshlrev_b32 v146, 2, v146
	s_delay_alu instid0(VALU_DEP_2) | instskip(NEXT) | instid1(VALU_DEP_2)
	v_and_b32_e32 v8, 0x80, v8
	v_and_b32_e32 v146, 0xfc, v146
	s_delay_alu instid0(VALU_DEP_3) | instskip(SKIP_1) | instid1(VALU_DEP_2)
	v_and_b32_e32 v148, 3, v145
	v_or_b32_e32 v144, v144, v145
	v_or3_b32 v8, v146, v8, v148
	s_delay_alu instid0(VALU_DEP_2) | instskip(NEXT) | instid1(VALU_DEP_2)
	v_cmp_ne_u32_e32 vcc_lo, 0, v144
	v_cndmask_b32_e32 v162, 0, v8, vcc_lo
.LBB4_6261:                             ;   in Loop: Header=BB4_6169 Depth=3
	s_or_b32 exec_lo, exec_lo, s35
.LBB4_6262:                             ;   in Loop: Header=BB4_6169 Depth=3
	s_delay_alu instid0(SALU_CYCLE_1) | instskip(SKIP_3) | instid1(VALU_DEP_1)
	s_or_b32 exec_lo, exec_lo, s34
	v_lshrrev_b32_e32 v8, 24, v9
	s_mov_b32 s14, 0
	s_mov_b32 s35, exec_lo
                                        ; implicit-def: $sgpr34
	v_cmpx_lt_i16_e32 0x7f, v8
	s_xor_b32 s35, exec_lo, s35
	s_cbranch_execnz .LBB4_6657
; %bb.6263:                             ;   in Loop: Header=BB4_6169 Depth=3
	s_or_saveexec_b32 s35, s35
	v_mov_b32_e32 v144, s34
	s_xor_b32 exec_lo, exec_lo, s35
	s_cbranch_execnz .LBB4_6660
.LBB4_6264:                             ;   in Loop: Header=BB4_6169 Depth=3
	s_or_b32 exec_lo, exec_lo, s35
	s_and_saveexec_b32 s34, s14
	s_cbranch_execz .LBB4_6266
.LBB4_6265:                             ;   in Loop: Header=BB4_6169 Depth=3
	v_bfe_u32 v144, v9, 24, 2
	s_delay_alu instid0(VALU_DEP_1) | instskip(NEXT) | instid1(VALU_DEP_1)
	v_clz_i32_u32_e32 v145, v144
	v_min_u32_e32 v145, 32, v145
	s_delay_alu instid0(VALU_DEP_1) | instskip(SKIP_1) | instid1(VALU_DEP_2)
	v_subrev_nc_u32_e32 v146, 29, v145
	v_sub_nc_u32_e32 v145, 30, v145
	v_lshlrev_b32_e32 v8, v146, v8
	v_bfe_u32 v146, v9, 26, 5
	v_and_b32_e32 v9, 0x80000000, v9
	s_delay_alu instid0(VALU_DEP_2) | instskip(NEXT) | instid1(VALU_DEP_4)
	v_cmp_eq_u32_e32 vcc_lo, 0, v146
	v_dual_cndmask_b32 v145, v146, v145 :: v_dual_and_b32 v8, 3, v8
	s_delay_alu instid0(VALU_DEP_1) | instskip(NEXT) | instid1(VALU_DEP_2)
	v_cndmask_b32_e32 v8, v144, v8, vcc_lo
	v_lshl_add_u32 v144, v145, 23, 0x37800000
	s_delay_alu instid0(VALU_DEP_2) | instskip(NEXT) | instid1(VALU_DEP_1)
	v_lshlrev_b32_e32 v8, 21, v8
	v_or3_b32 v144, v9, v144, v8
.LBB4_6266:                             ;   in Loop: Header=BB4_6169 Depth=3
	s_or_b32 exec_lo, exec_lo, s34
	s_delay_alu instid0(VALU_DEP_1) | instskip(SKIP_1) | instid1(VALU_DEP_1)
	v_dual_mul_f32 v8, s15, v144 :: v_dual_mov_b32 v165, 0x8000
	s_mov_b32 s34, exec_lo
	v_and_b32_e32 v9, 0x7f800000, v8
	s_delay_alu instid0(VALU_DEP_1)
	v_cmpx_ne_u32_e32 0x7f800000, v9
	s_cbranch_execz .LBB4_6274
; %bb.6267:                             ;   in Loop: Header=BB4_6169 Depth=3
	v_mov_b32_e32 v165, 0
	s_mov_b32 s35, exec_lo
	v_cmpx_ne_u32_e32 0, v8
	s_cbranch_execz .LBB4_6273
; %bb.6268:                             ;   in Loop: Header=BB4_6169 Depth=3
	v_bfe_u32 v9, v8, 23, 8
	s_delay_alu instid0(VALU_DEP_1) | instskip(SKIP_1) | instid1(VALU_DEP_2)
	v_sub_nc_u32_e32 v145, 0x70, v9
	v_cmp_gt_u32_e32 vcc_lo, 0x71, v9
	v_dual_cndmask_b32 v145, 0, v145 :: v_dual_and_b32 v144, 0x7fffff, v8
	s_delay_alu instid0(VALU_DEP_1) | instskip(SKIP_2) | instid1(VALU_DEP_4)
	v_or_b32_e32 v146, 0x800000, v144
	v_cmp_eq_u32_e32 vcc_lo, 0, v9
	v_add_nc_u32_e32 v9, 0xffffff91, v9
	v_cndmask_b32_e64 v145, v145, 0x6f, vcc_lo
	s_delay_alu instid0(VALU_DEP_4) | instskip(NEXT) | instid1(VALU_DEP_3)
	v_cndmask_b32_e32 v144, v146, v144, vcc_lo
	v_cndmask_b32_e64 v9, v9, 0xffffff92, vcc_lo
	s_delay_alu instid0(VALU_DEP_3) | instskip(NEXT) | instid1(VALU_DEP_3)
	v_lshl_add_u32 v146, 0x200000, v145, -1
	v_lshrrev_b32_e32 v148, v145, v144
	v_lshlrev_b32_e64 v150, v145, 0x100000
	s_delay_alu instid0(VALU_DEP_4) | instskip(NEXT) | instid1(VALU_DEP_4)
	v_add_nc_u32_e32 v145, v145, v9
	v_and_b32_e32 v144, v146, v144
	s_delay_alu instid0(VALU_DEP_4) | instskip(NEXT) | instid1(VALU_DEP_2)
	v_bfe_u32 v149, v148, 21, 1
	v_cmp_eq_u32_e64 s14, v144, v150
	s_delay_alu instid0(VALU_DEP_2) | instskip(NEXT) | instid1(VALU_DEP_1)
	v_add_nc_u32_e32 v146, -1, v149
	v_cndmask_b32_e64 v144, 0, v146, s14
	v_lshrrev_b32_e32 v146, 23, v148
	s_mov_b32 s14, exec_lo
	s_delay_alu instid0(VALU_DEP_2) | instskip(NEXT) | instid1(VALU_DEP_2)
	v_add_nc_u32_e32 v144, v144, v148
	v_xor_b32_e32 v146, 1, v146
	s_delay_alu instid0(VALU_DEP_2) | instskip(NEXT) | instid1(VALU_DEP_1)
	v_and_b32_e32 v9, 0x1fffff, v144
	v_add_nc_u32_e32 v144, v9, v148
                                        ; implicit-def: $vgpr9
	s_delay_alu instid0(VALU_DEP_3)
	v_cmpx_ne_u32_e64 v145, v146
	s_xor_b32 s14, exec_lo, s14
; %bb.6269:                             ;   in Loop: Header=BB4_6169 Depth=3
	s_delay_alu instid0(VALU_DEP_2) | instskip(SKIP_2) | instid1(VALU_DEP_2)
	v_cmp_lt_u32_e32 vcc_lo, 0xffffff, v144
	v_sub_nc_u32_e32 v9, v145, v146
	v_cndmask_b32_e64 v145, 0, 1, vcc_lo
	v_add_co_ci_u32_e32 v9, vcc_lo, 0, v9, vcc_lo
	s_delay_alu instid0(VALU_DEP_2)
	v_lshrrev_b32_e32 v144, v145, v144
; %bb.6270:                             ;   in Loop: Header=BB4_6169 Depth=3
	s_and_not1_saveexec_b32 s14, s14
; %bb.6271:                             ;   in Loop: Header=BB4_6169 Depth=3
	s_delay_alu instid0(VALU_DEP_1)
	v_bfe_u32 v9, v144, 23, 1
; %bb.6272:                             ;   in Loop: Header=BB4_6169 Depth=3
	s_or_b32 exec_lo, exec_lo, s14
	v_lshrrev_b32_e32 v144, 21, v144
	s_delay_alu instid0(VALU_DEP_2) | instskip(SKIP_2) | instid1(VALU_DEP_3)
	v_min_i32_e32 v145, 31, v9
	v_cmp_gt_i32_e32 vcc_lo, 32, v9
	v_lshrrev_b32_e32 v8, 24, v8
	v_dual_cndmask_b32 v144, 3, v144 :: v_dual_lshlrev_b32 v145, 2, v145
	s_delay_alu instid0(VALU_DEP_2) | instskip(NEXT) | instid1(VALU_DEP_2)
	v_and_b32_e32 v8, 0x80, v8
	v_and_b32_e32 v145, 0xfc, v145
	s_delay_alu instid0(VALU_DEP_3) | instskip(SKIP_1) | instid1(VALU_DEP_2)
	v_and_b32_e32 v146, 3, v144
	v_or_b32_e32 v9, v9, v144
	v_or3_b32 v8, v8, v145, v146
	s_delay_alu instid0(VALU_DEP_2) | instskip(NEXT) | instid1(VALU_DEP_2)
	v_cmp_ne_u32_e32 vcc_lo, 0, v9
	v_lshlrev_b32_e32 v8, 8, v8
	s_delay_alu instid0(VALU_DEP_1)
	v_cndmask_b32_e32 v165, 0, v8, vcc_lo
.LBB4_6273:                             ;   in Loop: Header=BB4_6169 Depth=3
	s_or_b32 exec_lo, exec_lo, s35
.LBB4_6274:                             ;   in Loop: Header=BB4_6169 Depth=3
	s_delay_alu instid0(SALU_CYCLE_1) | instskip(SKIP_3) | instid1(VALU_DEP_1)
	s_or_b32 exec_lo, exec_lo, s34
	v_and_b32_e32 v9, 0xff, v10
	s_mov_b32 s14, 0
	s_mov_b32 s35, exec_lo
                                        ; implicit-def: $sgpr34
	v_cmpx_lt_i16_e32 0x7f, v9
	s_xor_b32 s35, exec_lo, s35
	s_cbranch_execnz .LBB4_6661
; %bb.6275:                             ;   in Loop: Header=BB4_6169 Depth=3
	s_or_saveexec_b32 s35, s35
	v_mov_b32_e32 v8, s34
	s_xor_b32 exec_lo, exec_lo, s35
	s_cbranch_execnz .LBB4_6664
.LBB4_6276:                             ;   in Loop: Header=BB4_6169 Depth=3
	s_or_b32 exec_lo, exec_lo, s35
	s_and_saveexec_b32 s34, s14
	s_cbranch_execz .LBB4_6278
.LBB4_6277:                             ;   in Loop: Header=BB4_6169 Depth=3
	v_bfe_u32 v145, v10, 2, 5
	v_lshlrev_b32_e32 v146, 24, v10
	s_delay_alu instid0(VALU_DEP_2) | instskip(SKIP_1) | instid1(VALU_DEP_1)
	v_cmp_eq_u32_e32 vcc_lo, 0, v145
	v_and_b32_e32 v8, 3, v10
	v_clz_i32_u32_e32 v9, v8
	s_delay_alu instid0(VALU_DEP_1) | instskip(NEXT) | instid1(VALU_DEP_1)
	v_min_u32_e32 v9, 32, v9
	v_subrev_nc_u32_e32 v144, 29, v9
	v_sub_nc_u32_e32 v9, 30, v9
	s_delay_alu instid0(VALU_DEP_1) | instskip(NEXT) | instid1(VALU_DEP_1)
	v_dual_cndmask_b32 v9, v145, v9 :: v_dual_lshlrev_b32 v144, v144, v10
	v_and_b32_e32 v144, 3, v144
	s_delay_alu instid0(VALU_DEP_2) | instskip(NEXT) | instid1(VALU_DEP_2)
	v_lshl_add_u32 v9, v9, 23, 0x37800000
	v_cndmask_b32_e32 v8, v8, v144, vcc_lo
	v_and_b32_e32 v144, 0x80000000, v146
	s_delay_alu instid0(VALU_DEP_2) | instskip(NEXT) | instid1(VALU_DEP_1)
	v_lshlrev_b32_e32 v8, 21, v8
	v_or3_b32 v8, v144, v9, v8
.LBB4_6278:                             ;   in Loop: Header=BB4_6169 Depth=3
	s_or_b32 exec_lo, exec_lo, s34
	s_delay_alu instid0(VALU_DEP_1) | instskip(SKIP_2) | instid1(VALU_DEP_2)
	v_mul_f32_e32 v8, s15, v8
	v_mov_b32_e32 v160, 0x80
	s_mov_b32 s34, exec_lo
	v_and_b32_e32 v9, 0x7f800000, v8
	s_delay_alu instid0(VALU_DEP_1)
	v_cmpx_ne_u32_e32 0x7f800000, v9
	s_cbranch_execz .LBB4_6286
; %bb.6279:                             ;   in Loop: Header=BB4_6169 Depth=3
	v_mov_b32_e32 v160, 0
	s_mov_b32 s35, exec_lo
	v_cmpx_ne_u32_e32 0, v8
	s_cbranch_execz .LBB4_6285
; %bb.6280:                             ;   in Loop: Header=BB4_6169 Depth=3
	v_bfe_u32 v9, v8, 23, 8
	s_delay_alu instid0(VALU_DEP_1) | instskip(SKIP_1) | instid1(VALU_DEP_2)
	v_sub_nc_u32_e32 v145, 0x70, v9
	v_cmp_gt_u32_e32 vcc_lo, 0x71, v9
	v_dual_cndmask_b32 v145, 0, v145 :: v_dual_and_b32 v144, 0x7fffff, v8
	s_delay_alu instid0(VALU_DEP_1) | instskip(SKIP_2) | instid1(VALU_DEP_4)
	v_or_b32_e32 v146, 0x800000, v144
	v_cmp_eq_u32_e32 vcc_lo, 0, v9
	v_add_nc_u32_e32 v9, 0xffffff91, v9
	v_cndmask_b32_e64 v145, v145, 0x6f, vcc_lo
	s_delay_alu instid0(VALU_DEP_4) | instskip(NEXT) | instid1(VALU_DEP_3)
	v_cndmask_b32_e32 v144, v146, v144, vcc_lo
	v_cndmask_b32_e64 v9, v9, 0xffffff92, vcc_lo
	s_delay_alu instid0(VALU_DEP_3) | instskip(NEXT) | instid1(VALU_DEP_3)
	v_lshl_add_u32 v146, 0x200000, v145, -1
	v_lshrrev_b32_e32 v148, v145, v144
	v_lshlrev_b32_e64 v150, v145, 0x100000
	s_delay_alu instid0(VALU_DEP_4) | instskip(NEXT) | instid1(VALU_DEP_4)
	v_add_nc_u32_e32 v145, v145, v9
	v_and_b32_e32 v144, v146, v144
	s_delay_alu instid0(VALU_DEP_4) | instskip(NEXT) | instid1(VALU_DEP_2)
	v_bfe_u32 v149, v148, 21, 1
	v_cmp_eq_u32_e64 s14, v144, v150
	s_delay_alu instid0(VALU_DEP_2) | instskip(NEXT) | instid1(VALU_DEP_1)
	v_add_nc_u32_e32 v146, -1, v149
	v_cndmask_b32_e64 v144, 0, v146, s14
	v_lshrrev_b32_e32 v146, 23, v148
	s_mov_b32 s14, exec_lo
	s_delay_alu instid0(VALU_DEP_2) | instskip(NEXT) | instid1(VALU_DEP_2)
	v_add_nc_u32_e32 v144, v144, v148
	v_xor_b32_e32 v146, 1, v146
	s_delay_alu instid0(VALU_DEP_2) | instskip(NEXT) | instid1(VALU_DEP_1)
	v_and_b32_e32 v9, 0x1fffff, v144
	v_add_nc_u32_e32 v144, v9, v148
                                        ; implicit-def: $vgpr9
	s_delay_alu instid0(VALU_DEP_3)
	v_cmpx_ne_u32_e64 v145, v146
	s_xor_b32 s14, exec_lo, s14
; %bb.6281:                             ;   in Loop: Header=BB4_6169 Depth=3
	s_delay_alu instid0(VALU_DEP_2) | instskip(SKIP_2) | instid1(VALU_DEP_2)
	v_cmp_lt_u32_e32 vcc_lo, 0xffffff, v144
	v_sub_nc_u32_e32 v9, v145, v146
	v_cndmask_b32_e64 v145, 0, 1, vcc_lo
	v_add_co_ci_u32_e32 v9, vcc_lo, 0, v9, vcc_lo
	s_delay_alu instid0(VALU_DEP_2)
	v_lshrrev_b32_e32 v144, v145, v144
; %bb.6282:                             ;   in Loop: Header=BB4_6169 Depth=3
	s_and_not1_saveexec_b32 s14, s14
; %bb.6283:                             ;   in Loop: Header=BB4_6169 Depth=3
	s_delay_alu instid0(VALU_DEP_1)
	v_bfe_u32 v9, v144, 23, 1
; %bb.6284:                             ;   in Loop: Header=BB4_6169 Depth=3
	s_or_b32 exec_lo, exec_lo, s14
	v_lshrrev_b32_e32 v144, 21, v144
	s_delay_alu instid0(VALU_DEP_2) | instskip(SKIP_2) | instid1(VALU_DEP_4)
	v_cmp_gt_i32_e32 vcc_lo, 32, v9
	v_lshrrev_b32_e32 v8, 24, v8
	v_min_i32_e32 v145, 31, v9
	v_cndmask_b32_e32 v144, 3, v144, vcc_lo
	s_delay_alu instid0(VALU_DEP_3) | instskip(NEXT) | instid1(VALU_DEP_3)
	v_and_b32_e32 v8, 0x80, v8
	v_lshlrev_b32_e32 v145, 2, v145
	s_delay_alu instid0(VALU_DEP_3) | instskip(SKIP_1) | instid1(VALU_DEP_2)
	v_and_b32_e32 v146, 3, v144
	v_or_b32_e32 v9, v9, v144
	v_or3_b32 v8, v145, v8, v146
	s_delay_alu instid0(VALU_DEP_2) | instskip(NEXT) | instid1(VALU_DEP_2)
	v_cmp_ne_u32_e32 vcc_lo, 0, v9
	v_cndmask_b32_e32 v160, 0, v8, vcc_lo
.LBB4_6285:                             ;   in Loop: Header=BB4_6169 Depth=3
	s_or_b32 exec_lo, exec_lo, s35
.LBB4_6286:                             ;   in Loop: Header=BB4_6169 Depth=3
	s_delay_alu instid0(SALU_CYCLE_1) | instskip(SKIP_3) | instid1(VALU_DEP_1)
	s_or_b32 exec_lo, exec_lo, s34
	v_lshrrev_b16 v8, 8, v10
	s_mov_b32 s14, 0
	s_mov_b32 s35, exec_lo
                                        ; implicit-def: $sgpr34
	v_cmpx_lt_i16_e32 0x7f, v8
	s_xor_b32 s35, exec_lo, s35
	s_cbranch_execnz .LBB4_6665
; %bb.6287:                             ;   in Loop: Header=BB4_6169 Depth=3
	s_or_saveexec_b32 s35, s35
	v_mov_b32_e32 v9, s34
	s_xor_b32 exec_lo, exec_lo, s35
	s_cbranch_execnz .LBB4_6668
.LBB4_6288:                             ;   in Loop: Header=BB4_6169 Depth=3
	s_or_b32 exec_lo, exec_lo, s35
	s_and_saveexec_b32 s34, s14
	s_cbranch_execz .LBB4_6290
.LBB4_6289:                             ;   in Loop: Header=BB4_6169 Depth=3
	v_and_b32_e32 v9, 0xffff, v8
	v_lshlrev_b32_e32 v8, 24, v8
	s_delay_alu instid0(VALU_DEP_2) | instskip(NEXT) | instid1(VALU_DEP_2)
	v_and_b32_e32 v144, 3, v9
	v_and_b32_e32 v8, 0x80000000, v8
	s_delay_alu instid0(VALU_DEP_2) | instskip(NEXT) | instid1(VALU_DEP_1)
	v_clz_i32_u32_e32 v145, v144
	v_min_u32_e32 v145, 32, v145
	s_delay_alu instid0(VALU_DEP_1) | instskip(SKIP_1) | instid1(VALU_DEP_2)
	v_subrev_nc_u32_e32 v146, 29, v145
	v_sub_nc_u32_e32 v145, 30, v145
	v_lshlrev_b32_e32 v146, v146, v9
	v_bfe_u32 v9, v9, 2, 5
	s_delay_alu instid0(VALU_DEP_1) | instskip(NEXT) | instid1(VALU_DEP_3)
	v_cmp_eq_u32_e32 vcc_lo, 0, v9
	v_dual_cndmask_b32 v9, v9, v145 :: v_dual_and_b32 v146, 3, v146
	s_delay_alu instid0(VALU_DEP_1) | instskip(NEXT) | instid1(VALU_DEP_2)
	v_cndmask_b32_e32 v144, v144, v146, vcc_lo
	v_lshl_add_u32 v9, v9, 23, 0x37800000
	s_delay_alu instid0(VALU_DEP_2) | instskip(NEXT) | instid1(VALU_DEP_1)
	v_lshlrev_b32_e32 v144, 21, v144
	v_or3_b32 v9, v8, v9, v144
.LBB4_6290:                             ;   in Loop: Header=BB4_6169 Depth=3
	s_or_b32 exec_lo, exec_lo, s34
	s_delay_alu instid0(VALU_DEP_1) | instskip(SKIP_2) | instid1(VALU_DEP_2)
	v_mul_f32_e32 v8, s15, v9
	v_mov_b32_e32 v150, 0x80
	s_mov_b32 s34, exec_lo
	v_and_b32_e32 v9, 0x7f800000, v8
	s_delay_alu instid0(VALU_DEP_1)
	v_cmpx_ne_u32_e32 0x7f800000, v9
	s_cbranch_execz .LBB4_6298
; %bb.6291:                             ;   in Loop: Header=BB4_6169 Depth=3
	v_mov_b32_e32 v150, 0
	s_mov_b32 s35, exec_lo
	v_cmpx_ne_u32_e32 0, v8
	s_cbranch_execz .LBB4_6297
; %bb.6292:                             ;   in Loop: Header=BB4_6169 Depth=3
	v_bfe_u32 v9, v8, 23, 8
	s_delay_alu instid0(VALU_DEP_1) | instskip(SKIP_1) | instid1(VALU_DEP_2)
	v_sub_nc_u32_e32 v145, 0x70, v9
	v_cmp_gt_u32_e32 vcc_lo, 0x71, v9
	v_dual_cndmask_b32 v145, 0, v145 :: v_dual_and_b32 v144, 0x7fffff, v8
	s_delay_alu instid0(VALU_DEP_1) | instskip(SKIP_2) | instid1(VALU_DEP_4)
	v_or_b32_e32 v146, 0x800000, v144
	v_cmp_eq_u32_e32 vcc_lo, 0, v9
	v_add_nc_u32_e32 v9, 0xffffff91, v9
	v_cndmask_b32_e64 v145, v145, 0x6f, vcc_lo
	s_delay_alu instid0(VALU_DEP_4) | instskip(NEXT) | instid1(VALU_DEP_3)
	v_cndmask_b32_e32 v144, v146, v144, vcc_lo
	v_cndmask_b32_e64 v9, v9, 0xffffff92, vcc_lo
	s_delay_alu instid0(VALU_DEP_3) | instskip(NEXT) | instid1(VALU_DEP_3)
	v_lshl_add_u32 v146, 0x200000, v145, -1
	v_lshrrev_b32_e32 v148, v145, v144
	v_lshlrev_b32_e64 v150, v145, 0x100000
	s_delay_alu instid0(VALU_DEP_4) | instskip(NEXT) | instid1(VALU_DEP_4)
	v_add_nc_u32_e32 v145, v145, v9
	v_and_b32_e32 v144, v146, v144
	s_delay_alu instid0(VALU_DEP_4) | instskip(NEXT) | instid1(VALU_DEP_2)
	v_bfe_u32 v149, v148, 21, 1
	v_cmp_eq_u32_e64 s14, v144, v150
	s_delay_alu instid0(VALU_DEP_2) | instskip(NEXT) | instid1(VALU_DEP_1)
	v_add_nc_u32_e32 v146, -1, v149
	v_cndmask_b32_e64 v144, 0, v146, s14
	v_lshrrev_b32_e32 v146, 23, v148
	s_mov_b32 s14, exec_lo
	s_delay_alu instid0(VALU_DEP_2) | instskip(NEXT) | instid1(VALU_DEP_2)
	v_add_nc_u32_e32 v144, v144, v148
	v_xor_b32_e32 v146, 1, v146
	s_delay_alu instid0(VALU_DEP_2) | instskip(NEXT) | instid1(VALU_DEP_1)
	v_and_b32_e32 v9, 0x1fffff, v144
	v_add_nc_u32_e32 v144, v9, v148
                                        ; implicit-def: $vgpr9
	s_delay_alu instid0(VALU_DEP_3)
	v_cmpx_ne_u32_e64 v145, v146
	s_xor_b32 s14, exec_lo, s14
; %bb.6293:                             ;   in Loop: Header=BB4_6169 Depth=3
	s_delay_alu instid0(VALU_DEP_2) | instskip(SKIP_2) | instid1(VALU_DEP_2)
	v_cmp_lt_u32_e32 vcc_lo, 0xffffff, v144
	v_sub_nc_u32_e32 v9, v145, v146
	v_cndmask_b32_e64 v145, 0, 1, vcc_lo
	v_add_co_ci_u32_e32 v9, vcc_lo, 0, v9, vcc_lo
	s_delay_alu instid0(VALU_DEP_2)
	v_lshrrev_b32_e32 v144, v145, v144
; %bb.6294:                             ;   in Loop: Header=BB4_6169 Depth=3
	s_and_not1_saveexec_b32 s14, s14
; %bb.6295:                             ;   in Loop: Header=BB4_6169 Depth=3
	s_delay_alu instid0(VALU_DEP_1)
	v_bfe_u32 v9, v144, 23, 1
; %bb.6296:                             ;   in Loop: Header=BB4_6169 Depth=3
	s_or_b32 exec_lo, exec_lo, s14
	v_lshrrev_b32_e32 v144, 21, v144
	s_delay_alu instid0(VALU_DEP_2) | instskip(SKIP_2) | instid1(VALU_DEP_4)
	v_cmp_gt_i32_e32 vcc_lo, 32, v9
	v_lshrrev_b32_e32 v8, 24, v8
	v_min_i32_e32 v145, 31, v9
	v_cndmask_b32_e32 v144, 3, v144, vcc_lo
	s_delay_alu instid0(VALU_DEP_3) | instskip(NEXT) | instid1(VALU_DEP_3)
	v_and_b32_e32 v8, 0x80, v8
	v_lshlrev_b32_e32 v145, 2, v145
	s_delay_alu instid0(VALU_DEP_3) | instskip(SKIP_1) | instid1(VALU_DEP_2)
	v_and_b32_e32 v146, 3, v144
	v_or_b32_e32 v9, v9, v144
	v_or3_b32 v8, v145, v8, v146
	s_delay_alu instid0(VALU_DEP_2) | instskip(NEXT) | instid1(VALU_DEP_2)
	v_cmp_ne_u32_e32 vcc_lo, 0, v9
	v_cndmask_b32_e32 v150, 0, v8, vcc_lo
.LBB4_6297:                             ;   in Loop: Header=BB4_6169 Depth=3
	s_or_b32 exec_lo, exec_lo, s35
.LBB4_6298:                             ;   in Loop: Header=BB4_6169 Depth=3
	s_delay_alu instid0(SALU_CYCLE_1) | instskip(SKIP_3) | instid1(VALU_DEP_1)
	s_or_b32 exec_lo, exec_lo, s34
	v_lshrrev_b32_e32 v8, 16, v10
	s_mov_b32 s14, 0
	s_mov_b32 s35, exec_lo
                                        ; implicit-def: $sgpr34
	v_and_b32_e32 v144, 0xff, v8
	s_delay_alu instid0(VALU_DEP_1)
	v_cmpx_lt_i16_e64 0x7f, v144
	s_xor_b32 s35, exec_lo, s35
	s_cbranch_execnz .LBB4_6669
; %bb.6299:                             ;   in Loop: Header=BB4_6169 Depth=3
	s_or_saveexec_b32 s35, s35
	v_mov_b32_e32 v9, s34
	s_xor_b32 exec_lo, exec_lo, s35
	s_cbranch_execnz .LBB4_6672
.LBB4_6300:                             ;   in Loop: Header=BB4_6169 Depth=3
	s_or_b32 exec_lo, exec_lo, s35
	s_and_saveexec_b32 s34, s14
	s_cbranch_execz .LBB4_6302
.LBB4_6301:                             ;   in Loop: Header=BB4_6169 Depth=3
	v_bfe_u32 v9, v10, 16, 2
	v_lshlrev_b32_e32 v146, 8, v10
	s_delay_alu instid0(VALU_DEP_2) | instskip(NEXT) | instid1(VALU_DEP_1)
	v_clz_i32_u32_e32 v144, v9
	v_min_u32_e32 v144, 32, v144
	s_delay_alu instid0(VALU_DEP_1) | instskip(SKIP_1) | instid1(VALU_DEP_2)
	v_subrev_nc_u32_e32 v145, 29, v144
	v_sub_nc_u32_e32 v144, 30, v144
	v_lshlrev_b32_e32 v8, v145, v8
	v_bfe_u32 v145, v10, 18, 5
	s_delay_alu instid0(VALU_DEP_2) | instskip(NEXT) | instid1(VALU_DEP_2)
	v_and_b32_e32 v8, 3, v8
	v_cmp_eq_u32_e32 vcc_lo, 0, v145
	v_cndmask_b32_e32 v144, v145, v144, vcc_lo
	s_delay_alu instid0(VALU_DEP_3) | instskip(NEXT) | instid1(VALU_DEP_2)
	v_dual_cndmask_b32 v8, v9, v8 :: v_dual_and_b32 v9, 0x80000000, v146
	v_lshl_add_u32 v144, v144, 23, 0x37800000
	s_delay_alu instid0(VALU_DEP_2) | instskip(NEXT) | instid1(VALU_DEP_1)
	v_lshlrev_b32_e32 v8, 21, v8
	v_or3_b32 v9, v9, v144, v8
.LBB4_6302:                             ;   in Loop: Header=BB4_6169 Depth=3
	s_or_b32 exec_lo, exec_lo, s34
	s_delay_alu instid0(VALU_DEP_1) | instskip(SKIP_1) | instid1(VALU_DEP_1)
	v_dual_mul_f32 v8, s15, v9 :: v_dual_mov_b32 v149, 0x80
	s_mov_b32 s34, exec_lo
	v_and_b32_e32 v9, 0x7f800000, v8
	s_delay_alu instid0(VALU_DEP_1)
	v_cmpx_ne_u32_e32 0x7f800000, v9
	s_cbranch_execz .LBB4_6310
; %bb.6303:                             ;   in Loop: Header=BB4_6169 Depth=3
	v_mov_b32_e32 v149, 0
	s_mov_b32 s35, exec_lo
	v_cmpx_ne_u32_e32 0, v8
	s_cbranch_execz .LBB4_6309
; %bb.6304:                             ;   in Loop: Header=BB4_6169 Depth=3
	v_bfe_u32 v9, v8, 23, 8
	s_delay_alu instid0(VALU_DEP_1) | instskip(SKIP_1) | instid1(VALU_DEP_2)
	v_sub_nc_u32_e32 v145, 0x70, v9
	v_cmp_gt_u32_e32 vcc_lo, 0x71, v9
	v_dual_cndmask_b32 v145, 0, v145 :: v_dual_and_b32 v144, 0x7fffff, v8
	s_delay_alu instid0(VALU_DEP_1) | instskip(SKIP_2) | instid1(VALU_DEP_4)
	v_or_b32_e32 v146, 0x800000, v144
	v_cmp_eq_u32_e32 vcc_lo, 0, v9
	v_add_nc_u32_e32 v9, 0xffffff91, v9
	v_cndmask_b32_e64 v145, v145, 0x6f, vcc_lo
	s_delay_alu instid0(VALU_DEP_4) | instskip(NEXT) | instid1(VALU_DEP_3)
	v_cndmask_b32_e32 v144, v146, v144, vcc_lo
	v_cndmask_b32_e64 v9, v9, 0xffffff92, vcc_lo
	s_delay_alu instid0(VALU_DEP_3) | instskip(NEXT) | instid1(VALU_DEP_3)
	v_lshl_add_u32 v146, 0x200000, v145, -1
	v_lshrrev_b32_e32 v148, v145, v144
	v_lshlrev_b32_e64 v151, v145, 0x100000
	s_delay_alu instid0(VALU_DEP_4) | instskip(NEXT) | instid1(VALU_DEP_4)
	v_add_nc_u32_e32 v145, v145, v9
	v_and_b32_e32 v144, v146, v144
	s_delay_alu instid0(VALU_DEP_4) | instskip(NEXT) | instid1(VALU_DEP_2)
	v_bfe_u32 v149, v148, 21, 1
	v_cmp_eq_u32_e64 s14, v144, v151
	s_delay_alu instid0(VALU_DEP_2) | instskip(NEXT) | instid1(VALU_DEP_1)
	v_add_nc_u32_e32 v146, -1, v149
	v_cndmask_b32_e64 v144, 0, v146, s14
	v_lshrrev_b32_e32 v146, 23, v148
	s_mov_b32 s14, exec_lo
	s_delay_alu instid0(VALU_DEP_2) | instskip(NEXT) | instid1(VALU_DEP_2)
	v_add_nc_u32_e32 v144, v144, v148
	v_xor_b32_e32 v146, 1, v146
	s_delay_alu instid0(VALU_DEP_2) | instskip(NEXT) | instid1(VALU_DEP_1)
	v_and_b32_e32 v9, 0x1fffff, v144
	v_add_nc_u32_e32 v144, v9, v148
                                        ; implicit-def: $vgpr9
	s_delay_alu instid0(VALU_DEP_3)
	v_cmpx_ne_u32_e64 v145, v146
	s_xor_b32 s14, exec_lo, s14
; %bb.6305:                             ;   in Loop: Header=BB4_6169 Depth=3
	s_delay_alu instid0(VALU_DEP_2) | instskip(SKIP_2) | instid1(VALU_DEP_2)
	v_cmp_lt_u32_e32 vcc_lo, 0xffffff, v144
	v_sub_nc_u32_e32 v9, v145, v146
	v_cndmask_b32_e64 v145, 0, 1, vcc_lo
	v_add_co_ci_u32_e32 v9, vcc_lo, 0, v9, vcc_lo
	s_delay_alu instid0(VALU_DEP_2)
	v_lshrrev_b32_e32 v144, v145, v144
; %bb.6306:                             ;   in Loop: Header=BB4_6169 Depth=3
	s_and_not1_saveexec_b32 s14, s14
; %bb.6307:                             ;   in Loop: Header=BB4_6169 Depth=3
	s_delay_alu instid0(VALU_DEP_1)
	v_bfe_u32 v9, v144, 23, 1
; %bb.6308:                             ;   in Loop: Header=BB4_6169 Depth=3
	s_or_b32 exec_lo, exec_lo, s14
	v_lshrrev_b32_e32 v144, 21, v144
	s_delay_alu instid0(VALU_DEP_2) | instskip(SKIP_2) | instid1(VALU_DEP_4)
	v_cmp_gt_i32_e32 vcc_lo, 32, v9
	v_lshrrev_b32_e32 v8, 24, v8
	v_min_i32_e32 v145, 31, v9
	v_cndmask_b32_e32 v144, 3, v144, vcc_lo
	s_delay_alu instid0(VALU_DEP_3) | instskip(NEXT) | instid1(VALU_DEP_3)
	v_and_b32_e32 v8, 0x80, v8
	v_lshlrev_b32_e32 v145, 2, v145
	s_delay_alu instid0(VALU_DEP_3) | instskip(SKIP_1) | instid1(VALU_DEP_2)
	v_and_b32_e32 v146, 3, v144
	v_or_b32_e32 v9, v9, v144
	v_or3_b32 v8, v145, v8, v146
	s_delay_alu instid0(VALU_DEP_2) | instskip(NEXT) | instid1(VALU_DEP_2)
	v_cmp_ne_u32_e32 vcc_lo, 0, v9
	v_cndmask_b32_e32 v149, 0, v8, vcc_lo
.LBB4_6309:                             ;   in Loop: Header=BB4_6169 Depth=3
	s_or_b32 exec_lo, exec_lo, s35
.LBB4_6310:                             ;   in Loop: Header=BB4_6169 Depth=3
	s_delay_alu instid0(SALU_CYCLE_1) | instskip(SKIP_3) | instid1(VALU_DEP_1)
	s_or_b32 exec_lo, exec_lo, s34
	v_lshrrev_b32_e32 v8, 24, v10
	s_mov_b32 s14, 0
	s_mov_b32 s35, exec_lo
                                        ; implicit-def: $sgpr34
	v_cmpx_lt_i16_e32 0x7f, v8
	s_xor_b32 s35, exec_lo, s35
	s_cbranch_execnz .LBB4_6673
; %bb.6311:                             ;   in Loop: Header=BB4_6169 Depth=3
	s_or_saveexec_b32 s35, s35
	v_mov_b32_e32 v9, s34
	s_xor_b32 exec_lo, exec_lo, s35
	s_cbranch_execnz .LBB4_6676
.LBB4_6312:                             ;   in Loop: Header=BB4_6169 Depth=3
	s_or_b32 exec_lo, exec_lo, s35
	s_and_saveexec_b32 s34, s14
	s_cbranch_execz .LBB4_6314
.LBB4_6313:                             ;   in Loop: Header=BB4_6169 Depth=3
	v_bfe_u32 v9, v10, 24, 2
	s_delay_alu instid0(VALU_DEP_1) | instskip(NEXT) | instid1(VALU_DEP_1)
	v_clz_i32_u32_e32 v144, v9
	v_min_u32_e32 v144, 32, v144
	s_delay_alu instid0(VALU_DEP_1) | instskip(SKIP_1) | instid1(VALU_DEP_2)
	v_subrev_nc_u32_e32 v145, 29, v144
	v_sub_nc_u32_e32 v144, 30, v144
	v_lshlrev_b32_e32 v8, v145, v8
	v_bfe_u32 v145, v10, 26, 5
	s_delay_alu instid0(VALU_DEP_2) | instskip(NEXT) | instid1(VALU_DEP_2)
	v_and_b32_e32 v8, 3, v8
	v_cmp_eq_u32_e32 vcc_lo, 0, v145
	v_cndmask_b32_e32 v144, v145, v144, vcc_lo
	s_delay_alu instid0(VALU_DEP_3) | instskip(NEXT) | instid1(VALU_DEP_2)
	v_dual_cndmask_b32 v8, v9, v8 :: v_dual_and_b32 v9, 0x80000000, v10
	v_lshl_add_u32 v10, v144, 23, 0x37800000
	s_delay_alu instid0(VALU_DEP_2) | instskip(NEXT) | instid1(VALU_DEP_1)
	v_lshlrev_b32_e32 v8, 21, v8
	v_or3_b32 v9, v9, v10, v8
.LBB4_6314:                             ;   in Loop: Header=BB4_6169 Depth=3
	s_or_b32 exec_lo, exec_lo, s34
	s_delay_alu instid0(VALU_DEP_1) | instskip(SKIP_2) | instid1(VALU_DEP_2)
	v_mul_f32_e32 v8, s15, v9
	v_mov_b32_e32 v146, 0x80
	s_mov_b32 s34, exec_lo
	v_and_b32_e32 v9, 0x7f800000, v8
	s_delay_alu instid0(VALU_DEP_1)
	v_cmpx_ne_u32_e32 0x7f800000, v9
	s_cbranch_execz .LBB4_6322
; %bb.6315:                             ;   in Loop: Header=BB4_6169 Depth=3
	v_mov_b32_e32 v146, 0
	s_mov_b32 s35, exec_lo
	v_cmpx_ne_u32_e32 0, v8
	s_cbranch_execz .LBB4_6321
; %bb.6316:                             ;   in Loop: Header=BB4_6169 Depth=3
	v_bfe_u32 v9, v8, 23, 8
	v_and_b32_e32 v10, 0x7fffff, v8
	s_delay_alu instid0(VALU_DEP_2) | instskip(SKIP_1) | instid1(VALU_DEP_3)
	v_sub_nc_u32_e32 v144, 0x70, v9
	v_cmp_gt_u32_e32 vcc_lo, 0x71, v9
	v_or_b32_e32 v145, 0x800000, v10
	s_delay_alu instid0(VALU_DEP_3) | instskip(SKIP_2) | instid1(VALU_DEP_3)
	v_cndmask_b32_e32 v144, 0, v144, vcc_lo
	v_cmp_eq_u32_e32 vcc_lo, 0, v9
	v_add_nc_u32_e32 v9, 0xffffff91, v9
	v_cndmask_b32_e64 v144, v144, 0x6f, vcc_lo
	v_cndmask_b32_e32 v10, v145, v10, vcc_lo
	s_delay_alu instid0(VALU_DEP_3) | instskip(NEXT) | instid1(VALU_DEP_3)
	v_cndmask_b32_e64 v9, v9, 0xffffff92, vcc_lo
	v_lshl_add_u32 v145, 0x200000, v144, -1
	s_delay_alu instid0(VALU_DEP_3) | instskip(SKIP_1) | instid1(VALU_DEP_4)
	v_lshrrev_b32_e32 v146, v144, v10
	v_lshlrev_b32_e64 v151, v144, 0x100000
	v_add_nc_u32_e32 v144, v144, v9
	s_delay_alu instid0(VALU_DEP_4) | instskip(NEXT) | instid1(VALU_DEP_4)
	v_and_b32_e32 v10, v145, v10
	v_bfe_u32 v148, v146, 21, 1
	s_delay_alu instid0(VALU_DEP_2) | instskip(NEXT) | instid1(VALU_DEP_2)
	v_cmp_eq_u32_e64 s14, v10, v151
	v_add_nc_u32_e32 v145, -1, v148
	s_delay_alu instid0(VALU_DEP_1) | instskip(SKIP_2) | instid1(VALU_DEP_2)
	v_cndmask_b32_e64 v10, 0, v145, s14
	v_lshrrev_b32_e32 v145, 23, v146
	s_mov_b32 s14, exec_lo
	v_add_nc_u32_e32 v10, v10, v146
	s_delay_alu instid0(VALU_DEP_2) | instskip(NEXT) | instid1(VALU_DEP_2)
	v_xor_b32_e32 v145, 1, v145
	v_and_b32_e32 v9, 0x1fffff, v10
	s_delay_alu instid0(VALU_DEP_1) | instskip(NEXT) | instid1(VALU_DEP_3)
	v_add_nc_u32_e32 v10, v9, v146
                                        ; implicit-def: $vgpr9
	v_cmpx_ne_u32_e64 v144, v145
	s_xor_b32 s14, exec_lo, s14
; %bb.6317:                             ;   in Loop: Header=BB4_6169 Depth=3
	s_delay_alu instid0(VALU_DEP_2) | instskip(SKIP_2) | instid1(VALU_DEP_2)
	v_cmp_lt_u32_e32 vcc_lo, 0xffffff, v10
	v_sub_nc_u32_e32 v9, v144, v145
	v_cndmask_b32_e64 v144, 0, 1, vcc_lo
	v_add_co_ci_u32_e32 v9, vcc_lo, 0, v9, vcc_lo
	s_delay_alu instid0(VALU_DEP_2)
	v_lshrrev_b32_e32 v10, v144, v10
; %bb.6318:                             ;   in Loop: Header=BB4_6169 Depth=3
	s_and_not1_saveexec_b32 s14, s14
; %bb.6319:                             ;   in Loop: Header=BB4_6169 Depth=3
	s_delay_alu instid0(VALU_DEP_1)
	v_bfe_u32 v9, v10, 23, 1
; %bb.6320:                             ;   in Loop: Header=BB4_6169 Depth=3
	s_or_b32 exec_lo, exec_lo, s14
	v_lshrrev_b32_e32 v10, 21, v10
	s_delay_alu instid0(VALU_DEP_2) | instskip(SKIP_2) | instid1(VALU_DEP_4)
	v_cmp_gt_i32_e32 vcc_lo, 32, v9
	v_lshrrev_b32_e32 v8, 24, v8
	v_min_i32_e32 v144, 31, v9
	v_cndmask_b32_e32 v10, 3, v10, vcc_lo
	s_delay_alu instid0(VALU_DEP_3) | instskip(NEXT) | instid1(VALU_DEP_3)
	v_and_b32_e32 v8, 0x80, v8
	v_lshlrev_b32_e32 v144, 2, v144
	s_delay_alu instid0(VALU_DEP_3) | instskip(NEXT) | instid1(VALU_DEP_1)
	v_or_b32_e32 v9, v9, v10
	v_cmp_ne_u32_e32 vcc_lo, 0, v9
	v_and_b32_e32 v145, 3, v10
	s_delay_alu instid0(VALU_DEP_1) | instskip(NEXT) | instid1(VALU_DEP_1)
	v_or3_b32 v8, v144, v8, v145
	v_cndmask_b32_e32 v146, 0, v8, vcc_lo
.LBB4_6321:                             ;   in Loop: Header=BB4_6169 Depth=3
	s_or_b32 exec_lo, exec_lo, s35
.LBB4_6322:                             ;   in Loop: Header=BB4_6169 Depth=3
	s_delay_alu instid0(SALU_CYCLE_1) | instskip(SKIP_3) | instid1(VALU_DEP_1)
	s_or_b32 exec_lo, exec_lo, s34
	v_and_b32_e32 v9, 0xff, v11
	s_mov_b32 s14, 0
	s_mov_b32 s35, exec_lo
                                        ; implicit-def: $sgpr34
	v_cmpx_lt_i16_e32 0x7f, v9
	s_xor_b32 s35, exec_lo, s35
	s_cbranch_execnz .LBB4_6677
; %bb.6323:                             ;   in Loop: Header=BB4_6169 Depth=3
	s_or_saveexec_b32 s35, s35
	v_mov_b32_e32 v8, s34
	s_xor_b32 exec_lo, exec_lo, s35
	s_cbranch_execnz .LBB4_6680
.LBB4_6324:                             ;   in Loop: Header=BB4_6169 Depth=3
	s_or_b32 exec_lo, exec_lo, s35
	s_and_saveexec_b32 s34, s14
	s_cbranch_execz .LBB4_6326
.LBB4_6325:                             ;   in Loop: Header=BB4_6169 Depth=3
	v_bfe_u32 v144, v11, 2, 5
	s_delay_alu instid0(VALU_DEP_1) | instskip(SKIP_1) | instid1(VALU_DEP_1)
	v_cmp_eq_u32_e32 vcc_lo, 0, v144
	v_and_b32_e32 v8, 3, v11
	v_clz_i32_u32_e32 v9, v8
	s_delay_alu instid0(VALU_DEP_1) | instskip(NEXT) | instid1(VALU_DEP_1)
	v_min_u32_e32 v9, 32, v9
	v_subrev_nc_u32_e32 v10, 29, v9
	v_sub_nc_u32_e32 v9, 30, v9
	s_delay_alu instid0(VALU_DEP_1) | instskip(NEXT) | instid1(VALU_DEP_1)
	v_dual_cndmask_b32 v9, v144, v9 :: v_dual_lshlrev_b32 v10, v10, v11
	v_and_b32_e32 v10, 3, v10
	v_lshlrev_b32_e32 v145, 24, v11
	s_delay_alu instid0(VALU_DEP_3) | instskip(NEXT) | instid1(VALU_DEP_3)
	v_lshl_add_u32 v9, v9, 23, 0x37800000
	v_cndmask_b32_e32 v8, v8, v10, vcc_lo
	s_delay_alu instid0(VALU_DEP_3) | instskip(NEXT) | instid1(VALU_DEP_2)
	v_and_b32_e32 v10, 0x80000000, v145
	v_lshlrev_b32_e32 v8, 21, v8
	s_delay_alu instid0(VALU_DEP_1)
	v_or3_b32 v8, v10, v9, v8
.LBB4_6326:                             ;   in Loop: Header=BB4_6169 Depth=3
	s_or_b32 exec_lo, exec_lo, s34
	s_delay_alu instid0(VALU_DEP_1) | instskip(SKIP_1) | instid1(VALU_DEP_1)
	v_dual_mul_f32 v8, s15, v8 :: v_dual_mov_b32 v145, 0x80
	s_mov_b32 s34, exec_lo
	v_and_b32_e32 v9, 0x7f800000, v8
	s_delay_alu instid0(VALU_DEP_1)
	v_cmpx_ne_u32_e32 0x7f800000, v9
	s_cbranch_execz .LBB4_6334
; %bb.6327:                             ;   in Loop: Header=BB4_6169 Depth=3
	v_mov_b32_e32 v145, 0
	s_mov_b32 s35, exec_lo
	v_cmpx_ne_u32_e32 0, v8
	s_cbranch_execz .LBB4_6333
; %bb.6328:                             ;   in Loop: Header=BB4_6169 Depth=3
	v_bfe_u32 v9, v8, 23, 8
	v_and_b32_e32 v10, 0x7fffff, v8
	s_delay_alu instid0(VALU_DEP_2) | instskip(SKIP_1) | instid1(VALU_DEP_3)
	v_sub_nc_u32_e32 v144, 0x70, v9
	v_cmp_gt_u32_e32 vcc_lo, 0x71, v9
	v_or_b32_e32 v145, 0x800000, v10
	s_delay_alu instid0(VALU_DEP_3) | instskip(SKIP_2) | instid1(VALU_DEP_3)
	v_cndmask_b32_e32 v144, 0, v144, vcc_lo
	v_cmp_eq_u32_e32 vcc_lo, 0, v9
	v_add_nc_u32_e32 v9, 0xffffff91, v9
	v_cndmask_b32_e64 v144, v144, 0x6f, vcc_lo
	v_cndmask_b32_e32 v10, v145, v10, vcc_lo
	s_delay_alu instid0(VALU_DEP_3) | instskip(NEXT) | instid1(VALU_DEP_3)
	v_cndmask_b32_e64 v9, v9, 0xffffff92, vcc_lo
	v_lshl_add_u32 v145, 0x200000, v144, -1
	s_delay_alu instid0(VALU_DEP_3) | instskip(SKIP_1) | instid1(VALU_DEP_4)
	v_lshrrev_b32_e32 v148, v144, v10
	v_lshlrev_b32_e64 v167, v144, 0x100000
	v_add_nc_u32_e32 v144, v144, v9
	s_delay_alu instid0(VALU_DEP_4) | instskip(NEXT) | instid1(VALU_DEP_4)
	v_and_b32_e32 v10, v145, v10
	v_bfe_u32 v151, v148, 21, 1
	s_delay_alu instid0(VALU_DEP_2) | instskip(NEXT) | instid1(VALU_DEP_2)
	v_cmp_eq_u32_e64 s14, v10, v167
	v_add_nc_u32_e32 v145, -1, v151
	s_delay_alu instid0(VALU_DEP_1) | instskip(SKIP_2) | instid1(VALU_DEP_2)
	v_cndmask_b32_e64 v10, 0, v145, s14
	v_lshrrev_b32_e32 v145, 23, v148
	s_mov_b32 s14, exec_lo
	v_add_nc_u32_e32 v10, v10, v148
	s_delay_alu instid0(VALU_DEP_2) | instskip(NEXT) | instid1(VALU_DEP_2)
	v_xor_b32_e32 v145, 1, v145
	v_and_b32_e32 v9, 0x1fffff, v10
	s_delay_alu instid0(VALU_DEP_1) | instskip(NEXT) | instid1(VALU_DEP_3)
	v_add_nc_u32_e32 v10, v9, v148
                                        ; implicit-def: $vgpr9
	v_cmpx_ne_u32_e64 v144, v145
	s_xor_b32 s14, exec_lo, s14
; %bb.6329:                             ;   in Loop: Header=BB4_6169 Depth=3
	s_delay_alu instid0(VALU_DEP_2) | instskip(SKIP_2) | instid1(VALU_DEP_2)
	v_cmp_lt_u32_e32 vcc_lo, 0xffffff, v10
	v_sub_nc_u32_e32 v9, v144, v145
	v_cndmask_b32_e64 v144, 0, 1, vcc_lo
	v_add_co_ci_u32_e32 v9, vcc_lo, 0, v9, vcc_lo
	s_delay_alu instid0(VALU_DEP_2)
	v_lshrrev_b32_e32 v10, v144, v10
; %bb.6330:                             ;   in Loop: Header=BB4_6169 Depth=3
	s_and_not1_saveexec_b32 s14, s14
; %bb.6331:                             ;   in Loop: Header=BB4_6169 Depth=3
	s_delay_alu instid0(VALU_DEP_1)
	v_bfe_u32 v9, v10, 23, 1
; %bb.6332:                             ;   in Loop: Header=BB4_6169 Depth=3
	s_or_b32 exec_lo, exec_lo, s14
	v_lshrrev_b32_e32 v10, 21, v10
	s_delay_alu instid0(VALU_DEP_2) | instskip(SKIP_2) | instid1(VALU_DEP_3)
	v_min_i32_e32 v144, 31, v9
	v_cmp_gt_i32_e32 vcc_lo, 32, v9
	v_lshrrev_b32_e32 v8, 24, v8
	v_lshlrev_b32_e32 v144, 2, v144
	v_cndmask_b32_e32 v10, 3, v10, vcc_lo
	s_delay_alu instid0(VALU_DEP_3) | instskip(NEXT) | instid1(VALU_DEP_3)
	v_and_b32_e32 v8, 0x80, v8
	v_and_b32_e32 v144, 0xfc, v144
	s_delay_alu instid0(VALU_DEP_3) | instskip(SKIP_1) | instid1(VALU_DEP_2)
	v_and_b32_e32 v145, 3, v10
	v_or_b32_e32 v9, v9, v10
	v_or3_b32 v8, v144, v8, v145
	s_delay_alu instid0(VALU_DEP_2) | instskip(NEXT) | instid1(VALU_DEP_2)
	v_cmp_ne_u32_e32 vcc_lo, 0, v9
	v_cndmask_b32_e32 v145, 0, v8, vcc_lo
.LBB4_6333:                             ;   in Loop: Header=BB4_6169 Depth=3
	s_or_b32 exec_lo, exec_lo, s35
.LBB4_6334:                             ;   in Loop: Header=BB4_6169 Depth=3
	s_delay_alu instid0(SALU_CYCLE_1) | instskip(SKIP_3) | instid1(VALU_DEP_1)
	s_or_b32 exec_lo, exec_lo, s34
	v_lshrrev_b16 v8, 8, v11
	s_mov_b32 s14, 0
	s_mov_b32 s35, exec_lo
                                        ; implicit-def: $sgpr34
	v_cmpx_lt_i16_e32 0x7f, v8
	s_xor_b32 s35, exec_lo, s35
	s_cbranch_execnz .LBB4_6681
; %bb.6335:                             ;   in Loop: Header=BB4_6169 Depth=3
	s_or_saveexec_b32 s35, s35
	v_mov_b32_e32 v9, s34
	s_xor_b32 exec_lo, exec_lo, s35
	s_cbranch_execnz .LBB4_6684
.LBB4_6336:                             ;   in Loop: Header=BB4_6169 Depth=3
	s_or_b32 exec_lo, exec_lo, s35
	s_and_saveexec_b32 s34, s14
	s_cbranch_execz .LBB4_6338
.LBB4_6337:                             ;   in Loop: Header=BB4_6169 Depth=3
	v_and_b32_e32 v9, 0xffff, v8
	v_lshlrev_b32_e32 v8, 24, v8
	s_delay_alu instid0(VALU_DEP_2) | instskip(NEXT) | instid1(VALU_DEP_2)
	v_and_b32_e32 v10, 3, v9
	v_and_b32_e32 v8, 0x80000000, v8
	s_delay_alu instid0(VALU_DEP_2) | instskip(NEXT) | instid1(VALU_DEP_1)
	v_clz_i32_u32_e32 v144, v10
	v_min_u32_e32 v144, 32, v144
	s_delay_alu instid0(VALU_DEP_1) | instskip(SKIP_1) | instid1(VALU_DEP_2)
	v_subrev_nc_u32_e32 v148, 29, v144
	v_sub_nc_u32_e32 v144, 30, v144
	v_lshlrev_b32_e32 v148, v148, v9
	v_bfe_u32 v9, v9, 2, 5
	s_delay_alu instid0(VALU_DEP_2) | instskip(NEXT) | instid1(VALU_DEP_2)
	v_and_b32_e32 v148, 3, v148
	v_cmp_eq_u32_e32 vcc_lo, 0, v9
	v_cndmask_b32_e32 v9, v9, v144, vcc_lo
	s_delay_alu instid0(VALU_DEP_3) | instskip(NEXT) | instid1(VALU_DEP_2)
	v_cndmask_b32_e32 v10, v10, v148, vcc_lo
	v_lshl_add_u32 v9, v9, 23, 0x37800000
	s_delay_alu instid0(VALU_DEP_2) | instskip(NEXT) | instid1(VALU_DEP_1)
	v_lshlrev_b32_e32 v10, 21, v10
	v_or3_b32 v9, v8, v9, v10
.LBB4_6338:                             ;   in Loop: Header=BB4_6169 Depth=3
	s_or_b32 exec_lo, exec_lo, s34
	s_delay_alu instid0(VALU_DEP_1) | instskip(SKIP_1) | instid1(VALU_DEP_1)
	v_dual_mul_f32 v8, s15, v9 :: v_dual_mov_b32 v151, 0x8000
	s_mov_b32 s34, exec_lo
	v_and_b32_e32 v9, 0x7f800000, v8
	s_delay_alu instid0(VALU_DEP_1)
	v_cmpx_ne_u32_e32 0x7f800000, v9
	s_cbranch_execz .LBB4_6346
; %bb.6339:                             ;   in Loop: Header=BB4_6169 Depth=3
	v_mov_b32_e32 v151, 0
	s_mov_b32 s35, exec_lo
	v_cmpx_ne_u32_e32 0, v8
	s_cbranch_execz .LBB4_6345
; %bb.6340:                             ;   in Loop: Header=BB4_6169 Depth=3
	v_bfe_u32 v9, v8, 23, 8
	v_and_b32_e32 v10, 0x7fffff, v8
	s_delay_alu instid0(VALU_DEP_2) | instskip(SKIP_1) | instid1(VALU_DEP_3)
	v_sub_nc_u32_e32 v144, 0x70, v9
	v_cmp_gt_u32_e32 vcc_lo, 0x71, v9
	v_or_b32_e32 v148, 0x800000, v10
	s_delay_alu instid0(VALU_DEP_3) | instskip(SKIP_2) | instid1(VALU_DEP_3)
	v_cndmask_b32_e32 v144, 0, v144, vcc_lo
	v_cmp_eq_u32_e32 vcc_lo, 0, v9
	v_add_nc_u32_e32 v9, 0xffffff91, v9
	v_cndmask_b32_e64 v144, v144, 0x6f, vcc_lo
	v_cndmask_b32_e32 v10, v148, v10, vcc_lo
	s_delay_alu instid0(VALU_DEP_3) | instskip(NEXT) | instid1(VALU_DEP_3)
	v_cndmask_b32_e64 v9, v9, 0xffffff92, vcc_lo
	v_lshl_add_u32 v148, 0x200000, v144, -1
	s_delay_alu instid0(VALU_DEP_3) | instskip(SKIP_1) | instid1(VALU_DEP_4)
	v_lshrrev_b32_e32 v151, v144, v10
	v_lshlrev_b32_e64 v176, v144, 0x100000
	v_add_nc_u32_e32 v144, v144, v9
	s_delay_alu instid0(VALU_DEP_4) | instskip(NEXT) | instid1(VALU_DEP_4)
	v_and_b32_e32 v10, v148, v10
	v_bfe_u32 v167, v151, 21, 1
	s_delay_alu instid0(VALU_DEP_2) | instskip(NEXT) | instid1(VALU_DEP_2)
	v_cmp_eq_u32_e64 s14, v10, v176
	v_add_nc_u32_e32 v148, -1, v167
	s_delay_alu instid0(VALU_DEP_1) | instskip(SKIP_2) | instid1(VALU_DEP_2)
	v_cndmask_b32_e64 v10, 0, v148, s14
	v_lshrrev_b32_e32 v148, 23, v151
	s_mov_b32 s14, exec_lo
	v_add_nc_u32_e32 v10, v10, v151
	s_delay_alu instid0(VALU_DEP_2) | instskip(NEXT) | instid1(VALU_DEP_2)
	v_xor_b32_e32 v148, 1, v148
	v_and_b32_e32 v9, 0x1fffff, v10
	s_delay_alu instid0(VALU_DEP_1) | instskip(NEXT) | instid1(VALU_DEP_3)
	v_add_nc_u32_e32 v10, v9, v151
                                        ; implicit-def: $vgpr9
	v_cmpx_ne_u32_e64 v144, v148
	s_xor_b32 s14, exec_lo, s14
; %bb.6341:                             ;   in Loop: Header=BB4_6169 Depth=3
	s_delay_alu instid0(VALU_DEP_2) | instskip(SKIP_2) | instid1(VALU_DEP_2)
	v_cmp_lt_u32_e32 vcc_lo, 0xffffff, v10
	v_sub_nc_u32_e32 v9, v144, v148
	v_cndmask_b32_e64 v144, 0, 1, vcc_lo
	v_add_co_ci_u32_e32 v9, vcc_lo, 0, v9, vcc_lo
	s_delay_alu instid0(VALU_DEP_2)
	v_lshrrev_b32_e32 v10, v144, v10
; %bb.6342:                             ;   in Loop: Header=BB4_6169 Depth=3
	s_and_not1_saveexec_b32 s14, s14
; %bb.6343:                             ;   in Loop: Header=BB4_6169 Depth=3
	s_delay_alu instid0(VALU_DEP_1)
	v_bfe_u32 v9, v10, 23, 1
; %bb.6344:                             ;   in Loop: Header=BB4_6169 Depth=3
	s_or_b32 exec_lo, exec_lo, s14
	v_lshrrev_b32_e32 v10, 21, v10
	s_delay_alu instid0(VALU_DEP_2) | instskip(SKIP_2) | instid1(VALU_DEP_3)
	v_min_i32_e32 v144, 31, v9
	v_cmp_gt_i32_e32 vcc_lo, 32, v9
	v_lshrrev_b32_e32 v8, 24, v8
	v_lshlrev_b32_e32 v144, 2, v144
	v_cndmask_b32_e32 v10, 3, v10, vcc_lo
	s_delay_alu instid0(VALU_DEP_3) | instskip(NEXT) | instid1(VALU_DEP_3)
	v_and_b32_e32 v8, 0x80, v8
	v_and_b32_e32 v144, 0xfc, v144
	s_delay_alu instid0(VALU_DEP_3) | instskip(SKIP_1) | instid1(VALU_DEP_2)
	v_and_b32_e32 v148, 3, v10
	v_or_b32_e32 v9, v9, v10
	v_or3_b32 v8, v8, v144, v148
	s_delay_alu instid0(VALU_DEP_2) | instskip(NEXT) | instid1(VALU_DEP_2)
	v_cmp_ne_u32_e32 vcc_lo, 0, v9
	v_lshlrev_b32_e32 v8, 8, v8
	s_delay_alu instid0(VALU_DEP_1)
	v_cndmask_b32_e32 v151, 0, v8, vcc_lo
.LBB4_6345:                             ;   in Loop: Header=BB4_6169 Depth=3
	s_or_b32 exec_lo, exec_lo, s35
.LBB4_6346:                             ;   in Loop: Header=BB4_6169 Depth=3
	s_delay_alu instid0(SALU_CYCLE_1) | instskip(SKIP_3) | instid1(VALU_DEP_1)
	s_or_b32 exec_lo, exec_lo, s34
	v_lshrrev_b32_e32 v8, 16, v11
	s_mov_b32 s14, 0
	s_mov_b32 s35, exec_lo
                                        ; implicit-def: $sgpr34
	v_and_b32_e32 v10, 0xff, v8
	s_delay_alu instid0(VALU_DEP_1)
	v_cmpx_lt_i16_e32 0x7f, v10
	s_xor_b32 s35, exec_lo, s35
	s_cbranch_execnz .LBB4_6685
; %bb.6347:                             ;   in Loop: Header=BB4_6169 Depth=3
	s_or_saveexec_b32 s35, s35
	v_mov_b32_e32 v9, s34
	s_xor_b32 exec_lo, exec_lo, s35
	s_cbranch_execnz .LBB4_6688
.LBB4_6348:                             ;   in Loop: Header=BB4_6169 Depth=3
	s_or_b32 exec_lo, exec_lo, s35
	s_and_saveexec_b32 s34, s14
	s_cbranch_execz .LBB4_6350
.LBB4_6349:                             ;   in Loop: Header=BB4_6169 Depth=3
	v_bfe_u32 v9, v11, 16, 2
	v_lshlrev_b32_e32 v148, 8, v11
	s_delay_alu instid0(VALU_DEP_2) | instskip(NEXT) | instid1(VALU_DEP_1)
	v_clz_i32_u32_e32 v10, v9
	v_min_u32_e32 v10, 32, v10
	s_delay_alu instid0(VALU_DEP_1) | instskip(SKIP_1) | instid1(VALU_DEP_2)
	v_subrev_nc_u32_e32 v144, 29, v10
	v_sub_nc_u32_e32 v10, 30, v10
	v_lshlrev_b32_e32 v8, v144, v8
	v_bfe_u32 v144, v11, 18, 5
	s_delay_alu instid0(VALU_DEP_2) | instskip(NEXT) | instid1(VALU_DEP_2)
	v_and_b32_e32 v8, 3, v8
	v_cmp_eq_u32_e32 vcc_lo, 0, v144
	v_cndmask_b32_e32 v10, v144, v10, vcc_lo
	s_delay_alu instid0(VALU_DEP_3) | instskip(SKIP_1) | instid1(VALU_DEP_3)
	v_cndmask_b32_e32 v8, v9, v8, vcc_lo
	v_and_b32_e32 v9, 0x80000000, v148
	v_lshl_add_u32 v10, v10, 23, 0x37800000
	s_delay_alu instid0(VALU_DEP_3) | instskip(NEXT) | instid1(VALU_DEP_1)
	v_lshlrev_b32_e32 v8, 21, v8
	v_or3_b32 v9, v9, v10, v8
.LBB4_6350:                             ;   in Loop: Header=BB4_6169 Depth=3
	s_or_b32 exec_lo, exec_lo, s34
	s_delay_alu instid0(VALU_DEP_1) | instskip(SKIP_2) | instid1(VALU_DEP_2)
	v_mul_f32_e32 v8, s15, v9
	v_mov_b32_e32 v144, 0x80
	s_mov_b32 s34, exec_lo
	v_and_b32_e32 v9, 0x7f800000, v8
	s_delay_alu instid0(VALU_DEP_1)
	v_cmpx_ne_u32_e32 0x7f800000, v9
	s_cbranch_execz .LBB4_6358
; %bb.6351:                             ;   in Loop: Header=BB4_6169 Depth=3
	v_mov_b32_e32 v144, 0
	s_mov_b32 s35, exec_lo
	v_cmpx_ne_u32_e32 0, v8
	s_cbranch_execz .LBB4_6357
; %bb.6352:                             ;   in Loop: Header=BB4_6169 Depth=3
	v_bfe_u32 v9, v8, 23, 8
	v_and_b32_e32 v10, 0x7fffff, v8
	s_delay_alu instid0(VALU_DEP_2) | instskip(SKIP_1) | instid1(VALU_DEP_3)
	v_sub_nc_u32_e32 v144, 0x70, v9
	v_cmp_gt_u32_e32 vcc_lo, 0x71, v9
	v_or_b32_e32 v148, 0x800000, v10
	s_delay_alu instid0(VALU_DEP_3) | instskip(SKIP_2) | instid1(VALU_DEP_3)
	v_cndmask_b32_e32 v144, 0, v144, vcc_lo
	v_cmp_eq_u32_e32 vcc_lo, 0, v9
	v_add_nc_u32_e32 v9, 0xffffff91, v9
	v_cndmask_b32_e64 v144, v144, 0x6f, vcc_lo
	v_cndmask_b32_e32 v10, v148, v10, vcc_lo
	s_delay_alu instid0(VALU_DEP_3) | instskip(NEXT) | instid1(VALU_DEP_3)
	v_cndmask_b32_e64 v9, v9, 0xffffff92, vcc_lo
	v_lshl_add_u32 v148, 0x200000, v144, -1
	s_delay_alu instid0(VALU_DEP_3) | instskip(SKIP_1) | instid1(VALU_DEP_4)
	v_lshrrev_b32_e32 v167, v144, v10
	v_lshlrev_b32_e64 v177, v144, 0x100000
	v_add_nc_u32_e32 v144, v144, v9
	s_delay_alu instid0(VALU_DEP_4) | instskip(NEXT) | instid1(VALU_DEP_4)
	v_and_b32_e32 v10, v148, v10
	v_bfe_u32 v176, v167, 21, 1
	s_delay_alu instid0(VALU_DEP_2) | instskip(NEXT) | instid1(VALU_DEP_2)
	v_cmp_eq_u32_e64 s14, v10, v177
	v_add_nc_u32_e32 v148, -1, v176
	s_delay_alu instid0(VALU_DEP_1) | instskip(SKIP_2) | instid1(VALU_DEP_2)
	v_cndmask_b32_e64 v10, 0, v148, s14
	v_lshrrev_b32_e32 v148, 23, v167
	s_mov_b32 s14, exec_lo
	v_add_nc_u32_e32 v10, v10, v167
	s_delay_alu instid0(VALU_DEP_2) | instskip(NEXT) | instid1(VALU_DEP_2)
	v_xor_b32_e32 v148, 1, v148
	v_and_b32_e32 v9, 0x1fffff, v10
	s_delay_alu instid0(VALU_DEP_1) | instskip(NEXT) | instid1(VALU_DEP_3)
	v_add_nc_u32_e32 v10, v9, v167
                                        ; implicit-def: $vgpr9
	v_cmpx_ne_u32_e64 v144, v148
	s_xor_b32 s14, exec_lo, s14
; %bb.6353:                             ;   in Loop: Header=BB4_6169 Depth=3
	s_delay_alu instid0(VALU_DEP_2) | instskip(SKIP_2) | instid1(VALU_DEP_2)
	v_cmp_lt_u32_e32 vcc_lo, 0xffffff, v10
	v_sub_nc_u32_e32 v9, v144, v148
	v_cndmask_b32_e64 v144, 0, 1, vcc_lo
	v_add_co_ci_u32_e32 v9, vcc_lo, 0, v9, vcc_lo
	s_delay_alu instid0(VALU_DEP_2)
	v_lshrrev_b32_e32 v10, v144, v10
; %bb.6354:                             ;   in Loop: Header=BB4_6169 Depth=3
	s_and_not1_saveexec_b32 s14, s14
; %bb.6355:                             ;   in Loop: Header=BB4_6169 Depth=3
	s_delay_alu instid0(VALU_DEP_1)
	v_bfe_u32 v9, v10, 23, 1
; %bb.6356:                             ;   in Loop: Header=BB4_6169 Depth=3
	s_or_b32 exec_lo, exec_lo, s14
	v_lshrrev_b32_e32 v10, 21, v10
	s_delay_alu instid0(VALU_DEP_2) | instskip(SKIP_2) | instid1(VALU_DEP_3)
	v_min_i32_e32 v144, 31, v9
	v_cmp_gt_i32_e32 vcc_lo, 32, v9
	v_lshrrev_b32_e32 v8, 24, v8
	v_lshlrev_b32_e32 v144, 2, v144
	v_cndmask_b32_e32 v10, 3, v10, vcc_lo
	s_delay_alu instid0(VALU_DEP_3) | instskip(NEXT) | instid1(VALU_DEP_3)
	v_and_b32_e32 v8, 0x80, v8
	v_and_b32_e32 v144, 0xfc, v144
	s_delay_alu instid0(VALU_DEP_3) | instskip(SKIP_1) | instid1(VALU_DEP_2)
	v_and_b32_e32 v148, 3, v10
	v_or_b32_e32 v9, v9, v10
	v_or3_b32 v8, v144, v8, v148
	s_delay_alu instid0(VALU_DEP_2) | instskip(NEXT) | instid1(VALU_DEP_2)
	v_cmp_ne_u32_e32 vcc_lo, 0, v9
	v_cndmask_b32_e32 v144, 0, v8, vcc_lo
.LBB4_6357:                             ;   in Loop: Header=BB4_6169 Depth=3
	s_or_b32 exec_lo, exec_lo, s35
.LBB4_6358:                             ;   in Loop: Header=BB4_6169 Depth=3
	s_delay_alu instid0(SALU_CYCLE_1) | instskip(SKIP_3) | instid1(VALU_DEP_1)
	s_or_b32 exec_lo, exec_lo, s34
	v_lshrrev_b32_e32 v8, 24, v11
	s_mov_b32 s14, 0
	s_mov_b32 s35, exec_lo
                                        ; implicit-def: $sgpr34
	v_cmpx_lt_i16_e32 0x7f, v8
	s_xor_b32 s35, exec_lo, s35
	s_cbranch_execnz .LBB4_6689
; %bb.6359:                             ;   in Loop: Header=BB4_6169 Depth=3
	s_or_saveexec_b32 s35, s35
	v_mov_b32_e32 v9, s34
	s_xor_b32 exec_lo, exec_lo, s35
	s_cbranch_execnz .LBB4_6692
.LBB4_6360:                             ;   in Loop: Header=BB4_6169 Depth=3
	s_or_b32 exec_lo, exec_lo, s35
	s_and_saveexec_b32 s34, s14
	s_cbranch_execz .LBB4_6362
.LBB4_6361:                             ;   in Loop: Header=BB4_6169 Depth=3
	v_bfe_u32 v9, v11, 24, 2
	s_delay_alu instid0(VALU_DEP_1) | instskip(NEXT) | instid1(VALU_DEP_1)
	v_clz_i32_u32_e32 v10, v9
	v_min_u32_e32 v10, 32, v10
	s_delay_alu instid0(VALU_DEP_1) | instskip(SKIP_1) | instid1(VALU_DEP_2)
	v_subrev_nc_u32_e32 v148, 29, v10
	v_sub_nc_u32_e32 v10, 30, v10
	v_lshlrev_b32_e32 v8, v148, v8
	v_bfe_u32 v148, v11, 26, 5
	s_delay_alu instid0(VALU_DEP_2) | instskip(NEXT) | instid1(VALU_DEP_2)
	v_and_b32_e32 v8, 3, v8
	v_cmp_eq_u32_e32 vcc_lo, 0, v148
	v_cndmask_b32_e32 v10, v148, v10, vcc_lo
	s_delay_alu instid0(VALU_DEP_3) | instskip(NEXT) | instid1(VALU_DEP_2)
	v_dual_cndmask_b32 v8, v9, v8 :: v_dual_and_b32 v9, 0x80000000, v11
	v_lshl_add_u32 v10, v10, 23, 0x37800000
	s_delay_alu instid0(VALU_DEP_2) | instskip(NEXT) | instid1(VALU_DEP_1)
	v_lshlrev_b32_e32 v8, 21, v8
	v_or3_b32 v9, v9, v10, v8
.LBB4_6362:                             ;   in Loop: Header=BB4_6169 Depth=3
	s_or_b32 exec_lo, exec_lo, s34
	s_delay_alu instid0(VALU_DEP_1) | instskip(SKIP_2) | instid1(VALU_DEP_2)
	v_mul_f32_e32 v8, s15, v9
	v_mov_b32_e32 v148, 0x8000
	s_mov_b32 s15, exec_lo
	v_and_b32_e32 v9, 0x7f800000, v8
	s_delay_alu instid0(VALU_DEP_1)
	v_cmpx_ne_u32_e32 0x7f800000, v9
	s_cbranch_execz .LBB4_6370
; %bb.6363:                             ;   in Loop: Header=BB4_6169 Depth=3
	v_mov_b32_e32 v148, 0
	s_mov_b32 s34, exec_lo
	v_cmpx_ne_u32_e32 0, v8
	s_cbranch_execz .LBB4_6369
; %bb.6364:                             ;   in Loop: Header=BB4_6169 Depth=3
	v_bfe_u32 v9, v8, 23, 8
	s_delay_alu instid0(VALU_DEP_1) | instskip(SKIP_1) | instid1(VALU_DEP_2)
	v_sub_nc_u32_e32 v11, 0x70, v9
	v_cmp_gt_u32_e32 vcc_lo, 0x71, v9
	v_dual_cndmask_b32 v11, 0, v11 :: v_dual_and_b32 v10, 0x7fffff, v8
	s_delay_alu instid0(VALU_DEP_1) | instskip(SKIP_2) | instid1(VALU_DEP_4)
	v_or_b32_e32 v148, 0x800000, v10
	v_cmp_eq_u32_e32 vcc_lo, 0, v9
	v_add_nc_u32_e32 v9, 0xffffff91, v9
	v_cndmask_b32_e64 v11, v11, 0x6f, vcc_lo
	s_delay_alu instid0(VALU_DEP_4) | instskip(NEXT) | instid1(VALU_DEP_3)
	v_cndmask_b32_e32 v10, v148, v10, vcc_lo
	v_cndmask_b32_e64 v9, v9, 0xffffff92, vcc_lo
	s_delay_alu instid0(VALU_DEP_3) | instskip(NEXT) | instid1(VALU_DEP_3)
	v_lshl_add_u32 v148, 0x200000, v11, -1
	v_lshrrev_b32_e32 v167, v11, v10
	v_lshlrev_b32_e64 v177, v11, 0x100000
	s_delay_alu instid0(VALU_DEP_4) | instskip(NEXT) | instid1(VALU_DEP_4)
	v_add_nc_u32_e32 v11, v11, v9
	v_and_b32_e32 v10, v148, v10
	s_delay_alu instid0(VALU_DEP_4) | instskip(NEXT) | instid1(VALU_DEP_2)
	v_bfe_u32 v176, v167, 21, 1
	v_cmp_eq_u32_e64 s14, v10, v177
	s_delay_alu instid0(VALU_DEP_2) | instskip(NEXT) | instid1(VALU_DEP_1)
	v_add_nc_u32_e32 v148, -1, v176
	v_cndmask_b32_e64 v10, 0, v148, s14
	v_lshrrev_b32_e32 v148, 23, v167
	s_mov_b32 s14, exec_lo
	s_delay_alu instid0(VALU_DEP_2) | instskip(NEXT) | instid1(VALU_DEP_2)
	v_add_nc_u32_e32 v10, v10, v167
	v_xor_b32_e32 v148, 1, v148
	s_delay_alu instid0(VALU_DEP_2) | instskip(NEXT) | instid1(VALU_DEP_1)
	v_and_b32_e32 v9, 0x1fffff, v10
	v_add_nc_u32_e32 v10, v9, v167
                                        ; implicit-def: $vgpr9
	s_delay_alu instid0(VALU_DEP_3)
	v_cmpx_ne_u32_e64 v11, v148
	s_xor_b32 s14, exec_lo, s14
; %bb.6365:                             ;   in Loop: Header=BB4_6169 Depth=3
	s_delay_alu instid0(VALU_DEP_2) | instskip(SKIP_2) | instid1(VALU_DEP_2)
	v_cmp_lt_u32_e32 vcc_lo, 0xffffff, v10
	v_sub_nc_u32_e32 v9, v11, v148
	v_cndmask_b32_e64 v11, 0, 1, vcc_lo
	v_add_co_ci_u32_e32 v9, vcc_lo, 0, v9, vcc_lo
	s_delay_alu instid0(VALU_DEP_2)
	v_lshrrev_b32_e32 v10, v11, v10
; %bb.6366:                             ;   in Loop: Header=BB4_6169 Depth=3
	s_and_not1_saveexec_b32 s14, s14
; %bb.6367:                             ;   in Loop: Header=BB4_6169 Depth=3
	s_delay_alu instid0(VALU_DEP_1)
	v_bfe_u32 v9, v10, 23, 1
; %bb.6368:                             ;   in Loop: Header=BB4_6169 Depth=3
	s_or_b32 exec_lo, exec_lo, s14
	v_lshrrev_b32_e32 v10, 21, v10
	s_delay_alu instid0(VALU_DEP_2) | instskip(SKIP_2) | instid1(VALU_DEP_2)
	v_cmp_gt_i32_e32 vcc_lo, 32, v9
	v_min_i32_e32 v11, 31, v9
	v_lshrrev_b32_e32 v8, 24, v8
	v_dual_cndmask_b32 v10, 3, v10 :: v_dual_lshlrev_b32 v11, 2, v11
	s_delay_alu instid0(VALU_DEP_2) | instskip(NEXT) | instid1(VALU_DEP_2)
	v_and_b32_e32 v8, 0x80, v8
	v_or_b32_e32 v9, v9, v10
	v_and_b32_e32 v148, 3, v10
	s_delay_alu instid0(VALU_DEP_2) | instskip(SKIP_1) | instid1(VALU_DEP_1)
	v_cmp_ne_u32_e32 vcc_lo, 0, v9
	v_and_b32_e32 v11, 0xfc, v11
	v_or3_b32 v8, v8, v11, v148
	s_delay_alu instid0(VALU_DEP_1) | instskip(NEXT) | instid1(VALU_DEP_1)
	v_lshlrev_b32_e32 v8, 8, v8
	v_cndmask_b32_e32 v148, 0, v8, vcc_lo
.LBB4_6369:                             ;   in Loop: Header=BB4_6169 Depth=3
	s_or_b32 exec_lo, exec_lo, s34
.LBB4_6370:                             ;   in Loop: Header=BB4_6169 Depth=3
	s_delay_alu instid0(SALU_CYCLE_1) | instskip(SKIP_4) | instid1(VALU_DEP_1)
	s_or_b32 exec_lo, exec_lo, s15
	global_load_b128 v[8:11], v[64:65], off slc dlc
	v_and_b32_e32 v176, 0xff, v135
	s_mov_b32 s14, 0
	s_mov_b32 s34, exec_lo
                                        ; implicit-def: $sgpr15
	v_cmpx_lt_i16_e64 0x7f, v176
	s_xor_b32 s34, exec_lo, s34
	s_cbranch_execnz .LBB4_6693
; %bb.6371:                             ;   in Loop: Header=BB4_6169 Depth=3
	s_or_saveexec_b32 s34, s34
	v_mov_b32_e32 v167, s15
	s_xor_b32 exec_lo, exec_lo, s34
	s_cbranch_execnz .LBB4_6696
.LBB4_6372:                             ;   in Loop: Header=BB4_6169 Depth=3
	s_or_b32 exec_lo, exec_lo, s34
	s_and_saveexec_b32 s15, s14
	s_cbranch_execz .LBB4_6374
.LBB4_6373:                             ;   in Loop: Header=BB4_6169 Depth=3
	v_bfe_u32 v178, v135, 2, 5
	s_delay_alu instid0(VALU_DEP_1) | instskip(SKIP_1) | instid1(VALU_DEP_1)
	v_cmp_eq_u32_e32 vcc_lo, 0, v178
	v_and_b32_e32 v167, 3, v135
	v_clz_i32_u32_e32 v176, v167
	s_delay_alu instid0(VALU_DEP_1) | instskip(NEXT) | instid1(VALU_DEP_1)
	v_min_u32_e32 v176, 32, v176
	v_subrev_nc_u32_e32 v177, 29, v176
	v_sub_nc_u32_e32 v176, 30, v176
	s_delay_alu instid0(VALU_DEP_1) | instskip(SKIP_1) | instid1(VALU_DEP_2)
	v_dual_cndmask_b32 v176, v178, v176 :: v_dual_lshlrev_b32 v177, v177, v135
	v_lshlrev_b32_e32 v135, 24, v135
	v_and_b32_e32 v177, 3, v177
	s_delay_alu instid0(VALU_DEP_3) | instskip(NEXT) | instid1(VALU_DEP_3)
	v_lshl_add_u32 v176, v176, 23, 0x37800000
	v_and_b32_e32 v135, 0x80000000, v135
	s_delay_alu instid0(VALU_DEP_3) | instskip(NEXT) | instid1(VALU_DEP_1)
	v_cndmask_b32_e32 v167, v167, v177, vcc_lo
	v_lshlrev_b32_e32 v167, 21, v167
	s_delay_alu instid0(VALU_DEP_1)
	v_or3_b32 v167, v135, v176, v167
.LBB4_6374:                             ;   in Loop: Header=BB4_6169 Depth=3
	s_or_b32 exec_lo, exec_lo, s15
	s_waitcnt vmcnt(0)
	v_and_b32_e32 v176, 0xff, v8
	s_mov_b32 s14, 0
	s_mov_b32 s34, exec_lo
                                        ; implicit-def: $sgpr15
	s_delay_alu instid0(VALU_DEP_1)
	v_cmpx_lt_i16_e64 0x7f, v176
	s_xor_b32 s34, exec_lo, s34
	s_cbranch_execnz .LBB4_6697
; %bb.6375:                             ;   in Loop: Header=BB4_6169 Depth=3
	s_or_saveexec_b32 s34, s34
	v_mov_b32_e32 v135, s15
	s_xor_b32 exec_lo, exec_lo, s34
	s_cbranch_execnz .LBB4_6700
.LBB4_6376:                             ;   in Loop: Header=BB4_6169 Depth=3
	s_or_b32 exec_lo, exec_lo, s34
	s_and_saveexec_b32 s15, s14
	s_cbranch_execz .LBB4_6378
.LBB4_6377:                             ;   in Loop: Header=BB4_6169 Depth=3
	v_and_b32_e32 v135, 3, v8
	v_bfe_u32 v178, v8, 2, 5
	v_lshlrev_b32_e32 v179, 24, v8
	s_delay_alu instid0(VALU_DEP_3) | instskip(NEXT) | instid1(VALU_DEP_3)
	v_clz_i32_u32_e32 v176, v135
	v_cmp_eq_u32_e32 vcc_lo, 0, v178
	s_delay_alu instid0(VALU_DEP_2) | instskip(NEXT) | instid1(VALU_DEP_1)
	v_min_u32_e32 v176, 32, v176
	v_subrev_nc_u32_e32 v177, 29, v176
	v_sub_nc_u32_e32 v176, 30, v176
	s_delay_alu instid0(VALU_DEP_2) | instskip(NEXT) | instid1(VALU_DEP_1)
	v_lshlrev_b32_e32 v177, v177, v8
	v_dual_cndmask_b32 v176, v178, v176 :: v_dual_and_b32 v177, 3, v177
	s_delay_alu instid0(VALU_DEP_1) | instskip(NEXT) | instid1(VALU_DEP_2)
	v_lshl_add_u32 v176, v176, 23, 0x37800000
	v_cndmask_b32_e32 v135, v135, v177, vcc_lo
	v_and_b32_e32 v177, 0x80000000, v179
	s_delay_alu instid0(VALU_DEP_2) | instskip(NEXT) | instid1(VALU_DEP_1)
	v_lshlrev_b32_e32 v135, 21, v135
	v_or3_b32 v135, v177, v176, v135
.LBB4_6378:                             ;   in Loop: Header=BB4_6169 Depth=3
	s_or_b32 exec_lo, exec_lo, s15
	s_delay_alu instid0(VALU_DEP_1) | instskip(NEXT) | instid1(VALU_DEP_1)
	v_add_f32_e32 v167, v167, v135
	v_and_b32_e32 v135, 0x7f800000, v167
	s_delay_alu instid0(VALU_DEP_1)
	v_cmp_ne_u32_e32 vcc_lo, 0x7f800000, v135
	v_mov_b32_e32 v135, 0x80
	s_and_saveexec_b32 s15, vcc_lo
	s_cbranch_execz .LBB4_6386
; %bb.6379:                             ;   in Loop: Header=BB4_6169 Depth=3
	v_mov_b32_e32 v135, 0
	s_mov_b32 s34, exec_lo
	v_cmpx_ne_u32_e32 0, v167
	s_cbranch_execz .LBB4_6385
; %bb.6380:                             ;   in Loop: Header=BB4_6169 Depth=3
	v_bfe_u32 v135, v167, 23, 8
	s_delay_alu instid0(VALU_DEP_1) | instskip(SKIP_1) | instid1(VALU_DEP_2)
	v_sub_nc_u32_e32 v177, 0x70, v135
	v_cmp_gt_u32_e32 vcc_lo, 0x71, v135
	v_dual_cndmask_b32 v177, 0, v177 :: v_dual_and_b32 v176, 0x7fffff, v167
	s_delay_alu instid0(VALU_DEP_1) | instskip(SKIP_2) | instid1(VALU_DEP_4)
	v_or_b32_e32 v178, 0x800000, v176
	v_cmp_eq_u32_e32 vcc_lo, 0, v135
	v_add_nc_u32_e32 v135, 0xffffff91, v135
	v_cndmask_b32_e64 v177, v177, 0x6f, vcc_lo
	s_delay_alu instid0(VALU_DEP_4) | instskip(NEXT) | instid1(VALU_DEP_3)
	v_cndmask_b32_e32 v176, v178, v176, vcc_lo
	v_cndmask_b32_e64 v135, v135, 0xffffff92, vcc_lo
	s_delay_alu instid0(VALU_DEP_3) | instskip(NEXT) | instid1(VALU_DEP_3)
	v_lshl_add_u32 v178, 0x200000, v177, -1
	v_lshrrev_b32_e32 v179, v177, v176
	v_lshlrev_b32_e64 v181, v177, 0x100000
	s_delay_alu instid0(VALU_DEP_4) | instskip(NEXT) | instid1(VALU_DEP_4)
	v_add_nc_u32_e32 v177, v177, v135
	v_and_b32_e32 v176, v178, v176
	s_delay_alu instid0(VALU_DEP_4) | instskip(NEXT) | instid1(VALU_DEP_2)
	v_bfe_u32 v180, v179, 21, 1
	v_cmp_eq_u32_e64 s14, v176, v181
	s_delay_alu instid0(VALU_DEP_2) | instskip(NEXT) | instid1(VALU_DEP_1)
	v_add_nc_u32_e32 v178, -1, v180
	v_cndmask_b32_e64 v176, 0, v178, s14
	v_lshrrev_b32_e32 v178, 23, v179
	s_mov_b32 s14, exec_lo
	s_delay_alu instid0(VALU_DEP_2) | instskip(NEXT) | instid1(VALU_DEP_2)
	v_add_nc_u32_e32 v176, v176, v179
	v_xor_b32_e32 v178, 1, v178
	s_delay_alu instid0(VALU_DEP_2) | instskip(NEXT) | instid1(VALU_DEP_1)
	v_and_b32_e32 v135, 0x1fffff, v176
	v_add_nc_u32_e32 v176, v135, v179
                                        ; implicit-def: $vgpr135
	s_delay_alu instid0(VALU_DEP_3)
	v_cmpx_ne_u32_e64 v177, v178
	s_xor_b32 s14, exec_lo, s14
; %bb.6381:                             ;   in Loop: Header=BB4_6169 Depth=3
	s_delay_alu instid0(VALU_DEP_2) | instskip(SKIP_2) | instid1(VALU_DEP_2)
	v_cmp_lt_u32_e32 vcc_lo, 0xffffff, v176
	v_sub_nc_u32_e32 v135, v177, v178
	v_cndmask_b32_e64 v177, 0, 1, vcc_lo
	v_add_co_ci_u32_e32 v135, vcc_lo, 0, v135, vcc_lo
	s_delay_alu instid0(VALU_DEP_2)
	v_lshrrev_b32_e32 v176, v177, v176
; %bb.6382:                             ;   in Loop: Header=BB4_6169 Depth=3
	s_and_not1_saveexec_b32 s14, s14
; %bb.6383:                             ;   in Loop: Header=BB4_6169 Depth=3
	s_delay_alu instid0(VALU_DEP_1)
	v_bfe_u32 v135, v176, 23, 1
; %bb.6384:                             ;   in Loop: Header=BB4_6169 Depth=3
	s_or_b32 exec_lo, exec_lo, s14
	v_lshrrev_b32_e32 v176, 21, v176
	s_delay_alu instid0(VALU_DEP_2) | instskip(SKIP_2) | instid1(VALU_DEP_2)
	v_cmp_gt_i32_e32 vcc_lo, 32, v135
	v_lshrrev_b32_e32 v167, 24, v167
	v_min_i32_e32 v177, 31, v135
	v_dual_cndmask_b32 v176, 3, v176 :: v_dual_and_b32 v167, 0x80, v167
	s_delay_alu instid0(VALU_DEP_2) | instskip(NEXT) | instid1(VALU_DEP_2)
	v_lshlrev_b32_e32 v177, 2, v177
	v_or_b32_e32 v135, v135, v176
	s_delay_alu instid0(VALU_DEP_1) | instskip(SKIP_1) | instid1(VALU_DEP_1)
	v_cmp_ne_u32_e32 vcc_lo, 0, v135
	v_and_b32_e32 v178, 3, v176
	v_or3_b32 v167, v177, v167, v178
	s_delay_alu instid0(VALU_DEP_1)
	v_cndmask_b32_e32 v135, 0, v167, vcc_lo
.LBB4_6385:                             ;   in Loop: Header=BB4_6169 Depth=3
	s_or_b32 exec_lo, exec_lo, s34
.LBB4_6386:                             ;   in Loop: Header=BB4_6169 Depth=3
	s_delay_alu instid0(SALU_CYCLE_1) | instskip(SKIP_3) | instid1(VALU_DEP_1)
	s_or_b32 exec_lo, exec_lo, s15
	v_and_b32_e32 v176, 0xff, v147
	s_mov_b32 s14, 0
	s_mov_b32 s34, exec_lo
                                        ; implicit-def: $sgpr15
	v_cmpx_lt_i16_e64 0x7f, v176
	s_xor_b32 s34, exec_lo, s34
	s_cbranch_execnz .LBB4_6701
; %bb.6387:                             ;   in Loop: Header=BB4_6169 Depth=3
	s_or_saveexec_b32 s34, s34
	v_mov_b32_e32 v167, s15
	s_xor_b32 exec_lo, exec_lo, s34
	s_cbranch_execnz .LBB4_6704
.LBB4_6388:                             ;   in Loop: Header=BB4_6169 Depth=3
	s_or_b32 exec_lo, exec_lo, s34
	s_and_saveexec_b32 s15, s14
	s_cbranch_execz .LBB4_6390
.LBB4_6389:                             ;   in Loop: Header=BB4_6169 Depth=3
	v_bfe_u32 v178, v147, 2, 5
	s_delay_alu instid0(VALU_DEP_1) | instskip(SKIP_1) | instid1(VALU_DEP_1)
	v_cmp_eq_u32_e32 vcc_lo, 0, v178
	v_and_b32_e32 v167, 3, v147
	v_clz_i32_u32_e32 v176, v167
	s_delay_alu instid0(VALU_DEP_1) | instskip(NEXT) | instid1(VALU_DEP_1)
	v_min_u32_e32 v176, 32, v176
	v_subrev_nc_u32_e32 v177, 29, v176
	v_sub_nc_u32_e32 v176, 30, v176
	s_delay_alu instid0(VALU_DEP_1) | instskip(SKIP_1) | instid1(VALU_DEP_2)
	v_dual_cndmask_b32 v176, v178, v176 :: v_dual_lshlrev_b32 v177, v177, v147
	v_lshlrev_b32_e32 v147, 24, v147
	v_and_b32_e32 v177, 3, v177
	s_delay_alu instid0(VALU_DEP_3) | instskip(NEXT) | instid1(VALU_DEP_3)
	v_lshl_add_u32 v176, v176, 23, 0x37800000
	v_and_b32_e32 v147, 0x80000000, v147
	s_delay_alu instid0(VALU_DEP_3) | instskip(NEXT) | instid1(VALU_DEP_1)
	v_cndmask_b32_e32 v167, v167, v177, vcc_lo
	v_lshlrev_b32_e32 v167, 21, v167
	s_delay_alu instid0(VALU_DEP_1)
	v_or3_b32 v167, v147, v176, v167
.LBB4_6390:                             ;   in Loop: Header=BB4_6169 Depth=3
	s_or_b32 exec_lo, exec_lo, s15
	v_lshrrev_b16 v147, 8, v8
	s_mov_b32 s14, 0
	s_mov_b32 s34, exec_lo
                                        ; implicit-def: $sgpr15
	s_delay_alu instid0(VALU_DEP_1)
	v_cmpx_lt_i16_e64 0x7f, v147
	s_xor_b32 s34, exec_lo, s34
	s_cbranch_execnz .LBB4_6705
; %bb.6391:                             ;   in Loop: Header=BB4_6169 Depth=3
	s_or_saveexec_b32 s34, s34
	v_mov_b32_e32 v176, s15
	s_xor_b32 exec_lo, exec_lo, s34
	s_cbranch_execnz .LBB4_6708
.LBB4_6392:                             ;   in Loop: Header=BB4_6169 Depth=3
	s_or_b32 exec_lo, exec_lo, s34
	s_and_saveexec_b32 s15, s14
	s_cbranch_execz .LBB4_6394
.LBB4_6393:                             ;   in Loop: Header=BB4_6169 Depth=3
	v_and_b32_e32 v176, 0xffff, v147
	v_lshlrev_b32_e32 v147, 24, v147
	s_delay_alu instid0(VALU_DEP_2) | instskip(NEXT) | instid1(VALU_DEP_2)
	v_and_b32_e32 v177, 3, v176
	v_and_b32_e32 v147, 0x80000000, v147
	s_delay_alu instid0(VALU_DEP_2) | instskip(NEXT) | instid1(VALU_DEP_1)
	v_clz_i32_u32_e32 v178, v177
	v_min_u32_e32 v178, 32, v178
	s_delay_alu instid0(VALU_DEP_1) | instskip(SKIP_1) | instid1(VALU_DEP_2)
	v_subrev_nc_u32_e32 v179, 29, v178
	v_sub_nc_u32_e32 v178, 30, v178
	v_lshlrev_b32_e32 v179, v179, v176
	v_bfe_u32 v176, v176, 2, 5
	s_delay_alu instid0(VALU_DEP_2) | instskip(NEXT) | instid1(VALU_DEP_2)
	v_and_b32_e32 v179, 3, v179
	v_cmp_eq_u32_e32 vcc_lo, 0, v176
	s_delay_alu instid0(VALU_DEP_2) | instskip(NEXT) | instid1(VALU_DEP_1)
	v_dual_cndmask_b32 v176, v176, v178 :: v_dual_cndmask_b32 v177, v177, v179
	v_lshl_add_u32 v176, v176, 23, 0x37800000
	s_delay_alu instid0(VALU_DEP_2) | instskip(NEXT) | instid1(VALU_DEP_1)
	v_lshlrev_b32_e32 v177, 21, v177
	v_or3_b32 v176, v147, v176, v177
.LBB4_6394:                             ;   in Loop: Header=BB4_6169 Depth=3
	s_or_b32 exec_lo, exec_lo, s15
	s_delay_alu instid0(VALU_DEP_1) | instskip(NEXT) | instid1(VALU_DEP_1)
	v_add_f32_e32 v167, v167, v176
	v_and_b32_e32 v147, 0x7f800000, v167
	s_delay_alu instid0(VALU_DEP_1)
	v_cmp_ne_u32_e32 vcc_lo, 0x7f800000, v147
	v_mov_b32_e32 v147, 0x80
	s_and_saveexec_b32 s15, vcc_lo
	s_cbranch_execz .LBB4_6402
; %bb.6395:                             ;   in Loop: Header=BB4_6169 Depth=3
	v_mov_b32_e32 v147, 0
	s_mov_b32 s34, exec_lo
	v_cmpx_ne_u32_e32 0, v167
	s_cbranch_execz .LBB4_6401
; %bb.6396:                             ;   in Loop: Header=BB4_6169 Depth=3
	v_bfe_u32 v147, v167, 23, 8
	s_delay_alu instid0(VALU_DEP_1) | instskip(SKIP_1) | instid1(VALU_DEP_2)
	v_sub_nc_u32_e32 v177, 0x70, v147
	v_cmp_gt_u32_e32 vcc_lo, 0x71, v147
	v_dual_cndmask_b32 v177, 0, v177 :: v_dual_and_b32 v176, 0x7fffff, v167
	s_delay_alu instid0(VALU_DEP_1) | instskip(SKIP_2) | instid1(VALU_DEP_4)
	v_or_b32_e32 v178, 0x800000, v176
	v_cmp_eq_u32_e32 vcc_lo, 0, v147
	v_add_nc_u32_e32 v147, 0xffffff91, v147
	v_cndmask_b32_e64 v177, v177, 0x6f, vcc_lo
	s_delay_alu instid0(VALU_DEP_4) | instskip(NEXT) | instid1(VALU_DEP_3)
	v_cndmask_b32_e32 v176, v178, v176, vcc_lo
	v_cndmask_b32_e64 v147, v147, 0xffffff92, vcc_lo
	s_delay_alu instid0(VALU_DEP_3) | instskip(NEXT) | instid1(VALU_DEP_3)
	v_lshl_add_u32 v178, 0x200000, v177, -1
	v_lshrrev_b32_e32 v179, v177, v176
	v_lshlrev_b32_e64 v181, v177, 0x100000
	s_delay_alu instid0(VALU_DEP_4) | instskip(NEXT) | instid1(VALU_DEP_4)
	v_add_nc_u32_e32 v177, v177, v147
	v_and_b32_e32 v176, v178, v176
	s_delay_alu instid0(VALU_DEP_4) | instskip(NEXT) | instid1(VALU_DEP_2)
	v_bfe_u32 v180, v179, 21, 1
	v_cmp_eq_u32_e64 s14, v176, v181
	s_delay_alu instid0(VALU_DEP_2) | instskip(NEXT) | instid1(VALU_DEP_1)
	v_add_nc_u32_e32 v178, -1, v180
	v_cndmask_b32_e64 v176, 0, v178, s14
	v_lshrrev_b32_e32 v178, 23, v179
	s_mov_b32 s14, exec_lo
	s_delay_alu instid0(VALU_DEP_2) | instskip(NEXT) | instid1(VALU_DEP_2)
	v_add_nc_u32_e32 v176, v176, v179
	v_xor_b32_e32 v178, 1, v178
	s_delay_alu instid0(VALU_DEP_2) | instskip(NEXT) | instid1(VALU_DEP_1)
	v_and_b32_e32 v147, 0x1fffff, v176
	v_add_nc_u32_e32 v176, v147, v179
                                        ; implicit-def: $vgpr147
	s_delay_alu instid0(VALU_DEP_3)
	v_cmpx_ne_u32_e64 v177, v178
	s_xor_b32 s14, exec_lo, s14
; %bb.6397:                             ;   in Loop: Header=BB4_6169 Depth=3
	s_delay_alu instid0(VALU_DEP_2) | instskip(SKIP_2) | instid1(VALU_DEP_2)
	v_cmp_lt_u32_e32 vcc_lo, 0xffffff, v176
	v_sub_nc_u32_e32 v147, v177, v178
	v_cndmask_b32_e64 v177, 0, 1, vcc_lo
	v_add_co_ci_u32_e32 v147, vcc_lo, 0, v147, vcc_lo
	s_delay_alu instid0(VALU_DEP_2)
	v_lshrrev_b32_e32 v176, v177, v176
; %bb.6398:                             ;   in Loop: Header=BB4_6169 Depth=3
	s_and_not1_saveexec_b32 s14, s14
; %bb.6399:                             ;   in Loop: Header=BB4_6169 Depth=3
	s_delay_alu instid0(VALU_DEP_1)
	v_bfe_u32 v147, v176, 23, 1
; %bb.6400:                             ;   in Loop: Header=BB4_6169 Depth=3
	s_or_b32 exec_lo, exec_lo, s14
	v_lshrrev_b32_e32 v176, 21, v176
	s_delay_alu instid0(VALU_DEP_2) | instskip(SKIP_2) | instid1(VALU_DEP_2)
	v_cmp_gt_i32_e32 vcc_lo, 32, v147
	v_lshrrev_b32_e32 v167, 24, v167
	v_min_i32_e32 v177, 31, v147
	v_dual_cndmask_b32 v176, 3, v176 :: v_dual_and_b32 v167, 0x80, v167
	s_delay_alu instid0(VALU_DEP_2) | instskip(NEXT) | instid1(VALU_DEP_2)
	v_lshlrev_b32_e32 v177, 2, v177
	v_or_b32_e32 v147, v147, v176
	s_delay_alu instid0(VALU_DEP_1) | instskip(SKIP_1) | instid1(VALU_DEP_1)
	v_cmp_ne_u32_e32 vcc_lo, 0, v147
	v_and_b32_e32 v178, 3, v176
	v_or3_b32 v167, v177, v167, v178
	s_delay_alu instid0(VALU_DEP_1)
	v_cndmask_b32_e32 v147, 0, v167, vcc_lo
.LBB4_6401:                             ;   in Loop: Header=BB4_6169 Depth=3
	s_or_b32 exec_lo, exec_lo, s34
.LBB4_6402:                             ;   in Loop: Header=BB4_6169 Depth=3
	s_delay_alu instid0(SALU_CYCLE_1) | instskip(SKIP_3) | instid1(VALU_DEP_1)
	s_or_b32 exec_lo, exec_lo, s15
	v_and_b32_e32 v176, 0xff, v161
	s_mov_b32 s14, 0
	s_mov_b32 s34, exec_lo
                                        ; implicit-def: $sgpr15
	v_cmpx_lt_i16_e64 0x7f, v176
	s_xor_b32 s34, exec_lo, s34
	s_cbranch_execnz .LBB4_6709
; %bb.6403:                             ;   in Loop: Header=BB4_6169 Depth=3
	s_or_saveexec_b32 s34, s34
	v_mov_b32_e32 v167, s15
	s_xor_b32 exec_lo, exec_lo, s34
	s_cbranch_execnz .LBB4_6712
.LBB4_6404:                             ;   in Loop: Header=BB4_6169 Depth=3
	s_or_b32 exec_lo, exec_lo, s34
	s_and_saveexec_b32 s15, s14
	s_cbranch_execz .LBB4_6406
.LBB4_6405:                             ;   in Loop: Header=BB4_6169 Depth=3
	v_bfe_u32 v178, v161, 2, 5
	s_delay_alu instid0(VALU_DEP_1) | instskip(SKIP_1) | instid1(VALU_DEP_1)
	v_cmp_eq_u32_e32 vcc_lo, 0, v178
	v_and_b32_e32 v167, 3, v161
	v_clz_i32_u32_e32 v176, v167
	s_delay_alu instid0(VALU_DEP_1) | instskip(NEXT) | instid1(VALU_DEP_1)
	v_min_u32_e32 v176, 32, v176
	v_subrev_nc_u32_e32 v177, 29, v176
	v_sub_nc_u32_e32 v176, 30, v176
	s_delay_alu instid0(VALU_DEP_1) | instskip(SKIP_1) | instid1(VALU_DEP_2)
	v_dual_cndmask_b32 v176, v178, v176 :: v_dual_lshlrev_b32 v177, v177, v161
	v_lshlrev_b32_e32 v161, 24, v161
	v_and_b32_e32 v177, 3, v177
	s_delay_alu instid0(VALU_DEP_3) | instskip(NEXT) | instid1(VALU_DEP_3)
	v_lshl_add_u32 v176, v176, 23, 0x37800000
	v_and_b32_e32 v161, 0x80000000, v161
	s_delay_alu instid0(VALU_DEP_3) | instskip(NEXT) | instid1(VALU_DEP_1)
	v_cndmask_b32_e32 v167, v167, v177, vcc_lo
	v_lshlrev_b32_e32 v167, 21, v167
	s_delay_alu instid0(VALU_DEP_1)
	v_or3_b32 v167, v161, v176, v167
.LBB4_6406:                             ;   in Loop: Header=BB4_6169 Depth=3
	s_or_b32 exec_lo, exec_lo, s15
	v_lshrrev_b32_e32 v161, 16, v8
	s_mov_b32 s14, 0
	s_mov_b32 s34, exec_lo
                                        ; implicit-def: $sgpr15
	s_delay_alu instid0(VALU_DEP_1) | instskip(NEXT) | instid1(VALU_DEP_1)
	v_and_b32_e32 v177, 0xff, v161
	v_cmpx_lt_i16_e64 0x7f, v177
	s_xor_b32 s34, exec_lo, s34
	s_cbranch_execnz .LBB4_6713
; %bb.6407:                             ;   in Loop: Header=BB4_6169 Depth=3
	s_or_saveexec_b32 s34, s34
	v_mov_b32_e32 v176, s15
	s_xor_b32 exec_lo, exec_lo, s34
	s_cbranch_execnz .LBB4_6716
.LBB4_6408:                             ;   in Loop: Header=BB4_6169 Depth=3
	s_or_b32 exec_lo, exec_lo, s34
	s_and_saveexec_b32 s15, s14
	s_cbranch_execz .LBB4_6410
.LBB4_6409:                             ;   in Loop: Header=BB4_6169 Depth=3
	v_bfe_u32 v176, v8, 16, 2
	v_lshlrev_b32_e32 v179, 8, v8
	s_delay_alu instid0(VALU_DEP_2) | instskip(NEXT) | instid1(VALU_DEP_1)
	v_clz_i32_u32_e32 v177, v176
	v_min_u32_e32 v177, 32, v177
	s_delay_alu instid0(VALU_DEP_1) | instskip(SKIP_1) | instid1(VALU_DEP_2)
	v_subrev_nc_u32_e32 v178, 29, v177
	v_sub_nc_u32_e32 v177, 30, v177
	v_lshlrev_b32_e32 v161, v178, v161
	v_bfe_u32 v178, v8, 18, 5
	s_delay_alu instid0(VALU_DEP_2) | instskip(NEXT) | instid1(VALU_DEP_2)
	v_and_b32_e32 v161, 3, v161
	v_cmp_eq_u32_e32 vcc_lo, 0, v178
	v_cndmask_b32_e32 v177, v178, v177, vcc_lo
	s_delay_alu instid0(VALU_DEP_3) | instskip(NEXT) | instid1(VALU_DEP_2)
	v_dual_cndmask_b32 v161, v176, v161 :: v_dual_and_b32 v176, 0x80000000, v179
	v_lshl_add_u32 v177, v177, 23, 0x37800000
	s_delay_alu instid0(VALU_DEP_2) | instskip(NEXT) | instid1(VALU_DEP_1)
	v_lshlrev_b32_e32 v161, 21, v161
	v_or3_b32 v176, v176, v177, v161
.LBB4_6410:                             ;   in Loop: Header=BB4_6169 Depth=3
	s_or_b32 exec_lo, exec_lo, s15
	s_delay_alu instid0(VALU_DEP_1) | instskip(NEXT) | instid1(VALU_DEP_1)
	v_add_f32_e32 v167, v167, v176
	v_and_b32_e32 v161, 0x7f800000, v167
	s_delay_alu instid0(VALU_DEP_1)
	v_cmp_ne_u32_e32 vcc_lo, 0x7f800000, v161
	v_mov_b32_e32 v161, 0x80
	s_and_saveexec_b32 s15, vcc_lo
	s_cbranch_execz .LBB4_6418
; %bb.6411:                             ;   in Loop: Header=BB4_6169 Depth=3
	v_mov_b32_e32 v161, 0
	s_mov_b32 s34, exec_lo
	v_cmpx_ne_u32_e32 0, v167
	s_cbranch_execz .LBB4_6417
; %bb.6412:                             ;   in Loop: Header=BB4_6169 Depth=3
	v_bfe_u32 v161, v167, 23, 8
	s_delay_alu instid0(VALU_DEP_1) | instskip(SKIP_1) | instid1(VALU_DEP_2)
	v_sub_nc_u32_e32 v177, 0x70, v161
	v_cmp_gt_u32_e32 vcc_lo, 0x71, v161
	v_dual_cndmask_b32 v177, 0, v177 :: v_dual_and_b32 v176, 0x7fffff, v167
	s_delay_alu instid0(VALU_DEP_1) | instskip(SKIP_2) | instid1(VALU_DEP_4)
	v_or_b32_e32 v178, 0x800000, v176
	v_cmp_eq_u32_e32 vcc_lo, 0, v161
	v_add_nc_u32_e32 v161, 0xffffff91, v161
	v_cndmask_b32_e64 v177, v177, 0x6f, vcc_lo
	s_delay_alu instid0(VALU_DEP_4) | instskip(NEXT) | instid1(VALU_DEP_3)
	v_cndmask_b32_e32 v176, v178, v176, vcc_lo
	v_cndmask_b32_e64 v161, v161, 0xffffff92, vcc_lo
	s_delay_alu instid0(VALU_DEP_3) | instskip(NEXT) | instid1(VALU_DEP_3)
	v_lshl_add_u32 v178, 0x200000, v177, -1
	v_lshrrev_b32_e32 v179, v177, v176
	v_lshlrev_b32_e64 v181, v177, 0x100000
	s_delay_alu instid0(VALU_DEP_4) | instskip(NEXT) | instid1(VALU_DEP_4)
	v_add_nc_u32_e32 v177, v177, v161
	v_and_b32_e32 v176, v178, v176
	s_delay_alu instid0(VALU_DEP_4) | instskip(NEXT) | instid1(VALU_DEP_2)
	v_bfe_u32 v180, v179, 21, 1
	v_cmp_eq_u32_e64 s14, v176, v181
	s_delay_alu instid0(VALU_DEP_2) | instskip(NEXT) | instid1(VALU_DEP_1)
	v_add_nc_u32_e32 v178, -1, v180
	v_cndmask_b32_e64 v176, 0, v178, s14
	v_lshrrev_b32_e32 v178, 23, v179
	s_mov_b32 s14, exec_lo
	s_delay_alu instid0(VALU_DEP_2) | instskip(NEXT) | instid1(VALU_DEP_2)
	v_add_nc_u32_e32 v176, v176, v179
	v_xor_b32_e32 v178, 1, v178
	s_delay_alu instid0(VALU_DEP_2) | instskip(NEXT) | instid1(VALU_DEP_1)
	v_and_b32_e32 v161, 0x1fffff, v176
	v_add_nc_u32_e32 v176, v161, v179
                                        ; implicit-def: $vgpr161
	s_delay_alu instid0(VALU_DEP_3)
	v_cmpx_ne_u32_e64 v177, v178
	s_xor_b32 s14, exec_lo, s14
; %bb.6413:                             ;   in Loop: Header=BB4_6169 Depth=3
	s_delay_alu instid0(VALU_DEP_2) | instskip(SKIP_2) | instid1(VALU_DEP_2)
	v_cmp_lt_u32_e32 vcc_lo, 0xffffff, v176
	v_sub_nc_u32_e32 v161, v177, v178
	v_cndmask_b32_e64 v177, 0, 1, vcc_lo
	v_add_co_ci_u32_e32 v161, vcc_lo, 0, v161, vcc_lo
	s_delay_alu instid0(VALU_DEP_2)
	v_lshrrev_b32_e32 v176, v177, v176
; %bb.6414:                             ;   in Loop: Header=BB4_6169 Depth=3
	s_and_not1_saveexec_b32 s14, s14
; %bb.6415:                             ;   in Loop: Header=BB4_6169 Depth=3
	s_delay_alu instid0(VALU_DEP_1)
	v_bfe_u32 v161, v176, 23, 1
; %bb.6416:                             ;   in Loop: Header=BB4_6169 Depth=3
	s_or_b32 exec_lo, exec_lo, s14
	v_lshrrev_b32_e32 v176, 21, v176
	s_delay_alu instid0(VALU_DEP_2) | instskip(SKIP_2) | instid1(VALU_DEP_2)
	v_cmp_gt_i32_e32 vcc_lo, 32, v161
	v_lshrrev_b32_e32 v167, 24, v167
	v_min_i32_e32 v177, 31, v161
	v_dual_cndmask_b32 v176, 3, v176 :: v_dual_and_b32 v167, 0x80, v167
	s_delay_alu instid0(VALU_DEP_2) | instskip(NEXT) | instid1(VALU_DEP_2)
	v_lshlrev_b32_e32 v177, 2, v177
	v_or_b32_e32 v161, v161, v176
	s_delay_alu instid0(VALU_DEP_1) | instskip(SKIP_1) | instid1(VALU_DEP_1)
	v_cmp_ne_u32_e32 vcc_lo, 0, v161
	v_and_b32_e32 v178, 3, v176
	v_or3_b32 v167, v177, v167, v178
	s_delay_alu instid0(VALU_DEP_1)
	v_cndmask_b32_e32 v161, 0, v167, vcc_lo
.LBB4_6417:                             ;   in Loop: Header=BB4_6169 Depth=3
	s_or_b32 exec_lo, exec_lo, s34
.LBB4_6418:                             ;   in Loop: Header=BB4_6169 Depth=3
	s_delay_alu instid0(SALU_CYCLE_1) | instskip(SKIP_3) | instid1(VALU_DEP_1)
	s_or_b32 exec_lo, exec_lo, s15
	v_and_b32_e32 v176, 0xff, v164
	s_mov_b32 s14, 0
	s_mov_b32 s34, exec_lo
                                        ; implicit-def: $sgpr15
	v_cmpx_lt_i16_e64 0x7f, v176
	s_xor_b32 s34, exec_lo, s34
	s_cbranch_execnz .LBB4_6717
; %bb.6419:                             ;   in Loop: Header=BB4_6169 Depth=3
	s_or_saveexec_b32 s34, s34
	v_mov_b32_e32 v167, s15
	s_xor_b32 exec_lo, exec_lo, s34
	s_cbranch_execnz .LBB4_6720
.LBB4_6420:                             ;   in Loop: Header=BB4_6169 Depth=3
	s_or_b32 exec_lo, exec_lo, s34
	s_and_saveexec_b32 s15, s14
	s_cbranch_execz .LBB4_6422
.LBB4_6421:                             ;   in Loop: Header=BB4_6169 Depth=3
	v_lshlrev_b32_e32 v164, 8, v164
	s_delay_alu instid0(VALU_DEP_1) | instskip(SKIP_1) | instid1(VALU_DEP_2)
	v_and_b32_e32 v167, 0xff00, v164
	v_bfe_u32 v164, v164, 10, 5
	v_bfe_u32 v177, v167, 8, 2
	s_delay_alu instid0(VALU_DEP_2) | instskip(NEXT) | instid1(VALU_DEP_2)
	v_cmp_eq_u32_e32 vcc_lo, 0, v164
	v_clz_i32_u32_e32 v178, v177
	s_delay_alu instid0(VALU_DEP_1) | instskip(NEXT) | instid1(VALU_DEP_1)
	v_min_u32_e32 v178, 32, v178
	v_subrev_nc_u32_e32 v179, 29, v178
	v_sub_nc_u32_e32 v178, 30, v178
	s_delay_alu instid0(VALU_DEP_2) | instskip(NEXT) | instid1(VALU_DEP_2)
	v_lshlrev_b32_e32 v176, v179, v176
	v_cndmask_b32_e32 v164, v164, v178, vcc_lo
	s_delay_alu instid0(VALU_DEP_2) | instskip(SKIP_1) | instid1(VALU_DEP_3)
	v_and_b32_e32 v176, 3, v176
	v_lshlrev_b32_e32 v167, 16, v167
	v_lshl_add_u32 v164, v164, 23, 0x37800000
	s_delay_alu instid0(VALU_DEP_2) | instskip(NEXT) | instid1(VALU_DEP_1)
	v_dual_cndmask_b32 v176, v177, v176 :: v_dual_and_b32 v167, 0x80000000, v167
	v_lshlrev_b32_e32 v176, 21, v176
	s_delay_alu instid0(VALU_DEP_1)
	v_or3_b32 v167, v167, v164, v176
.LBB4_6422:                             ;   in Loop: Header=BB4_6169 Depth=3
	s_or_b32 exec_lo, exec_lo, s15
	v_lshrrev_b32_e32 v164, 24, v8
	s_mov_b32 s14, 0
	s_mov_b32 s34, exec_lo
                                        ; implicit-def: $sgpr15
	s_delay_alu instid0(VALU_DEP_1)
	v_cmpx_lt_i16_e64 0x7f, v164
	s_xor_b32 s34, exec_lo, s34
	s_cbranch_execnz .LBB4_6721
; %bb.6423:                             ;   in Loop: Header=BB4_6169 Depth=3
	s_or_saveexec_b32 s34, s34
	v_mov_b32_e32 v176, s15
	s_xor_b32 exec_lo, exec_lo, s34
	s_cbranch_execnz .LBB4_6724
.LBB4_6424:                             ;   in Loop: Header=BB4_6169 Depth=3
	s_or_b32 exec_lo, exec_lo, s34
	s_and_saveexec_b32 s15, s14
	s_cbranch_execz .LBB4_6426
.LBB4_6425:                             ;   in Loop: Header=BB4_6169 Depth=3
	v_bfe_u32 v176, v8, 24, 2
	s_delay_alu instid0(VALU_DEP_1) | instskip(NEXT) | instid1(VALU_DEP_1)
	v_clz_i32_u32_e32 v177, v176
	v_min_u32_e32 v177, 32, v177
	s_delay_alu instid0(VALU_DEP_1) | instskip(SKIP_1) | instid1(VALU_DEP_2)
	v_subrev_nc_u32_e32 v178, 29, v177
	v_sub_nc_u32_e32 v177, 30, v177
	v_lshlrev_b32_e32 v164, v178, v164
	v_bfe_u32 v178, v8, 26, 5
	v_and_b32_e32 v8, 0x80000000, v8
	s_delay_alu instid0(VALU_DEP_2) | instskip(NEXT) | instid1(VALU_DEP_4)
	v_cmp_eq_u32_e32 vcc_lo, 0, v178
	v_dual_cndmask_b32 v177, v178, v177 :: v_dual_and_b32 v164, 3, v164
	s_delay_alu instid0(VALU_DEP_1) | instskip(NEXT) | instid1(VALU_DEP_2)
	v_cndmask_b32_e32 v164, v176, v164, vcc_lo
	v_lshl_add_u32 v176, v177, 23, 0x37800000
	s_delay_alu instid0(VALU_DEP_2) | instskip(NEXT) | instid1(VALU_DEP_1)
	v_lshlrev_b32_e32 v164, 21, v164
	v_or3_b32 v176, v8, v176, v164
.LBB4_6426:                             ;   in Loop: Header=BB4_6169 Depth=3
	s_or_b32 exec_lo, exec_lo, s15
	s_delay_alu instid0(VALU_DEP_1) | instskip(NEXT) | instid1(VALU_DEP_1)
	v_add_f32_e32 v164, v167, v176
	v_and_b32_e32 v8, 0x7f800000, v164
	s_delay_alu instid0(VALU_DEP_1)
	v_cmp_ne_u32_e32 vcc_lo, 0x7f800000, v8
	v_mov_b32_e32 v8, 0x80
	s_and_saveexec_b32 s15, vcc_lo
	s_cbranch_execz .LBB4_6434
; %bb.6427:                             ;   in Loop: Header=BB4_6169 Depth=3
	v_mov_b32_e32 v8, 0
	s_mov_b32 s34, exec_lo
	v_cmpx_ne_u32_e32 0, v164
	s_cbranch_execz .LBB4_6433
; %bb.6428:                             ;   in Loop: Header=BB4_6169 Depth=3
	v_bfe_u32 v8, v164, 23, 8
	v_and_b32_e32 v167, 0x7fffff, v164
	s_delay_alu instid0(VALU_DEP_2) | instskip(SKIP_1) | instid1(VALU_DEP_3)
	v_sub_nc_u32_e32 v176, 0x70, v8
	v_cmp_gt_u32_e32 vcc_lo, 0x71, v8
	v_or_b32_e32 v177, 0x800000, v167
	s_delay_alu instid0(VALU_DEP_3) | instskip(SKIP_1) | instid1(VALU_DEP_3)
	v_cndmask_b32_e32 v176, 0, v176, vcc_lo
	v_cmp_eq_u32_e32 vcc_lo, 0, v8
	v_dual_cndmask_b32 v167, v177, v167 :: v_dual_add_nc_u32 v8, 0xffffff91, v8
	s_delay_alu instid0(VALU_DEP_3) | instskip(NEXT) | instid1(VALU_DEP_2)
	v_cndmask_b32_e64 v176, v176, 0x6f, vcc_lo
	v_cndmask_b32_e64 v8, v8, 0xffffff92, vcc_lo
	s_delay_alu instid0(VALU_DEP_2) | instskip(SKIP_2) | instid1(VALU_DEP_4)
	v_lshrrev_b32_e32 v178, v176, v167
	v_lshl_add_u32 v177, 0x200000, v176, -1
	v_lshlrev_b32_e64 v180, v176, 0x100000
	v_add_nc_u32_e32 v176, v176, v8
	s_delay_alu instid0(VALU_DEP_4) | instskip(NEXT) | instid1(VALU_DEP_4)
	v_bfe_u32 v179, v178, 21, 1
	v_and_b32_e32 v167, v177, v167
	s_delay_alu instid0(VALU_DEP_2) | instskip(NEXT) | instid1(VALU_DEP_2)
	v_add_nc_u32_e32 v177, -1, v179
	v_cmp_eq_u32_e64 s14, v167, v180
	s_delay_alu instid0(VALU_DEP_1) | instskip(SKIP_2) | instid1(VALU_DEP_2)
	v_cndmask_b32_e64 v167, 0, v177, s14
	v_lshrrev_b32_e32 v177, 23, v178
	s_mov_b32 s14, exec_lo
	v_add_nc_u32_e32 v167, v167, v178
	s_delay_alu instid0(VALU_DEP_2) | instskip(NEXT) | instid1(VALU_DEP_2)
	v_xor_b32_e32 v177, 1, v177
	v_and_b32_e32 v8, 0x1fffff, v167
	s_delay_alu instid0(VALU_DEP_1) | instskip(NEXT) | instid1(VALU_DEP_3)
	v_add_nc_u32_e32 v167, v8, v178
                                        ; implicit-def: $vgpr8
	v_cmpx_ne_u32_e64 v176, v177
	s_xor_b32 s14, exec_lo, s14
; %bb.6429:                             ;   in Loop: Header=BB4_6169 Depth=3
	s_delay_alu instid0(VALU_DEP_2) | instskip(SKIP_2) | instid1(VALU_DEP_2)
	v_cmp_lt_u32_e32 vcc_lo, 0xffffff, v167
	v_sub_nc_u32_e32 v8, v176, v177
	v_cndmask_b32_e64 v176, 0, 1, vcc_lo
	v_add_co_ci_u32_e32 v8, vcc_lo, 0, v8, vcc_lo
	s_delay_alu instid0(VALU_DEP_2)
	v_lshrrev_b32_e32 v167, v176, v167
; %bb.6430:                             ;   in Loop: Header=BB4_6169 Depth=3
	s_and_not1_saveexec_b32 s14, s14
; %bb.6431:                             ;   in Loop: Header=BB4_6169 Depth=3
	s_delay_alu instid0(VALU_DEP_1)
	v_bfe_u32 v8, v167, 23, 1
; %bb.6432:                             ;   in Loop: Header=BB4_6169 Depth=3
	s_or_b32 exec_lo, exec_lo, s14
	v_lshrrev_b32_e32 v167, 21, v167
	s_delay_alu instid0(VALU_DEP_2) | instskip(SKIP_2) | instid1(VALU_DEP_2)
	v_cmp_gt_i32_e32 vcc_lo, 32, v8
	v_lshrrev_b32_e32 v164, 24, v164
	v_min_i32_e32 v176, 31, v8
	v_dual_cndmask_b32 v167, 3, v167 :: v_dual_and_b32 v164, 0x80, v164
	s_delay_alu instid0(VALU_DEP_2) | instskip(NEXT) | instid1(VALU_DEP_2)
	v_lshlrev_b32_e32 v176, 2, v176
	v_or_b32_e32 v8, v8, v167
	s_delay_alu instid0(VALU_DEP_1) | instskip(SKIP_1) | instid1(VALU_DEP_1)
	v_cmp_ne_u32_e32 vcc_lo, 0, v8
	v_and_b32_e32 v177, 3, v167
	v_or3_b32 v164, v176, v164, v177
	s_delay_alu instid0(VALU_DEP_1)
	v_cndmask_b32_e32 v8, 0, v164, vcc_lo
.LBB4_6433:                             ;   in Loop: Header=BB4_6169 Depth=3
	s_or_b32 exec_lo, exec_lo, s34
.LBB4_6434:                             ;   in Loop: Header=BB4_6169 Depth=3
	s_delay_alu instid0(SALU_CYCLE_1) | instskip(SKIP_3) | instid1(VALU_DEP_1)
	s_or_b32 exec_lo, exec_lo, s15
	v_or_b32_e32 v166, v166, v163
	s_mov_b32 s14, 0
	s_mov_b32 s34, exec_lo
                                        ; implicit-def: $sgpr15
	v_and_b32_e32 v164, 0xff, v166
	s_delay_alu instid0(VALU_DEP_1)
	v_cmpx_lt_i16_e64 0x7f, v164
	s_xor_b32 s34, exec_lo, s34
	s_cbranch_execnz .LBB4_6725
; %bb.6435:                             ;   in Loop: Header=BB4_6169 Depth=3
	s_or_saveexec_b32 s34, s34
	v_mov_b32_e32 v163, s15
	s_xor_b32 exec_lo, exec_lo, s34
	s_cbranch_execnz .LBB4_6728
.LBB4_6436:                             ;   in Loop: Header=BB4_6169 Depth=3
	s_or_b32 exec_lo, exec_lo, s34
	s_and_saveexec_b32 s15, s14
	s_cbranch_execz .LBB4_6438
.LBB4_6437:                             ;   in Loop: Header=BB4_6169 Depth=3
	v_bfe_u32 v176, v166, 2, 5
	v_lshlrev_b32_e32 v177, 24, v166
	s_delay_alu instid0(VALU_DEP_2) | instskip(SKIP_1) | instid1(VALU_DEP_1)
	v_cmp_eq_u32_e32 vcc_lo, 0, v176
	v_and_b32_e32 v163, 3, v166
	v_clz_i32_u32_e32 v164, v163
	s_delay_alu instid0(VALU_DEP_1) | instskip(NEXT) | instid1(VALU_DEP_1)
	v_min_u32_e32 v164, 32, v164
	v_subrev_nc_u32_e32 v167, 29, v164
	v_sub_nc_u32_e32 v164, 30, v164
	s_delay_alu instid0(VALU_DEP_1) | instskip(NEXT) | instid1(VALU_DEP_1)
	v_dual_cndmask_b32 v164, v176, v164 :: v_dual_lshlrev_b32 v167, v167, v166
	v_and_b32_e32 v167, 3, v167
	s_delay_alu instid0(VALU_DEP_2) | instskip(NEXT) | instid1(VALU_DEP_2)
	v_lshl_add_u32 v164, v164, 23, 0x37800000
	v_cndmask_b32_e32 v163, v163, v167, vcc_lo
	v_and_b32_e32 v167, 0x80000000, v177
	s_delay_alu instid0(VALU_DEP_2) | instskip(NEXT) | instid1(VALU_DEP_1)
	v_lshlrev_b32_e32 v163, 21, v163
	v_or3_b32 v163, v167, v164, v163
.LBB4_6438:                             ;   in Loop: Header=BB4_6169 Depth=3
	s_or_b32 exec_lo, exec_lo, s15
	v_and_b32_e32 v167, 0xff, v9
	s_mov_b32 s14, 0
	s_mov_b32 s34, exec_lo
                                        ; implicit-def: $sgpr15
	s_delay_alu instid0(VALU_DEP_1)
	v_cmpx_lt_i16_e64 0x7f, v167
	s_xor_b32 s34, exec_lo, s34
	s_cbranch_execnz .LBB4_6729
; %bb.6439:                             ;   in Loop: Header=BB4_6169 Depth=3
	s_or_saveexec_b32 s34, s34
	v_mov_b32_e32 v164, s15
	s_xor_b32 exec_lo, exec_lo, s34
	s_cbranch_execnz .LBB4_6732
.LBB4_6440:                             ;   in Loop: Header=BB4_6169 Depth=3
	s_or_b32 exec_lo, exec_lo, s34
	s_and_saveexec_b32 s15, s14
	s_cbranch_execz .LBB4_6442
.LBB4_6441:                             ;   in Loop: Header=BB4_6169 Depth=3
	v_bfe_u32 v177, v9, 2, 5
	v_lshlrev_b32_e32 v178, 24, v9
	s_delay_alu instid0(VALU_DEP_2) | instskip(SKIP_1) | instid1(VALU_DEP_1)
	v_cmp_eq_u32_e32 vcc_lo, 0, v177
	v_and_b32_e32 v164, 3, v9
	v_clz_i32_u32_e32 v167, v164
	s_delay_alu instid0(VALU_DEP_1) | instskip(NEXT) | instid1(VALU_DEP_1)
	v_min_u32_e32 v167, 32, v167
	v_subrev_nc_u32_e32 v176, 29, v167
	v_sub_nc_u32_e32 v167, 30, v167
	s_delay_alu instid0(VALU_DEP_1) | instskip(NEXT) | instid1(VALU_DEP_1)
	v_dual_cndmask_b32 v167, v177, v167 :: v_dual_lshlrev_b32 v176, v176, v9
	v_and_b32_e32 v176, 3, v176
	s_delay_alu instid0(VALU_DEP_2) | instskip(NEXT) | instid1(VALU_DEP_2)
	v_lshl_add_u32 v167, v167, 23, 0x37800000
	v_cndmask_b32_e32 v164, v164, v176, vcc_lo
	v_and_b32_e32 v176, 0x80000000, v178
	s_delay_alu instid0(VALU_DEP_2) | instskip(NEXT) | instid1(VALU_DEP_1)
	v_lshlrev_b32_e32 v164, 21, v164
	v_or3_b32 v164, v176, v167, v164
.LBB4_6442:                             ;   in Loop: Header=BB4_6169 Depth=3
	s_or_b32 exec_lo, exec_lo, s15
	s_delay_alu instid0(VALU_DEP_1) | instskip(NEXT) | instid1(VALU_DEP_1)
	v_add_f32_e32 v164, v163, v164
	v_and_b32_e32 v163, 0x7f800000, v164
	s_delay_alu instid0(VALU_DEP_1)
	v_cmp_ne_u32_e32 vcc_lo, 0x7f800000, v163
	v_mov_b32_e32 v163, 0x80
	s_and_saveexec_b32 s15, vcc_lo
	s_cbranch_execz .LBB4_6450
; %bb.6443:                             ;   in Loop: Header=BB4_6169 Depth=3
	v_mov_b32_e32 v163, 0
	s_mov_b32 s34, exec_lo
	v_cmpx_ne_u32_e32 0, v164
	s_cbranch_execz .LBB4_6449
; %bb.6444:                             ;   in Loop: Header=BB4_6169 Depth=3
	v_bfe_u32 v163, v164, 23, 8
	v_and_b32_e32 v167, 0x7fffff, v164
	s_delay_alu instid0(VALU_DEP_2) | instskip(SKIP_1) | instid1(VALU_DEP_3)
	v_sub_nc_u32_e32 v176, 0x70, v163
	v_cmp_gt_u32_e32 vcc_lo, 0x71, v163
	v_or_b32_e32 v177, 0x800000, v167
	s_delay_alu instid0(VALU_DEP_3) | instskip(SKIP_2) | instid1(VALU_DEP_4)
	v_cndmask_b32_e32 v176, 0, v176, vcc_lo
	v_cmp_eq_u32_e32 vcc_lo, 0, v163
	v_add_nc_u32_e32 v163, 0xffffff91, v163
	v_cndmask_b32_e32 v167, v177, v167, vcc_lo
	s_delay_alu instid0(VALU_DEP_4) | instskip(NEXT) | instid1(VALU_DEP_3)
	v_cndmask_b32_e64 v176, v176, 0x6f, vcc_lo
	v_cndmask_b32_e64 v163, v163, 0xffffff92, vcc_lo
	s_delay_alu instid0(VALU_DEP_2) | instskip(SKIP_2) | instid1(VALU_DEP_4)
	v_lshrrev_b32_e32 v178, v176, v167
	v_lshl_add_u32 v177, 0x200000, v176, -1
	v_lshlrev_b32_e64 v180, v176, 0x100000
	v_add_nc_u32_e32 v176, v176, v163
	s_delay_alu instid0(VALU_DEP_4) | instskip(NEXT) | instid1(VALU_DEP_4)
	v_bfe_u32 v179, v178, 21, 1
	v_and_b32_e32 v167, v177, v167
	s_delay_alu instid0(VALU_DEP_2) | instskip(NEXT) | instid1(VALU_DEP_2)
	v_add_nc_u32_e32 v177, -1, v179
	v_cmp_eq_u32_e64 s14, v167, v180
	s_delay_alu instid0(VALU_DEP_1) | instskip(SKIP_2) | instid1(VALU_DEP_2)
	v_cndmask_b32_e64 v167, 0, v177, s14
	v_lshrrev_b32_e32 v177, 23, v178
	s_mov_b32 s14, exec_lo
	v_add_nc_u32_e32 v167, v167, v178
	s_delay_alu instid0(VALU_DEP_2) | instskip(NEXT) | instid1(VALU_DEP_2)
	v_xor_b32_e32 v177, 1, v177
	v_and_b32_e32 v163, 0x1fffff, v167
	s_delay_alu instid0(VALU_DEP_1) | instskip(NEXT) | instid1(VALU_DEP_3)
	v_add_nc_u32_e32 v167, v163, v178
                                        ; implicit-def: $vgpr163
	v_cmpx_ne_u32_e64 v176, v177
	s_xor_b32 s14, exec_lo, s14
; %bb.6445:                             ;   in Loop: Header=BB4_6169 Depth=3
	s_delay_alu instid0(VALU_DEP_2) | instskip(SKIP_2) | instid1(VALU_DEP_2)
	v_cmp_lt_u32_e32 vcc_lo, 0xffffff, v167
	v_sub_nc_u32_e32 v163, v176, v177
	v_cndmask_b32_e64 v176, 0, 1, vcc_lo
	v_add_co_ci_u32_e32 v163, vcc_lo, 0, v163, vcc_lo
	s_delay_alu instid0(VALU_DEP_2)
	v_lshrrev_b32_e32 v167, v176, v167
; %bb.6446:                             ;   in Loop: Header=BB4_6169 Depth=3
	s_and_not1_saveexec_b32 s14, s14
; %bb.6447:                             ;   in Loop: Header=BB4_6169 Depth=3
	s_delay_alu instid0(VALU_DEP_1)
	v_bfe_u32 v163, v167, 23, 1
; %bb.6448:                             ;   in Loop: Header=BB4_6169 Depth=3
	s_or_b32 exec_lo, exec_lo, s14
	v_lshrrev_b32_e32 v167, 21, v167
	s_delay_alu instid0(VALU_DEP_2) | instskip(SKIP_2) | instid1(VALU_DEP_2)
	v_cmp_gt_i32_e32 vcc_lo, 32, v163
	v_lshrrev_b32_e32 v164, 24, v164
	v_min_i32_e32 v176, 31, v163
	v_dual_cndmask_b32 v167, 3, v167 :: v_dual_and_b32 v164, 0x80, v164
	s_delay_alu instid0(VALU_DEP_2) | instskip(NEXT) | instid1(VALU_DEP_2)
	v_lshlrev_b32_e32 v176, 2, v176
	v_and_b32_e32 v177, 3, v167
	v_or_b32_e32 v163, v163, v167
	s_delay_alu instid0(VALU_DEP_2) | instskip(NEXT) | instid1(VALU_DEP_2)
	v_or3_b32 v164, v176, v164, v177
	v_cmp_ne_u32_e32 vcc_lo, 0, v163
	s_delay_alu instid0(VALU_DEP_2)
	v_cndmask_b32_e32 v163, 0, v164, vcc_lo
.LBB4_6449:                             ;   in Loop: Header=BB4_6169 Depth=3
	s_or_b32 exec_lo, exec_lo, s34
.LBB4_6450:                             ;   in Loop: Header=BB4_6169 Depth=3
	s_delay_alu instid0(SALU_CYCLE_1) | instskip(SKIP_3) | instid1(VALU_DEP_1)
	s_or_b32 exec_lo, exec_lo, s15
	v_lshrrev_b16 v167, 8, v166
	s_mov_b32 s14, 0
	s_mov_b32 s34, exec_lo
                                        ; implicit-def: $sgpr15
	v_cmpx_lt_i16_e64 0x7f, v167
	s_xor_b32 s34, exec_lo, s34
	s_cbranch_execnz .LBB4_6733
; %bb.6451:                             ;   in Loop: Header=BB4_6169 Depth=3
	s_or_saveexec_b32 s34, s34
	v_mov_b32_e32 v164, s15
	s_xor_b32 exec_lo, exec_lo, s34
	s_cbranch_execnz .LBB4_6736
.LBB4_6452:                             ;   in Loop: Header=BB4_6169 Depth=3
	s_or_b32 exec_lo, exec_lo, s34
	s_and_saveexec_b32 s15, s14
	s_cbranch_execz .LBB4_6454
.LBB4_6453:                             ;   in Loop: Header=BB4_6169 Depth=3
	v_and_b32_e32 v164, 0xffff, v167
	s_delay_alu instid0(VALU_DEP_1) | instskip(NEXT) | instid1(VALU_DEP_1)
	v_and_b32_e32 v176, 3, v164
	v_clz_i32_u32_e32 v177, v176
	s_delay_alu instid0(VALU_DEP_1) | instskip(NEXT) | instid1(VALU_DEP_1)
	v_min_u32_e32 v177, 32, v177
	v_subrev_nc_u32_e32 v178, 29, v177
	v_sub_nc_u32_e32 v177, 30, v177
	s_delay_alu instid0(VALU_DEP_2) | instskip(SKIP_1) | instid1(VALU_DEP_2)
	v_lshlrev_b32_e32 v178, v178, v164
	v_bfe_u32 v164, v164, 2, 5
	v_and_b32_e32 v178, 3, v178
	s_delay_alu instid0(VALU_DEP_2) | instskip(SKIP_1) | instid1(VALU_DEP_1)
	v_cmp_eq_u32_e32 vcc_lo, 0, v164
	v_dual_cndmask_b32 v164, v164, v177 :: v_dual_lshlrev_b32 v167, 24, v167
	v_dual_cndmask_b32 v176, v176, v178 :: v_dual_and_b32 v167, 0x80000000, v167
	s_delay_alu instid0(VALU_DEP_2) | instskip(NEXT) | instid1(VALU_DEP_2)
	v_lshl_add_u32 v164, v164, 23, 0x37800000
	v_lshlrev_b32_e32 v176, 21, v176
	s_delay_alu instid0(VALU_DEP_1)
	v_or3_b32 v164, v167, v164, v176
.LBB4_6454:                             ;   in Loop: Header=BB4_6169 Depth=3
	s_or_b32 exec_lo, exec_lo, s15
	v_lshrrev_b16 v167, 8, v9
	s_mov_b32 s14, 0
	s_mov_b32 s34, exec_lo
                                        ; implicit-def: $sgpr15
	s_delay_alu instid0(VALU_DEP_1)
	v_cmpx_lt_i16_e64 0x7f, v167
	s_xor_b32 s34, exec_lo, s34
	s_cbranch_execnz .LBB4_6737
; %bb.6455:                             ;   in Loop: Header=BB4_6169 Depth=3
	s_or_saveexec_b32 s34, s34
	v_mov_b32_e32 v176, s15
	s_xor_b32 exec_lo, exec_lo, s34
	s_cbranch_execnz .LBB4_6740
.LBB4_6456:                             ;   in Loop: Header=BB4_6169 Depth=3
	s_or_b32 exec_lo, exec_lo, s34
	s_and_saveexec_b32 s15, s14
	s_cbranch_execz .LBB4_6458
.LBB4_6457:                             ;   in Loop: Header=BB4_6169 Depth=3
	v_and_b32_e32 v176, 0xffff, v167
	v_lshlrev_b32_e32 v167, 24, v167
	s_delay_alu instid0(VALU_DEP_2) | instskip(NEXT) | instid1(VALU_DEP_2)
	v_and_b32_e32 v177, 3, v176
	v_and_b32_e32 v167, 0x80000000, v167
	s_delay_alu instid0(VALU_DEP_2) | instskip(NEXT) | instid1(VALU_DEP_1)
	v_clz_i32_u32_e32 v178, v177
	v_min_u32_e32 v178, 32, v178
	s_delay_alu instid0(VALU_DEP_1) | instskip(SKIP_1) | instid1(VALU_DEP_2)
	v_subrev_nc_u32_e32 v179, 29, v178
	v_sub_nc_u32_e32 v178, 30, v178
	v_lshlrev_b32_e32 v179, v179, v176
	v_bfe_u32 v176, v176, 2, 5
	s_delay_alu instid0(VALU_DEP_2) | instskip(NEXT) | instid1(VALU_DEP_2)
	v_and_b32_e32 v179, 3, v179
	v_cmp_eq_u32_e32 vcc_lo, 0, v176
	s_delay_alu instid0(VALU_DEP_2) | instskip(NEXT) | instid1(VALU_DEP_1)
	v_dual_cndmask_b32 v176, v176, v178 :: v_dual_cndmask_b32 v177, v177, v179
	v_lshl_add_u32 v176, v176, 23, 0x37800000
	s_delay_alu instid0(VALU_DEP_2) | instskip(NEXT) | instid1(VALU_DEP_1)
	v_lshlrev_b32_e32 v177, 21, v177
	v_or3_b32 v176, v167, v176, v177
.LBB4_6458:                             ;   in Loop: Header=BB4_6169 Depth=3
	s_or_b32 exec_lo, exec_lo, s15
	s_delay_alu instid0(VALU_DEP_1) | instskip(NEXT) | instid1(VALU_DEP_1)
	v_add_f32_e32 v167, v164, v176
	v_and_b32_e32 v164, 0x7f800000, v167
	s_delay_alu instid0(VALU_DEP_1)
	v_cmp_ne_u32_e32 vcc_lo, 0x7f800000, v164
	v_mov_b32_e32 v164, 0x8000
	s_and_saveexec_b32 s15, vcc_lo
	s_cbranch_execz .LBB4_6466
; %bb.6459:                             ;   in Loop: Header=BB4_6169 Depth=3
	v_mov_b32_e32 v164, 0
	s_mov_b32 s34, exec_lo
	v_cmpx_ne_u32_e32 0, v167
	s_cbranch_execz .LBB4_6465
; %bb.6460:                             ;   in Loop: Header=BB4_6169 Depth=3
	v_bfe_u32 v164, v167, 23, 8
	s_delay_alu instid0(VALU_DEP_1) | instskip(SKIP_1) | instid1(VALU_DEP_2)
	v_sub_nc_u32_e32 v177, 0x70, v164
	v_cmp_gt_u32_e32 vcc_lo, 0x71, v164
	v_dual_cndmask_b32 v177, 0, v177 :: v_dual_and_b32 v176, 0x7fffff, v167
	s_delay_alu instid0(VALU_DEP_1) | instskip(SKIP_2) | instid1(VALU_DEP_4)
	v_or_b32_e32 v178, 0x800000, v176
	v_cmp_eq_u32_e32 vcc_lo, 0, v164
	v_add_nc_u32_e32 v164, 0xffffff91, v164
	v_cndmask_b32_e64 v177, v177, 0x6f, vcc_lo
	s_delay_alu instid0(VALU_DEP_4) | instskip(NEXT) | instid1(VALU_DEP_3)
	v_cndmask_b32_e32 v176, v178, v176, vcc_lo
	v_cndmask_b32_e64 v164, v164, 0xffffff92, vcc_lo
	s_delay_alu instid0(VALU_DEP_3) | instskip(NEXT) | instid1(VALU_DEP_3)
	v_lshl_add_u32 v178, 0x200000, v177, -1
	v_lshrrev_b32_e32 v179, v177, v176
	v_lshlrev_b32_e64 v181, v177, 0x100000
	s_delay_alu instid0(VALU_DEP_4) | instskip(NEXT) | instid1(VALU_DEP_4)
	v_add_nc_u32_e32 v177, v177, v164
	v_and_b32_e32 v176, v178, v176
	s_delay_alu instid0(VALU_DEP_4) | instskip(NEXT) | instid1(VALU_DEP_2)
	v_bfe_u32 v180, v179, 21, 1
	v_cmp_eq_u32_e64 s14, v176, v181
	s_delay_alu instid0(VALU_DEP_2) | instskip(NEXT) | instid1(VALU_DEP_1)
	v_add_nc_u32_e32 v178, -1, v180
	v_cndmask_b32_e64 v176, 0, v178, s14
	v_lshrrev_b32_e32 v178, 23, v179
	s_mov_b32 s14, exec_lo
	s_delay_alu instid0(VALU_DEP_2) | instskip(NEXT) | instid1(VALU_DEP_2)
	v_add_nc_u32_e32 v176, v176, v179
	v_xor_b32_e32 v178, 1, v178
	s_delay_alu instid0(VALU_DEP_2) | instskip(NEXT) | instid1(VALU_DEP_1)
	v_and_b32_e32 v164, 0x1fffff, v176
	v_add_nc_u32_e32 v176, v164, v179
                                        ; implicit-def: $vgpr164
	s_delay_alu instid0(VALU_DEP_3)
	v_cmpx_ne_u32_e64 v177, v178
	s_xor_b32 s14, exec_lo, s14
; %bb.6461:                             ;   in Loop: Header=BB4_6169 Depth=3
	s_delay_alu instid0(VALU_DEP_2) | instskip(SKIP_2) | instid1(VALU_DEP_2)
	v_cmp_lt_u32_e32 vcc_lo, 0xffffff, v176
	v_sub_nc_u32_e32 v164, v177, v178
	v_cndmask_b32_e64 v177, 0, 1, vcc_lo
	v_add_co_ci_u32_e32 v164, vcc_lo, 0, v164, vcc_lo
	s_delay_alu instid0(VALU_DEP_2)
	v_lshrrev_b32_e32 v176, v177, v176
; %bb.6462:                             ;   in Loop: Header=BB4_6169 Depth=3
	s_and_not1_saveexec_b32 s14, s14
; %bb.6463:                             ;   in Loop: Header=BB4_6169 Depth=3
	s_delay_alu instid0(VALU_DEP_1)
	v_bfe_u32 v164, v176, 23, 1
; %bb.6464:                             ;   in Loop: Header=BB4_6169 Depth=3
	s_or_b32 exec_lo, exec_lo, s14
	v_lshrrev_b32_e32 v176, 21, v176
	s_delay_alu instid0(VALU_DEP_2) | instskip(SKIP_2) | instid1(VALU_DEP_2)
	v_cmp_gt_i32_e32 vcc_lo, 32, v164
	v_min_i32_e32 v177, 31, v164
	v_lshrrev_b32_e32 v167, 24, v167
	v_dual_cndmask_b32 v176, 3, v176 :: v_dual_lshlrev_b32 v177, 2, v177
	s_delay_alu instid0(VALU_DEP_2) | instskip(NEXT) | instid1(VALU_DEP_2)
	v_and_b32_e32 v167, 0x80, v167
	v_or_b32_e32 v164, v164, v176
	v_and_b32_e32 v178, 3, v176
	s_delay_alu instid0(VALU_DEP_2) | instskip(SKIP_1) | instid1(VALU_DEP_1)
	v_cmp_ne_u32_e32 vcc_lo, 0, v164
	v_and_b32_e32 v177, 0xfc, v177
	v_or3_b32 v167, v167, v177, v178
	s_delay_alu instid0(VALU_DEP_1) | instskip(NEXT) | instid1(VALU_DEP_1)
	v_lshlrev_b32_e32 v167, 8, v167
	v_cndmask_b32_e32 v164, 0, v167, vcc_lo
.LBB4_6465:                             ;   in Loop: Header=BB4_6169 Depth=3
	s_or_b32 exec_lo, exec_lo, s34
.LBB4_6466:                             ;   in Loop: Header=BB4_6169 Depth=3
	s_delay_alu instid0(SALU_CYCLE_1) | instskip(SKIP_3) | instid1(VALU_DEP_1)
	s_or_b32 exec_lo, exec_lo, s15
	v_or_b32_e32 v165, v165, v162
	s_mov_b32 s14, 0
	s_mov_b32 s34, exec_lo
                                        ; implicit-def: $sgpr15
	v_and_b32_e32 v167, 0xff, v165
	s_delay_alu instid0(VALU_DEP_1)
	v_cmpx_lt_i16_e64 0x7f, v167
	s_xor_b32 s34, exec_lo, s34
	s_cbranch_execnz .LBB4_6741
; %bb.6467:                             ;   in Loop: Header=BB4_6169 Depth=3
	s_or_saveexec_b32 s34, s34
	v_mov_b32_e32 v162, s15
	s_xor_b32 exec_lo, exec_lo, s34
	s_cbranch_execnz .LBB4_6744
.LBB4_6468:                             ;   in Loop: Header=BB4_6169 Depth=3
	s_or_b32 exec_lo, exec_lo, s34
	v_lshl_or_b32 v165, v165, 16, v166
	s_and_saveexec_b32 s15, s14
	s_cbranch_execz .LBB4_6470
.LBB4_6469:                             ;   in Loop: Header=BB4_6169 Depth=3
	s_delay_alu instid0(VALU_DEP_1) | instskip(SKIP_1) | instid1(VALU_DEP_2)
	v_bfe_u32 v162, v165, 16, 2
	v_lshrrev_b32_e32 v167, 16, v165
	v_clz_i32_u32_e32 v166, v162
	s_delay_alu instid0(VALU_DEP_1) | instskip(NEXT) | instid1(VALU_DEP_1)
	v_min_u32_e32 v166, 32, v166
	v_subrev_nc_u32_e32 v176, 29, v166
	v_sub_nc_u32_e32 v166, 30, v166
	s_delay_alu instid0(VALU_DEP_2) | instskip(SKIP_1) | instid1(VALU_DEP_1)
	v_lshlrev_b32_e32 v167, v176, v167
	v_bfe_u32 v176, v165, 18, 5
	v_cmp_eq_u32_e32 vcc_lo, 0, v176
	s_delay_alu instid0(VALU_DEP_3) | instskip(NEXT) | instid1(VALU_DEP_1)
	v_dual_cndmask_b32 v166, v176, v166 :: v_dual_and_b32 v167, 3, v167
	v_dual_cndmask_b32 v162, v162, v167 :: v_dual_lshlrev_b32 v177, 8, v165
	s_delay_alu instid0(VALU_DEP_2) | instskip(NEXT) | instid1(VALU_DEP_2)
	v_lshl_add_u32 v166, v166, 23, 0x37800000
	v_and_b32_e32 v167, 0x80000000, v177
	s_delay_alu instid0(VALU_DEP_3) | instskip(NEXT) | instid1(VALU_DEP_1)
	v_lshlrev_b32_e32 v162, 21, v162
	v_or3_b32 v162, v167, v166, v162
.LBB4_6470:                             ;   in Loop: Header=BB4_6169 Depth=3
	s_or_b32 exec_lo, exec_lo, s15
	v_lshrrev_b32_e32 v166, 16, v9
	s_mov_b32 s14, 0
	s_mov_b32 s34, exec_lo
                                        ; implicit-def: $sgpr15
	s_delay_alu instid0(VALU_DEP_1) | instskip(NEXT) | instid1(VALU_DEP_1)
	v_and_b32_e32 v176, 0xff, v166
	v_cmpx_lt_i16_e64 0x7f, v176
	s_xor_b32 s34, exec_lo, s34
	s_cbranch_execnz .LBB4_6745
; %bb.6471:                             ;   in Loop: Header=BB4_6169 Depth=3
	s_or_saveexec_b32 s34, s34
	v_mov_b32_e32 v167, s15
	s_xor_b32 exec_lo, exec_lo, s34
	s_cbranch_execnz .LBB4_6748
.LBB4_6472:                             ;   in Loop: Header=BB4_6169 Depth=3
	s_or_b32 exec_lo, exec_lo, s34
	s_and_saveexec_b32 s15, s14
	s_cbranch_execz .LBB4_6474
.LBB4_6473:                             ;   in Loop: Header=BB4_6169 Depth=3
	v_bfe_u32 v167, v9, 16, 2
	v_lshlrev_b32_e32 v178, 8, v9
	s_delay_alu instid0(VALU_DEP_2) | instskip(NEXT) | instid1(VALU_DEP_1)
	v_clz_i32_u32_e32 v176, v167
	v_min_u32_e32 v176, 32, v176
	s_delay_alu instid0(VALU_DEP_1) | instskip(SKIP_1) | instid1(VALU_DEP_2)
	v_subrev_nc_u32_e32 v177, 29, v176
	v_sub_nc_u32_e32 v176, 30, v176
	v_lshlrev_b32_e32 v166, v177, v166
	v_bfe_u32 v177, v9, 18, 5
	s_delay_alu instid0(VALU_DEP_2) | instskip(NEXT) | instid1(VALU_DEP_2)
	v_and_b32_e32 v166, 3, v166
	v_cmp_eq_u32_e32 vcc_lo, 0, v177
	v_cndmask_b32_e32 v176, v177, v176, vcc_lo
	s_delay_alu instid0(VALU_DEP_3) | instskip(SKIP_1) | instid1(VALU_DEP_3)
	v_cndmask_b32_e32 v166, v167, v166, vcc_lo
	v_and_b32_e32 v167, 0x80000000, v178
	v_lshl_add_u32 v176, v176, 23, 0x37800000
	s_delay_alu instid0(VALU_DEP_3) | instskip(NEXT) | instid1(VALU_DEP_1)
	v_lshlrev_b32_e32 v166, 21, v166
	v_or3_b32 v167, v167, v176, v166
.LBB4_6474:                             ;   in Loop: Header=BB4_6169 Depth=3
	s_or_b32 exec_lo, exec_lo, s15
	s_delay_alu instid0(VALU_DEP_1) | instskip(NEXT) | instid1(VALU_DEP_1)
	v_add_f32_e32 v166, v162, v167
	v_and_b32_e32 v162, 0x7f800000, v166
	s_delay_alu instid0(VALU_DEP_1)
	v_cmp_ne_u32_e32 vcc_lo, 0x7f800000, v162
	v_mov_b32_e32 v162, 0x80
	s_and_saveexec_b32 s15, vcc_lo
	s_cbranch_execz .LBB4_6482
; %bb.6475:                             ;   in Loop: Header=BB4_6169 Depth=3
	v_mov_b32_e32 v162, 0
	s_mov_b32 s34, exec_lo
	v_cmpx_ne_u32_e32 0, v166
	s_cbranch_execz .LBB4_6481
; %bb.6476:                             ;   in Loop: Header=BB4_6169 Depth=3
	v_bfe_u32 v162, v166, 23, 8
	s_delay_alu instid0(VALU_DEP_1) | instskip(SKIP_1) | instid1(VALU_DEP_2)
	v_sub_nc_u32_e32 v176, 0x70, v162
	v_cmp_gt_u32_e32 vcc_lo, 0x71, v162
	v_dual_cndmask_b32 v176, 0, v176 :: v_dual_and_b32 v167, 0x7fffff, v166
	s_delay_alu instid0(VALU_DEP_1) | instskip(SKIP_2) | instid1(VALU_DEP_4)
	v_or_b32_e32 v177, 0x800000, v167
	v_cmp_eq_u32_e32 vcc_lo, 0, v162
	v_add_nc_u32_e32 v162, 0xffffff91, v162
	v_cndmask_b32_e64 v176, v176, 0x6f, vcc_lo
	s_delay_alu instid0(VALU_DEP_4) | instskip(NEXT) | instid1(VALU_DEP_3)
	v_cndmask_b32_e32 v167, v177, v167, vcc_lo
	v_cndmask_b32_e64 v162, v162, 0xffffff92, vcc_lo
	s_delay_alu instid0(VALU_DEP_3) | instskip(NEXT) | instid1(VALU_DEP_3)
	v_lshl_add_u32 v177, 0x200000, v176, -1
	v_lshrrev_b32_e32 v178, v176, v167
	v_lshlrev_b32_e64 v180, v176, 0x100000
	s_delay_alu instid0(VALU_DEP_4) | instskip(NEXT) | instid1(VALU_DEP_4)
	v_add_nc_u32_e32 v176, v176, v162
	v_and_b32_e32 v167, v177, v167
	s_delay_alu instid0(VALU_DEP_4) | instskip(NEXT) | instid1(VALU_DEP_2)
	v_bfe_u32 v179, v178, 21, 1
	v_cmp_eq_u32_e64 s14, v167, v180
	s_delay_alu instid0(VALU_DEP_2) | instskip(NEXT) | instid1(VALU_DEP_1)
	v_add_nc_u32_e32 v177, -1, v179
	v_cndmask_b32_e64 v167, 0, v177, s14
	v_lshrrev_b32_e32 v177, 23, v178
	s_mov_b32 s14, exec_lo
	s_delay_alu instid0(VALU_DEP_2) | instskip(NEXT) | instid1(VALU_DEP_2)
	v_add_nc_u32_e32 v167, v167, v178
	v_xor_b32_e32 v177, 1, v177
	s_delay_alu instid0(VALU_DEP_2) | instskip(NEXT) | instid1(VALU_DEP_1)
	v_and_b32_e32 v162, 0x1fffff, v167
	v_add_nc_u32_e32 v167, v162, v178
                                        ; implicit-def: $vgpr162
	s_delay_alu instid0(VALU_DEP_3)
	v_cmpx_ne_u32_e64 v176, v177
	s_xor_b32 s14, exec_lo, s14
; %bb.6477:                             ;   in Loop: Header=BB4_6169 Depth=3
	s_delay_alu instid0(VALU_DEP_2) | instskip(SKIP_2) | instid1(VALU_DEP_2)
	v_cmp_lt_u32_e32 vcc_lo, 0xffffff, v167
	v_sub_nc_u32_e32 v162, v176, v177
	v_cndmask_b32_e64 v176, 0, 1, vcc_lo
	v_add_co_ci_u32_e32 v162, vcc_lo, 0, v162, vcc_lo
	s_delay_alu instid0(VALU_DEP_2)
	v_lshrrev_b32_e32 v167, v176, v167
; %bb.6478:                             ;   in Loop: Header=BB4_6169 Depth=3
	s_and_not1_saveexec_b32 s14, s14
; %bb.6479:                             ;   in Loop: Header=BB4_6169 Depth=3
	s_delay_alu instid0(VALU_DEP_1)
	v_bfe_u32 v162, v167, 23, 1
; %bb.6480:                             ;   in Loop: Header=BB4_6169 Depth=3
	s_or_b32 exec_lo, exec_lo, s14
	v_lshrrev_b32_e32 v167, 21, v167
	s_delay_alu instid0(VALU_DEP_2) | instskip(SKIP_2) | instid1(VALU_DEP_2)
	v_cmp_gt_i32_e32 vcc_lo, 32, v162
	v_min_i32_e32 v176, 31, v162
	v_lshrrev_b32_e32 v166, 24, v166
	v_dual_cndmask_b32 v167, 3, v167 :: v_dual_lshlrev_b32 v176, 2, v176
	s_delay_alu instid0(VALU_DEP_2) | instskip(NEXT) | instid1(VALU_DEP_2)
	v_and_b32_e32 v166, 0x80, v166
	v_or_b32_e32 v162, v162, v167
	s_delay_alu instid0(VALU_DEP_3) | instskip(NEXT) | instid1(VALU_DEP_2)
	v_and_b32_e32 v176, 0xfc, v176
	v_cmp_ne_u32_e32 vcc_lo, 0, v162
	v_and_b32_e32 v177, 3, v167
	s_delay_alu instid0(VALU_DEP_1) | instskip(NEXT) | instid1(VALU_DEP_1)
	v_or3_b32 v166, v176, v166, v177
	v_cndmask_b32_e32 v162, 0, v166, vcc_lo
.LBB4_6481:                             ;   in Loop: Header=BB4_6169 Depth=3
	s_or_b32 exec_lo, exec_lo, s34
.LBB4_6482:                             ;   in Loop: Header=BB4_6169 Depth=3
	s_delay_alu instid0(SALU_CYCLE_1) | instskip(SKIP_3) | instid1(VALU_DEP_1)
	s_or_b32 exec_lo, exec_lo, s15
	v_lshrrev_b32_e32 v167, 24, v165
	s_mov_b32 s14, 0
	s_mov_b32 s34, exec_lo
                                        ; implicit-def: $sgpr15
	v_cmpx_lt_i16_e64 0x7f, v167
	s_xor_b32 s34, exec_lo, s34
	s_cbranch_execnz .LBB4_6749
; %bb.6483:                             ;   in Loop: Header=BB4_6169 Depth=3
	s_or_saveexec_b32 s34, s34
	v_mov_b32_e32 v166, s15
	s_xor_b32 exec_lo, exec_lo, s34
	s_cbranch_execnz .LBB4_6752
.LBB4_6484:                             ;   in Loop: Header=BB4_6169 Depth=3
	s_or_b32 exec_lo, exec_lo, s34
	s_and_saveexec_b32 s15, s14
	s_cbranch_execz .LBB4_6486
.LBB4_6485:                             ;   in Loop: Header=BB4_6169 Depth=3
	v_bfe_u32 v166, v165, 24, 2
	s_delay_alu instid0(VALU_DEP_1) | instskip(NEXT) | instid1(VALU_DEP_1)
	v_clz_i32_u32_e32 v176, v166
	v_min_u32_e32 v176, 32, v176
	s_delay_alu instid0(VALU_DEP_1) | instskip(SKIP_1) | instid1(VALU_DEP_2)
	v_subrev_nc_u32_e32 v177, 29, v176
	v_sub_nc_u32_e32 v176, 30, v176
	v_lshlrev_b32_e32 v167, v177, v167
	v_bfe_u32 v177, v165, 26, 5
	v_and_b32_e32 v165, 0x80000000, v165
	s_delay_alu instid0(VALU_DEP_2) | instskip(NEXT) | instid1(VALU_DEP_4)
	v_cmp_eq_u32_e32 vcc_lo, 0, v177
	v_dual_cndmask_b32 v176, v177, v176 :: v_dual_and_b32 v167, 3, v167
	s_delay_alu instid0(VALU_DEP_1) | instskip(NEXT) | instid1(VALU_DEP_2)
	v_cndmask_b32_e32 v166, v166, v167, vcc_lo
	v_lshl_add_u32 v167, v176, 23, 0x37800000
	s_delay_alu instid0(VALU_DEP_2) | instskip(NEXT) | instid1(VALU_DEP_1)
	v_lshlrev_b32_e32 v166, 21, v166
	v_or3_b32 v166, v165, v167, v166
.LBB4_6486:                             ;   in Loop: Header=BB4_6169 Depth=3
	s_or_b32 exec_lo, exec_lo, s15
	v_lshrrev_b32_e32 v165, 24, v9
	s_mov_b32 s14, 0
	s_mov_b32 s34, exec_lo
                                        ; implicit-def: $sgpr15
	s_delay_alu instid0(VALU_DEP_1)
	v_cmpx_lt_i16_e64 0x7f, v165
	s_xor_b32 s34, exec_lo, s34
	s_cbranch_execnz .LBB4_6753
; %bb.6487:                             ;   in Loop: Header=BB4_6169 Depth=3
	s_or_saveexec_b32 s34, s34
	v_mov_b32_e32 v167, s15
	s_xor_b32 exec_lo, exec_lo, s34
	s_cbranch_execnz .LBB4_6756
.LBB4_6488:                             ;   in Loop: Header=BB4_6169 Depth=3
	s_or_b32 exec_lo, exec_lo, s34
	s_and_saveexec_b32 s15, s14
	s_cbranch_execz .LBB4_6490
.LBB4_6489:                             ;   in Loop: Header=BB4_6169 Depth=3
	v_bfe_u32 v167, v9, 24, 2
	s_delay_alu instid0(VALU_DEP_1) | instskip(NEXT) | instid1(VALU_DEP_1)
	v_clz_i32_u32_e32 v176, v167
	v_min_u32_e32 v176, 32, v176
	s_delay_alu instid0(VALU_DEP_1) | instskip(SKIP_1) | instid1(VALU_DEP_2)
	v_subrev_nc_u32_e32 v177, 29, v176
	v_sub_nc_u32_e32 v176, 30, v176
	v_lshlrev_b32_e32 v165, v177, v165
	v_bfe_u32 v177, v9, 26, 5
	v_and_b32_e32 v9, 0x80000000, v9
	s_delay_alu instid0(VALU_DEP_2) | instskip(NEXT) | instid1(VALU_DEP_4)
	v_cmp_eq_u32_e32 vcc_lo, 0, v177
	v_dual_cndmask_b32 v176, v177, v176 :: v_dual_and_b32 v165, 3, v165
	s_delay_alu instid0(VALU_DEP_1) | instskip(NEXT) | instid1(VALU_DEP_2)
	v_cndmask_b32_e32 v165, v167, v165, vcc_lo
	v_lshl_add_u32 v167, v176, 23, 0x37800000
	s_delay_alu instid0(VALU_DEP_2) | instskip(NEXT) | instid1(VALU_DEP_1)
	v_lshlrev_b32_e32 v165, 21, v165
	v_or3_b32 v167, v9, v167, v165
.LBB4_6490:                             ;   in Loop: Header=BB4_6169 Depth=3
	s_or_b32 exec_lo, exec_lo, s15
	s_delay_alu instid0(VALU_DEP_1) | instskip(NEXT) | instid1(VALU_DEP_1)
	v_add_f32_e32 v165, v166, v167
	v_and_b32_e32 v9, 0x7f800000, v165
	s_delay_alu instid0(VALU_DEP_1)
	v_cmp_ne_u32_e32 vcc_lo, 0x7f800000, v9
	v_mov_b32_e32 v9, 0x8000
	s_and_saveexec_b32 s15, vcc_lo
	s_cbranch_execz .LBB4_6498
; %bb.6491:                             ;   in Loop: Header=BB4_6169 Depth=3
	v_mov_b32_e32 v9, 0
	s_mov_b32 s34, exec_lo
	v_cmpx_ne_u32_e32 0, v165
	s_cbranch_execz .LBB4_6497
; %bb.6492:                             ;   in Loop: Header=BB4_6169 Depth=3
	v_bfe_u32 v9, v165, 23, 8
	s_delay_alu instid0(VALU_DEP_1) | instskip(SKIP_1) | instid1(VALU_DEP_2)
	v_sub_nc_u32_e32 v167, 0x70, v9
	v_cmp_gt_u32_e32 vcc_lo, 0x71, v9
	v_dual_cndmask_b32 v167, 0, v167 :: v_dual_and_b32 v166, 0x7fffff, v165
	s_delay_alu instid0(VALU_DEP_1) | instskip(SKIP_2) | instid1(VALU_DEP_4)
	v_or_b32_e32 v176, 0x800000, v166
	v_cmp_eq_u32_e32 vcc_lo, 0, v9
	v_add_nc_u32_e32 v9, 0xffffff91, v9
	v_cndmask_b32_e64 v167, v167, 0x6f, vcc_lo
	s_delay_alu instid0(VALU_DEP_4) | instskip(NEXT) | instid1(VALU_DEP_3)
	v_cndmask_b32_e32 v166, v176, v166, vcc_lo
	v_cndmask_b32_e64 v9, v9, 0xffffff92, vcc_lo
	s_delay_alu instid0(VALU_DEP_3) | instskip(NEXT) | instid1(VALU_DEP_3)
	v_lshl_add_u32 v176, 0x200000, v167, -1
	v_lshrrev_b32_e32 v177, v167, v166
	v_lshlrev_b32_e64 v179, v167, 0x100000
	s_delay_alu instid0(VALU_DEP_4) | instskip(NEXT) | instid1(VALU_DEP_4)
	v_add_nc_u32_e32 v167, v167, v9
	v_and_b32_e32 v166, v176, v166
	s_delay_alu instid0(VALU_DEP_4) | instskip(NEXT) | instid1(VALU_DEP_2)
	v_bfe_u32 v178, v177, 21, 1
	v_cmp_eq_u32_e64 s14, v166, v179
	s_delay_alu instid0(VALU_DEP_2) | instskip(NEXT) | instid1(VALU_DEP_1)
	v_add_nc_u32_e32 v176, -1, v178
	v_cndmask_b32_e64 v166, 0, v176, s14
	v_lshrrev_b32_e32 v176, 23, v177
	s_mov_b32 s14, exec_lo
	s_delay_alu instid0(VALU_DEP_2) | instskip(NEXT) | instid1(VALU_DEP_2)
	v_add_nc_u32_e32 v166, v166, v177
	v_xor_b32_e32 v176, 1, v176
	s_delay_alu instid0(VALU_DEP_2) | instskip(NEXT) | instid1(VALU_DEP_1)
	v_and_b32_e32 v9, 0x1fffff, v166
	v_add_nc_u32_e32 v166, v9, v177
                                        ; implicit-def: $vgpr9
	s_delay_alu instid0(VALU_DEP_3)
	v_cmpx_ne_u32_e64 v167, v176
	s_xor_b32 s14, exec_lo, s14
; %bb.6493:                             ;   in Loop: Header=BB4_6169 Depth=3
	s_delay_alu instid0(VALU_DEP_2) | instskip(SKIP_2) | instid1(VALU_DEP_2)
	v_cmp_lt_u32_e32 vcc_lo, 0xffffff, v166
	v_sub_nc_u32_e32 v9, v167, v176
	v_cndmask_b32_e64 v167, 0, 1, vcc_lo
	v_add_co_ci_u32_e32 v9, vcc_lo, 0, v9, vcc_lo
	s_delay_alu instid0(VALU_DEP_2)
	v_lshrrev_b32_e32 v166, v167, v166
; %bb.6494:                             ;   in Loop: Header=BB4_6169 Depth=3
	s_and_not1_saveexec_b32 s14, s14
; %bb.6495:                             ;   in Loop: Header=BB4_6169 Depth=3
	s_delay_alu instid0(VALU_DEP_1)
	v_bfe_u32 v9, v166, 23, 1
; %bb.6496:                             ;   in Loop: Header=BB4_6169 Depth=3
	s_or_b32 exec_lo, exec_lo, s14
	v_lshrrev_b32_e32 v166, 21, v166
	s_delay_alu instid0(VALU_DEP_2) | instskip(SKIP_2) | instid1(VALU_DEP_2)
	v_cmp_gt_i32_e32 vcc_lo, 32, v9
	v_min_i32_e32 v167, 31, v9
	v_lshrrev_b32_e32 v165, 24, v165
	v_dual_cndmask_b32 v166, 3, v166 :: v_dual_lshlrev_b32 v167, 2, v167
	s_delay_alu instid0(VALU_DEP_2) | instskip(NEXT) | instid1(VALU_DEP_2)
	v_and_b32_e32 v165, 0x80, v165
	v_or_b32_e32 v9, v9, v166
	s_delay_alu instid0(VALU_DEP_3) | instskip(NEXT) | instid1(VALU_DEP_2)
	v_and_b32_e32 v167, 0xfc, v167
	v_cmp_ne_u32_e32 vcc_lo, 0, v9
	v_and_b32_e32 v176, 3, v166
	s_delay_alu instid0(VALU_DEP_1) | instskip(NEXT) | instid1(VALU_DEP_1)
	v_or3_b32 v165, v165, v167, v176
	v_lshlrev_b32_e32 v165, 8, v165
	s_delay_alu instid0(VALU_DEP_1)
	v_cndmask_b32_e32 v9, 0, v165, vcc_lo
.LBB4_6497:                             ;   in Loop: Header=BB4_6169 Depth=3
	s_or_b32 exec_lo, exec_lo, s34
.LBB4_6498:                             ;   in Loop: Header=BB4_6169 Depth=3
	s_delay_alu instid0(SALU_CYCLE_1) | instskip(SKIP_3) | instid1(VALU_DEP_1)
	s_or_b32 exec_lo, exec_lo, s15
	v_and_b32_e32 v166, 0xff, v160
	s_mov_b32 s14, 0
	s_mov_b32 s34, exec_lo
                                        ; implicit-def: $sgpr15
	v_cmpx_lt_i16_e64 0x7f, v166
	s_xor_b32 s34, exec_lo, s34
	s_cbranch_execnz .LBB4_6757
; %bb.6499:                             ;   in Loop: Header=BB4_6169 Depth=3
	s_or_saveexec_b32 s34, s34
	v_mov_b32_e32 v165, s15
	s_xor_b32 exec_lo, exec_lo, s34
	s_cbranch_execnz .LBB4_6760
.LBB4_6500:                             ;   in Loop: Header=BB4_6169 Depth=3
	s_or_b32 exec_lo, exec_lo, s34
	s_and_saveexec_b32 s15, s14
	s_cbranch_execz .LBB4_6502
.LBB4_6501:                             ;   in Loop: Header=BB4_6169 Depth=3
	v_bfe_u32 v176, v160, 2, 5
	s_delay_alu instid0(VALU_DEP_1) | instskip(SKIP_1) | instid1(VALU_DEP_1)
	v_cmp_eq_u32_e32 vcc_lo, 0, v176
	v_and_b32_e32 v165, 3, v160
	v_clz_i32_u32_e32 v166, v165
	s_delay_alu instid0(VALU_DEP_1) | instskip(NEXT) | instid1(VALU_DEP_1)
	v_min_u32_e32 v166, 32, v166
	v_subrev_nc_u32_e32 v167, 29, v166
	v_sub_nc_u32_e32 v166, 30, v166
	s_delay_alu instid0(VALU_DEP_1) | instskip(NEXT) | instid1(VALU_DEP_1)
	v_dual_cndmask_b32 v166, v176, v166 :: v_dual_lshlrev_b32 v167, v167, v160
	v_and_b32_e32 v167, 3, v167
	v_lshlrev_b32_e32 v160, 24, v160
	s_delay_alu instid0(VALU_DEP_3) | instskip(NEXT) | instid1(VALU_DEP_2)
	v_lshl_add_u32 v166, v166, 23, 0x37800000
	v_dual_cndmask_b32 v165, v165, v167 :: v_dual_and_b32 v160, 0x80000000, v160
	s_delay_alu instid0(VALU_DEP_1) | instskip(NEXT) | instid1(VALU_DEP_1)
	v_lshlrev_b32_e32 v165, 21, v165
	v_or3_b32 v165, v160, v166, v165
.LBB4_6502:                             ;   in Loop: Header=BB4_6169 Depth=3
	s_or_b32 exec_lo, exec_lo, s15
	v_and_b32_e32 v166, 0xff, v10
	s_mov_b32 s14, 0
	s_mov_b32 s34, exec_lo
                                        ; implicit-def: $sgpr15
	s_delay_alu instid0(VALU_DEP_1)
	v_cmpx_lt_i16_e64 0x7f, v166
	s_xor_b32 s34, exec_lo, s34
	s_cbranch_execnz .LBB4_6761
; %bb.6503:                             ;   in Loop: Header=BB4_6169 Depth=3
	s_or_saveexec_b32 s34, s34
	v_mov_b32_e32 v160, s15
	s_xor_b32 exec_lo, exec_lo, s34
	s_cbranch_execnz .LBB4_6764
.LBB4_6504:                             ;   in Loop: Header=BB4_6169 Depth=3
	s_or_b32 exec_lo, exec_lo, s34
	s_and_saveexec_b32 s15, s14
	s_cbranch_execz .LBB4_6506
.LBB4_6505:                             ;   in Loop: Header=BB4_6169 Depth=3
	v_and_b32_e32 v160, 3, v10
	v_bfe_u32 v176, v10, 2, 5
	s_delay_alu instid0(VALU_DEP_2) | instskip(NEXT) | instid1(VALU_DEP_2)
	v_clz_i32_u32_e32 v166, v160
	v_cmp_eq_u32_e32 vcc_lo, 0, v176
	s_delay_alu instid0(VALU_DEP_2) | instskip(NEXT) | instid1(VALU_DEP_1)
	v_min_u32_e32 v166, 32, v166
	v_subrev_nc_u32_e32 v167, 29, v166
	v_sub_nc_u32_e32 v166, 30, v166
	s_delay_alu instid0(VALU_DEP_2) | instskip(NEXT) | instid1(VALU_DEP_1)
	v_lshlrev_b32_e32 v167, v167, v10
	v_dual_cndmask_b32 v166, v176, v166 :: v_dual_and_b32 v167, 3, v167
	v_lshlrev_b32_e32 v177, 24, v10
	s_delay_alu instid0(VALU_DEP_2) | instskip(NEXT) | instid1(VALU_DEP_2)
	v_lshl_add_u32 v166, v166, 23, 0x37800000
	v_dual_cndmask_b32 v160, v160, v167 :: v_dual_and_b32 v167, 0x80000000, v177
	s_delay_alu instid0(VALU_DEP_1) | instskip(NEXT) | instid1(VALU_DEP_1)
	v_lshlrev_b32_e32 v160, 21, v160
	v_or3_b32 v160, v167, v166, v160
.LBB4_6506:                             ;   in Loop: Header=BB4_6169 Depth=3
	s_or_b32 exec_lo, exec_lo, s15
	s_delay_alu instid0(VALU_DEP_1) | instskip(NEXT) | instid1(VALU_DEP_1)
	v_add_f32_e32 v165, v165, v160
	v_and_b32_e32 v160, 0x7f800000, v165
	s_delay_alu instid0(VALU_DEP_1)
	v_cmp_ne_u32_e32 vcc_lo, 0x7f800000, v160
	v_mov_b32_e32 v160, 0x80
	s_and_saveexec_b32 s15, vcc_lo
	s_cbranch_execz .LBB4_6514
; %bb.6507:                             ;   in Loop: Header=BB4_6169 Depth=3
	v_mov_b32_e32 v160, 0
	s_mov_b32 s34, exec_lo
	v_cmpx_ne_u32_e32 0, v165
	s_cbranch_execz .LBB4_6513
; %bb.6508:                             ;   in Loop: Header=BB4_6169 Depth=3
	v_bfe_u32 v160, v165, 23, 8
	s_delay_alu instid0(VALU_DEP_1) | instskip(SKIP_1) | instid1(VALU_DEP_2)
	v_sub_nc_u32_e32 v167, 0x70, v160
	v_cmp_gt_u32_e32 vcc_lo, 0x71, v160
	v_dual_cndmask_b32 v167, 0, v167 :: v_dual_and_b32 v166, 0x7fffff, v165
	s_delay_alu instid0(VALU_DEP_1) | instskip(SKIP_2) | instid1(VALU_DEP_4)
	v_or_b32_e32 v176, 0x800000, v166
	v_cmp_eq_u32_e32 vcc_lo, 0, v160
	v_add_nc_u32_e32 v160, 0xffffff91, v160
	v_cndmask_b32_e64 v167, v167, 0x6f, vcc_lo
	s_delay_alu instid0(VALU_DEP_2) | instskip(SKIP_1) | instid1(VALU_DEP_3)
	v_cndmask_b32_e64 v160, v160, 0xffffff92, vcc_lo
	v_cndmask_b32_e32 v166, v176, v166, vcc_lo
	v_lshl_add_u32 v176, 0x200000, v167, -1
	v_lshlrev_b32_e64 v179, v167, 0x100000
	s_delay_alu instid0(VALU_DEP_3) | instskip(SKIP_1) | instid1(VALU_DEP_4)
	v_lshrrev_b32_e32 v177, v167, v166
	v_add_nc_u32_e32 v167, v167, v160
	v_and_b32_e32 v166, v176, v166
	s_delay_alu instid0(VALU_DEP_3) | instskip(NEXT) | instid1(VALU_DEP_2)
	v_bfe_u32 v178, v177, 21, 1
	v_cmp_eq_u32_e64 s14, v166, v179
	s_delay_alu instid0(VALU_DEP_2) | instskip(NEXT) | instid1(VALU_DEP_1)
	v_add_nc_u32_e32 v176, -1, v178
	v_cndmask_b32_e64 v166, 0, v176, s14
	v_lshrrev_b32_e32 v176, 23, v177
	s_mov_b32 s14, exec_lo
	s_delay_alu instid0(VALU_DEP_2) | instskip(NEXT) | instid1(VALU_DEP_2)
	v_add_nc_u32_e32 v166, v166, v177
	v_xor_b32_e32 v176, 1, v176
	s_delay_alu instid0(VALU_DEP_2) | instskip(NEXT) | instid1(VALU_DEP_1)
	v_and_b32_e32 v160, 0x1fffff, v166
	v_add_nc_u32_e32 v166, v160, v177
                                        ; implicit-def: $vgpr160
	s_delay_alu instid0(VALU_DEP_3)
	v_cmpx_ne_u32_e64 v167, v176
	s_xor_b32 s14, exec_lo, s14
; %bb.6509:                             ;   in Loop: Header=BB4_6169 Depth=3
	s_delay_alu instid0(VALU_DEP_2) | instskip(SKIP_2) | instid1(VALU_DEP_2)
	v_cmp_lt_u32_e32 vcc_lo, 0xffffff, v166
	v_sub_nc_u32_e32 v160, v167, v176
	v_cndmask_b32_e64 v167, 0, 1, vcc_lo
	v_add_co_ci_u32_e32 v160, vcc_lo, 0, v160, vcc_lo
	s_delay_alu instid0(VALU_DEP_2)
	v_lshrrev_b32_e32 v166, v167, v166
; %bb.6510:                             ;   in Loop: Header=BB4_6169 Depth=3
	s_and_not1_saveexec_b32 s14, s14
; %bb.6511:                             ;   in Loop: Header=BB4_6169 Depth=3
	s_delay_alu instid0(VALU_DEP_1)
	v_bfe_u32 v160, v166, 23, 1
; %bb.6512:                             ;   in Loop: Header=BB4_6169 Depth=3
	s_or_b32 exec_lo, exec_lo, s14
	v_lshrrev_b32_e32 v166, 21, v166
	s_delay_alu instid0(VALU_DEP_2) | instskip(SKIP_2) | instid1(VALU_DEP_2)
	v_cmp_gt_i32_e32 vcc_lo, 32, v160
	v_lshrrev_b32_e32 v165, 24, v165
	v_min_i32_e32 v167, 31, v160
	v_dual_cndmask_b32 v166, 3, v166 :: v_dual_and_b32 v165, 0x80, v165
	s_delay_alu instid0(VALU_DEP_1) | instskip(SKIP_1) | instid1(VALU_DEP_2)
	v_or_b32_e32 v160, v160, v166
	v_and_b32_e32 v176, 3, v166
	v_cmp_ne_u32_e32 vcc_lo, 0, v160
	v_lshlrev_b32_e32 v167, 2, v167
	s_delay_alu instid0(VALU_DEP_1) | instskip(NEXT) | instid1(VALU_DEP_1)
	v_or3_b32 v165, v167, v165, v176
	v_cndmask_b32_e32 v160, 0, v165, vcc_lo
.LBB4_6513:                             ;   in Loop: Header=BB4_6169 Depth=3
	s_or_b32 exec_lo, exec_lo, s34
.LBB4_6514:                             ;   in Loop: Header=BB4_6169 Depth=3
	s_delay_alu instid0(SALU_CYCLE_1) | instskip(SKIP_3) | instid1(VALU_DEP_1)
	s_or_b32 exec_lo, exec_lo, s15
	v_and_b32_e32 v166, 0xff, v150
	s_mov_b32 s14, 0
	s_mov_b32 s34, exec_lo
                                        ; implicit-def: $sgpr15
	v_cmpx_lt_i16_e64 0x7f, v166
	s_xor_b32 s34, exec_lo, s34
	s_cbranch_execnz .LBB4_6765
; %bb.6515:                             ;   in Loop: Header=BB4_6169 Depth=3
	s_or_saveexec_b32 s34, s34
	v_mov_b32_e32 v165, s15
	s_xor_b32 exec_lo, exec_lo, s34
	s_cbranch_execnz .LBB4_6768
.LBB4_6516:                             ;   in Loop: Header=BB4_6169 Depth=3
	s_or_b32 exec_lo, exec_lo, s34
	s_and_saveexec_b32 s15, s14
	s_cbranch_execz .LBB4_6518
.LBB4_6517:                             ;   in Loop: Header=BB4_6169 Depth=3
	v_and_b32_e32 v165, 3, v150
	v_bfe_u32 v176, v150, 2, 5
	s_delay_alu instid0(VALU_DEP_2) | instskip(NEXT) | instid1(VALU_DEP_2)
	v_clz_i32_u32_e32 v166, v165
	v_cmp_eq_u32_e32 vcc_lo, 0, v176
	s_delay_alu instid0(VALU_DEP_2) | instskip(NEXT) | instid1(VALU_DEP_1)
	v_min_u32_e32 v166, 32, v166
	v_subrev_nc_u32_e32 v167, 29, v166
	v_sub_nc_u32_e32 v166, 30, v166
	s_delay_alu instid0(VALU_DEP_2) | instskip(NEXT) | instid1(VALU_DEP_1)
	v_lshlrev_b32_e32 v167, v167, v150
	v_dual_cndmask_b32 v166, v176, v166 :: v_dual_and_b32 v167, 3, v167
	v_lshlrev_b32_e32 v150, 24, v150
	s_delay_alu instid0(VALU_DEP_2) | instskip(NEXT) | instid1(VALU_DEP_2)
	v_lshl_add_u32 v166, v166, 23, 0x37800000
	v_dual_cndmask_b32 v165, v165, v167 :: v_dual_and_b32 v150, 0x80000000, v150
	s_delay_alu instid0(VALU_DEP_1) | instskip(NEXT) | instid1(VALU_DEP_1)
	v_lshlrev_b32_e32 v165, 21, v165
	v_or3_b32 v165, v150, v166, v165
.LBB4_6518:                             ;   in Loop: Header=BB4_6169 Depth=3
	s_or_b32 exec_lo, exec_lo, s15
	v_lshrrev_b16 v150, 8, v10
	s_mov_b32 s14, 0
	s_mov_b32 s34, exec_lo
                                        ; implicit-def: $sgpr15
	s_delay_alu instid0(VALU_DEP_1)
	v_cmpx_lt_i16_e64 0x7f, v150
	s_xor_b32 s34, exec_lo, s34
	s_cbranch_execnz .LBB4_6769
; %bb.6519:                             ;   in Loop: Header=BB4_6169 Depth=3
	s_or_saveexec_b32 s34, s34
	v_mov_b32_e32 v166, s15
	s_xor_b32 exec_lo, exec_lo, s34
	s_cbranch_execnz .LBB4_6772
.LBB4_6520:                             ;   in Loop: Header=BB4_6169 Depth=3
	s_or_b32 exec_lo, exec_lo, s34
	s_and_saveexec_b32 s15, s14
	s_cbranch_execz .LBB4_6522
.LBB4_6521:                             ;   in Loop: Header=BB4_6169 Depth=3
	v_and_b32_e32 v166, 0xffff, v150
	v_lshlrev_b32_e32 v150, 24, v150
	s_delay_alu instid0(VALU_DEP_2) | instskip(NEXT) | instid1(VALU_DEP_2)
	v_and_b32_e32 v167, 3, v166
	v_and_b32_e32 v150, 0x80000000, v150
	s_delay_alu instid0(VALU_DEP_2) | instskip(NEXT) | instid1(VALU_DEP_1)
	v_clz_i32_u32_e32 v176, v167
	v_min_u32_e32 v176, 32, v176
	s_delay_alu instid0(VALU_DEP_1) | instskip(SKIP_1) | instid1(VALU_DEP_2)
	v_subrev_nc_u32_e32 v177, 29, v176
	v_sub_nc_u32_e32 v176, 30, v176
	v_lshlrev_b32_e32 v177, v177, v166
	v_bfe_u32 v166, v166, 2, 5
	s_delay_alu instid0(VALU_DEP_2) | instskip(NEXT) | instid1(VALU_DEP_2)
	v_and_b32_e32 v177, 3, v177
	v_cmp_eq_u32_e32 vcc_lo, 0, v166
	s_delay_alu instid0(VALU_DEP_2) | instskip(NEXT) | instid1(VALU_DEP_1)
	v_dual_cndmask_b32 v166, v166, v176 :: v_dual_cndmask_b32 v167, v167, v177
	v_lshl_add_u32 v166, v166, 23, 0x37800000
	s_delay_alu instid0(VALU_DEP_2) | instskip(NEXT) | instid1(VALU_DEP_1)
	v_lshlrev_b32_e32 v167, 21, v167
	v_or3_b32 v166, v150, v166, v167
.LBB4_6522:                             ;   in Loop: Header=BB4_6169 Depth=3
	s_or_b32 exec_lo, exec_lo, s15
	s_delay_alu instid0(VALU_DEP_1) | instskip(NEXT) | instid1(VALU_DEP_1)
	v_add_f32_e32 v165, v165, v166
	v_and_b32_e32 v150, 0x7f800000, v165
	s_delay_alu instid0(VALU_DEP_1)
	v_cmp_ne_u32_e32 vcc_lo, 0x7f800000, v150
	v_mov_b32_e32 v150, 0x80
	s_and_saveexec_b32 s15, vcc_lo
	s_cbranch_execz .LBB4_6530
; %bb.6523:                             ;   in Loop: Header=BB4_6169 Depth=3
	v_mov_b32_e32 v150, 0
	s_mov_b32 s34, exec_lo
	v_cmpx_ne_u32_e32 0, v165
	s_cbranch_execz .LBB4_6529
; %bb.6524:                             ;   in Loop: Header=BB4_6169 Depth=3
	v_bfe_u32 v150, v165, 23, 8
	s_delay_alu instid0(VALU_DEP_1) | instskip(SKIP_1) | instid1(VALU_DEP_2)
	v_sub_nc_u32_e32 v167, 0x70, v150
	v_cmp_gt_u32_e32 vcc_lo, 0x71, v150
	v_dual_cndmask_b32 v167, 0, v167 :: v_dual_and_b32 v166, 0x7fffff, v165
	s_delay_alu instid0(VALU_DEP_1) | instskip(SKIP_2) | instid1(VALU_DEP_4)
	v_or_b32_e32 v176, 0x800000, v166
	v_cmp_eq_u32_e32 vcc_lo, 0, v150
	v_add_nc_u32_e32 v150, 0xffffff91, v150
	v_cndmask_b32_e64 v167, v167, 0x6f, vcc_lo
	s_delay_alu instid0(VALU_DEP_4) | instskip(NEXT) | instid1(VALU_DEP_3)
	v_cndmask_b32_e32 v166, v176, v166, vcc_lo
	v_cndmask_b32_e64 v150, v150, 0xffffff92, vcc_lo
	s_delay_alu instid0(VALU_DEP_3) | instskip(NEXT) | instid1(VALU_DEP_3)
	v_lshl_add_u32 v176, 0x200000, v167, -1
	v_lshrrev_b32_e32 v177, v167, v166
	v_lshlrev_b32_e64 v179, v167, 0x100000
	s_delay_alu instid0(VALU_DEP_4) | instskip(NEXT) | instid1(VALU_DEP_4)
	v_add_nc_u32_e32 v167, v167, v150
	v_and_b32_e32 v166, v176, v166
	s_delay_alu instid0(VALU_DEP_4) | instskip(NEXT) | instid1(VALU_DEP_2)
	v_bfe_u32 v178, v177, 21, 1
	v_cmp_eq_u32_e64 s14, v166, v179
	s_delay_alu instid0(VALU_DEP_2) | instskip(NEXT) | instid1(VALU_DEP_1)
	v_add_nc_u32_e32 v176, -1, v178
	v_cndmask_b32_e64 v166, 0, v176, s14
	v_lshrrev_b32_e32 v176, 23, v177
	s_mov_b32 s14, exec_lo
	s_delay_alu instid0(VALU_DEP_2) | instskip(NEXT) | instid1(VALU_DEP_2)
	v_add_nc_u32_e32 v166, v166, v177
	v_xor_b32_e32 v176, 1, v176
	s_delay_alu instid0(VALU_DEP_2) | instskip(NEXT) | instid1(VALU_DEP_1)
	v_and_b32_e32 v150, 0x1fffff, v166
	v_add_nc_u32_e32 v166, v150, v177
                                        ; implicit-def: $vgpr150
	s_delay_alu instid0(VALU_DEP_3)
	v_cmpx_ne_u32_e64 v167, v176
	s_xor_b32 s14, exec_lo, s14
; %bb.6525:                             ;   in Loop: Header=BB4_6169 Depth=3
	s_delay_alu instid0(VALU_DEP_2) | instskip(SKIP_2) | instid1(VALU_DEP_2)
	v_cmp_lt_u32_e32 vcc_lo, 0xffffff, v166
	v_sub_nc_u32_e32 v150, v167, v176
	v_cndmask_b32_e64 v167, 0, 1, vcc_lo
	v_add_co_ci_u32_e32 v150, vcc_lo, 0, v150, vcc_lo
	s_delay_alu instid0(VALU_DEP_2)
	v_lshrrev_b32_e32 v166, v167, v166
; %bb.6526:                             ;   in Loop: Header=BB4_6169 Depth=3
	s_and_not1_saveexec_b32 s14, s14
; %bb.6527:                             ;   in Loop: Header=BB4_6169 Depth=3
	s_delay_alu instid0(VALU_DEP_1)
	v_bfe_u32 v150, v166, 23, 1
; %bb.6528:                             ;   in Loop: Header=BB4_6169 Depth=3
	s_or_b32 exec_lo, exec_lo, s14
	v_lshrrev_b32_e32 v166, 21, v166
	s_delay_alu instid0(VALU_DEP_2) | instskip(SKIP_2) | instid1(VALU_DEP_2)
	v_cmp_gt_i32_e32 vcc_lo, 32, v150
	v_lshrrev_b32_e32 v165, 24, v165
	v_min_i32_e32 v167, 31, v150
	v_dual_cndmask_b32 v166, 3, v166 :: v_dual_and_b32 v165, 0x80, v165
	s_delay_alu instid0(VALU_DEP_1) | instskip(SKIP_1) | instid1(VALU_DEP_2)
	v_or_b32_e32 v150, v150, v166
	v_and_b32_e32 v176, 3, v166
	v_cmp_ne_u32_e32 vcc_lo, 0, v150
	v_lshlrev_b32_e32 v167, 2, v167
	s_delay_alu instid0(VALU_DEP_1) | instskip(NEXT) | instid1(VALU_DEP_1)
	v_or3_b32 v165, v167, v165, v176
	v_cndmask_b32_e32 v150, 0, v165, vcc_lo
.LBB4_6529:                             ;   in Loop: Header=BB4_6169 Depth=3
	s_or_b32 exec_lo, exec_lo, s34
.LBB4_6530:                             ;   in Loop: Header=BB4_6169 Depth=3
	s_delay_alu instid0(SALU_CYCLE_1) | instskip(SKIP_3) | instid1(VALU_DEP_1)
	s_or_b32 exec_lo, exec_lo, s15
	v_and_b32_e32 v166, 0xff, v149
	s_mov_b32 s14, 0
	s_mov_b32 s34, exec_lo
                                        ; implicit-def: $sgpr15
	v_cmpx_lt_i16_e64 0x7f, v166
	s_xor_b32 s34, exec_lo, s34
	s_cbranch_execnz .LBB4_6773
; %bb.6531:                             ;   in Loop: Header=BB4_6169 Depth=3
	s_or_saveexec_b32 s34, s34
	v_mov_b32_e32 v165, s15
	s_xor_b32 exec_lo, exec_lo, s34
	s_cbranch_execnz .LBB4_6776
.LBB4_6532:                             ;   in Loop: Header=BB4_6169 Depth=3
	s_or_b32 exec_lo, exec_lo, s34
	s_and_saveexec_b32 s15, s14
	s_cbranch_execz .LBB4_6534
.LBB4_6533:                             ;   in Loop: Header=BB4_6169 Depth=3
	v_bfe_u32 v176, v149, 2, 5
	s_delay_alu instid0(VALU_DEP_1) | instskip(SKIP_1) | instid1(VALU_DEP_1)
	v_cmp_eq_u32_e32 vcc_lo, 0, v176
	v_and_b32_e32 v165, 3, v149
	v_clz_i32_u32_e32 v166, v165
	s_delay_alu instid0(VALU_DEP_1) | instskip(NEXT) | instid1(VALU_DEP_1)
	v_min_u32_e32 v166, 32, v166
	v_subrev_nc_u32_e32 v167, 29, v166
	v_sub_nc_u32_e32 v166, 30, v166
	s_delay_alu instid0(VALU_DEP_1) | instskip(SKIP_1) | instid1(VALU_DEP_2)
	v_dual_cndmask_b32 v166, v176, v166 :: v_dual_lshlrev_b32 v167, v167, v149
	v_lshlrev_b32_e32 v149, 24, v149
	v_and_b32_e32 v167, 3, v167
	s_delay_alu instid0(VALU_DEP_3) | instskip(NEXT) | instid1(VALU_DEP_3)
	v_lshl_add_u32 v166, v166, 23, 0x37800000
	v_and_b32_e32 v149, 0x80000000, v149
	s_delay_alu instid0(VALU_DEP_3) | instskip(NEXT) | instid1(VALU_DEP_1)
	v_cndmask_b32_e32 v165, v165, v167, vcc_lo
	v_lshlrev_b32_e32 v165, 21, v165
	s_delay_alu instid0(VALU_DEP_1)
	v_or3_b32 v165, v149, v166, v165
.LBB4_6534:                             ;   in Loop: Header=BB4_6169 Depth=3
	s_or_b32 exec_lo, exec_lo, s15
	v_lshrrev_b32_e32 v149, 16, v10
	s_mov_b32 s14, 0
	s_mov_b32 s34, exec_lo
                                        ; implicit-def: $sgpr15
	s_delay_alu instid0(VALU_DEP_1) | instskip(NEXT) | instid1(VALU_DEP_1)
	v_and_b32_e32 v167, 0xff, v149
	v_cmpx_lt_i16_e64 0x7f, v167
	s_xor_b32 s34, exec_lo, s34
	s_cbranch_execnz .LBB4_6777
; %bb.6535:                             ;   in Loop: Header=BB4_6169 Depth=3
	s_or_saveexec_b32 s34, s34
	v_mov_b32_e32 v166, s15
	s_xor_b32 exec_lo, exec_lo, s34
	s_cbranch_execnz .LBB4_6780
.LBB4_6536:                             ;   in Loop: Header=BB4_6169 Depth=3
	s_or_b32 exec_lo, exec_lo, s34
	s_and_saveexec_b32 s15, s14
	s_cbranch_execz .LBB4_6538
.LBB4_6537:                             ;   in Loop: Header=BB4_6169 Depth=3
	v_bfe_u32 v166, v10, 16, 2
	v_lshlrev_b32_e32 v177, 8, v10
	s_delay_alu instid0(VALU_DEP_2) | instskip(NEXT) | instid1(VALU_DEP_1)
	v_clz_i32_u32_e32 v167, v166
	v_min_u32_e32 v167, 32, v167
	s_delay_alu instid0(VALU_DEP_1) | instskip(SKIP_1) | instid1(VALU_DEP_2)
	v_subrev_nc_u32_e32 v176, 29, v167
	v_sub_nc_u32_e32 v167, 30, v167
	v_lshlrev_b32_e32 v149, v176, v149
	v_bfe_u32 v176, v10, 18, 5
	s_delay_alu instid0(VALU_DEP_2) | instskip(NEXT) | instid1(VALU_DEP_2)
	v_and_b32_e32 v149, 3, v149
	v_cmp_eq_u32_e32 vcc_lo, 0, v176
	v_cndmask_b32_e32 v167, v176, v167, vcc_lo
	s_delay_alu instid0(VALU_DEP_3) | instskip(SKIP_1) | instid1(VALU_DEP_3)
	v_cndmask_b32_e32 v149, v166, v149, vcc_lo
	v_and_b32_e32 v166, 0x80000000, v177
	v_lshl_add_u32 v167, v167, 23, 0x37800000
	s_delay_alu instid0(VALU_DEP_3) | instskip(NEXT) | instid1(VALU_DEP_1)
	v_lshlrev_b32_e32 v149, 21, v149
	v_or3_b32 v166, v166, v167, v149
.LBB4_6538:                             ;   in Loop: Header=BB4_6169 Depth=3
	s_or_b32 exec_lo, exec_lo, s15
	s_delay_alu instid0(VALU_DEP_1) | instskip(NEXT) | instid1(VALU_DEP_1)
	v_add_f32_e32 v165, v165, v166
	v_and_b32_e32 v149, 0x7f800000, v165
	s_delay_alu instid0(VALU_DEP_1)
	v_cmp_ne_u32_e32 vcc_lo, 0x7f800000, v149
	v_mov_b32_e32 v149, 0x80
	s_and_saveexec_b32 s15, vcc_lo
	s_cbranch_execz .LBB4_6546
; %bb.6539:                             ;   in Loop: Header=BB4_6169 Depth=3
	v_mov_b32_e32 v149, 0
	s_mov_b32 s34, exec_lo
	v_cmpx_ne_u32_e32 0, v165
	s_cbranch_execz .LBB4_6545
; %bb.6540:                             ;   in Loop: Header=BB4_6169 Depth=3
	v_bfe_u32 v149, v165, 23, 8
	s_delay_alu instid0(VALU_DEP_1) | instskip(SKIP_1) | instid1(VALU_DEP_2)
	v_sub_nc_u32_e32 v167, 0x70, v149
	v_cmp_gt_u32_e32 vcc_lo, 0x71, v149
	v_dual_cndmask_b32 v167, 0, v167 :: v_dual_and_b32 v166, 0x7fffff, v165
	s_delay_alu instid0(VALU_DEP_1) | instskip(SKIP_2) | instid1(VALU_DEP_4)
	v_or_b32_e32 v176, 0x800000, v166
	v_cmp_eq_u32_e32 vcc_lo, 0, v149
	v_add_nc_u32_e32 v149, 0xffffff91, v149
	v_cndmask_b32_e64 v167, v167, 0x6f, vcc_lo
	s_delay_alu instid0(VALU_DEP_4) | instskip(NEXT) | instid1(VALU_DEP_3)
	v_cndmask_b32_e32 v166, v176, v166, vcc_lo
	v_cndmask_b32_e64 v149, v149, 0xffffff92, vcc_lo
	s_delay_alu instid0(VALU_DEP_3) | instskip(NEXT) | instid1(VALU_DEP_3)
	v_lshl_add_u32 v176, 0x200000, v167, -1
	v_lshrrev_b32_e32 v177, v167, v166
	v_lshlrev_b32_e64 v179, v167, 0x100000
	s_delay_alu instid0(VALU_DEP_4) | instskip(NEXT) | instid1(VALU_DEP_4)
	v_add_nc_u32_e32 v167, v167, v149
	v_and_b32_e32 v166, v176, v166
	s_delay_alu instid0(VALU_DEP_4) | instskip(NEXT) | instid1(VALU_DEP_2)
	v_bfe_u32 v178, v177, 21, 1
	v_cmp_eq_u32_e64 s14, v166, v179
	s_delay_alu instid0(VALU_DEP_2) | instskip(NEXT) | instid1(VALU_DEP_1)
	v_add_nc_u32_e32 v176, -1, v178
	v_cndmask_b32_e64 v166, 0, v176, s14
	v_lshrrev_b32_e32 v176, 23, v177
	s_mov_b32 s14, exec_lo
	s_delay_alu instid0(VALU_DEP_2) | instskip(NEXT) | instid1(VALU_DEP_2)
	v_add_nc_u32_e32 v166, v166, v177
	v_xor_b32_e32 v176, 1, v176
	s_delay_alu instid0(VALU_DEP_2) | instskip(NEXT) | instid1(VALU_DEP_1)
	v_and_b32_e32 v149, 0x1fffff, v166
	v_add_nc_u32_e32 v166, v149, v177
                                        ; implicit-def: $vgpr149
	s_delay_alu instid0(VALU_DEP_3)
	v_cmpx_ne_u32_e64 v167, v176
	s_xor_b32 s14, exec_lo, s14
; %bb.6541:                             ;   in Loop: Header=BB4_6169 Depth=3
	s_delay_alu instid0(VALU_DEP_2) | instskip(SKIP_2) | instid1(VALU_DEP_2)
	v_cmp_lt_u32_e32 vcc_lo, 0xffffff, v166
	v_sub_nc_u32_e32 v149, v167, v176
	v_cndmask_b32_e64 v167, 0, 1, vcc_lo
	v_add_co_ci_u32_e32 v149, vcc_lo, 0, v149, vcc_lo
	s_delay_alu instid0(VALU_DEP_2)
	v_lshrrev_b32_e32 v166, v167, v166
; %bb.6542:                             ;   in Loop: Header=BB4_6169 Depth=3
	s_and_not1_saveexec_b32 s14, s14
; %bb.6543:                             ;   in Loop: Header=BB4_6169 Depth=3
	s_delay_alu instid0(VALU_DEP_1)
	v_bfe_u32 v149, v166, 23, 1
; %bb.6544:                             ;   in Loop: Header=BB4_6169 Depth=3
	s_or_b32 exec_lo, exec_lo, s14
	v_lshrrev_b32_e32 v166, 21, v166
	s_delay_alu instid0(VALU_DEP_2) | instskip(SKIP_2) | instid1(VALU_DEP_2)
	v_cmp_gt_i32_e32 vcc_lo, 32, v149
	v_lshrrev_b32_e32 v165, 24, v165
	v_min_i32_e32 v167, 31, v149
	v_dual_cndmask_b32 v166, 3, v166 :: v_dual_and_b32 v165, 0x80, v165
	s_delay_alu instid0(VALU_DEP_2) | instskip(NEXT) | instid1(VALU_DEP_2)
	v_lshlrev_b32_e32 v167, 2, v167
	v_or_b32_e32 v149, v149, v166
	s_delay_alu instid0(VALU_DEP_1) | instskip(SKIP_1) | instid1(VALU_DEP_1)
	v_cmp_ne_u32_e32 vcc_lo, 0, v149
	v_and_b32_e32 v176, 3, v166
	v_or3_b32 v165, v167, v165, v176
	s_delay_alu instid0(VALU_DEP_1)
	v_cndmask_b32_e32 v149, 0, v165, vcc_lo
.LBB4_6545:                             ;   in Loop: Header=BB4_6169 Depth=3
	s_or_b32 exec_lo, exec_lo, s34
.LBB4_6546:                             ;   in Loop: Header=BB4_6169 Depth=3
	s_delay_alu instid0(SALU_CYCLE_1) | instskip(SKIP_3) | instid1(VALU_DEP_1)
	s_or_b32 exec_lo, exec_lo, s15
	v_and_b32_e32 v166, 0xff, v146
	s_mov_b32 s14, 0
	s_mov_b32 s34, exec_lo
                                        ; implicit-def: $sgpr15
	v_cmpx_lt_i16_e64 0x7f, v166
	s_xor_b32 s34, exec_lo, s34
	s_cbranch_execnz .LBB4_6781
; %bb.6547:                             ;   in Loop: Header=BB4_6169 Depth=3
	s_or_saveexec_b32 s34, s34
	v_mov_b32_e32 v165, s15
	s_xor_b32 exec_lo, exec_lo, s34
	s_cbranch_execnz .LBB4_6784
.LBB4_6548:                             ;   in Loop: Header=BB4_6169 Depth=3
	s_or_b32 exec_lo, exec_lo, s34
	s_and_saveexec_b32 s15, s14
	s_cbranch_execz .LBB4_6550
.LBB4_6549:                             ;   in Loop: Header=BB4_6169 Depth=3
	v_lshlrev_b32_e32 v146, 8, v146
	s_delay_alu instid0(VALU_DEP_1) | instskip(SKIP_1) | instid1(VALU_DEP_2)
	v_and_b32_e32 v165, 0xff00, v146
	v_bfe_u32 v146, v146, 10, 5
	v_bfe_u32 v167, v165, 8, 2
	s_delay_alu instid0(VALU_DEP_2) | instskip(NEXT) | instid1(VALU_DEP_2)
	v_cmp_eq_u32_e32 vcc_lo, 0, v146
	v_clz_i32_u32_e32 v176, v167
	s_delay_alu instid0(VALU_DEP_1) | instskip(NEXT) | instid1(VALU_DEP_1)
	v_min_u32_e32 v176, 32, v176
	v_subrev_nc_u32_e32 v177, 29, v176
	v_sub_nc_u32_e32 v176, 30, v176
	s_delay_alu instid0(VALU_DEP_2) | instskip(NEXT) | instid1(VALU_DEP_2)
	v_lshlrev_b32_e32 v166, v177, v166
	v_cndmask_b32_e32 v146, v146, v176, vcc_lo
	s_delay_alu instid0(VALU_DEP_2) | instskip(SKIP_1) | instid1(VALU_DEP_3)
	v_and_b32_e32 v166, 3, v166
	v_lshlrev_b32_e32 v165, 16, v165
	v_lshl_add_u32 v146, v146, 23, 0x37800000
	s_delay_alu instid0(VALU_DEP_2) | instskip(NEXT) | instid1(VALU_DEP_1)
	v_dual_cndmask_b32 v166, v167, v166 :: v_dual_and_b32 v165, 0x80000000, v165
	v_lshlrev_b32_e32 v166, 21, v166
	s_delay_alu instid0(VALU_DEP_1)
	v_or3_b32 v165, v165, v146, v166
.LBB4_6550:                             ;   in Loop: Header=BB4_6169 Depth=3
	s_or_b32 exec_lo, exec_lo, s15
	v_lshrrev_b32_e32 v146, 24, v10
	s_mov_b32 s14, 0
	s_mov_b32 s34, exec_lo
                                        ; implicit-def: $sgpr15
	s_delay_alu instid0(VALU_DEP_1)
	v_cmpx_lt_i16_e64 0x7f, v146
	s_xor_b32 s34, exec_lo, s34
	s_cbranch_execnz .LBB4_6785
; %bb.6551:                             ;   in Loop: Header=BB4_6169 Depth=3
	s_or_saveexec_b32 s34, s34
	v_mov_b32_e32 v166, s15
	s_xor_b32 exec_lo, exec_lo, s34
	s_cbranch_execnz .LBB4_6788
.LBB4_6552:                             ;   in Loop: Header=BB4_6169 Depth=3
	s_or_b32 exec_lo, exec_lo, s34
	s_and_saveexec_b32 s15, s14
	s_cbranch_execz .LBB4_6554
.LBB4_6553:                             ;   in Loop: Header=BB4_6169 Depth=3
	v_bfe_u32 v166, v10, 24, 2
	s_delay_alu instid0(VALU_DEP_1) | instskip(NEXT) | instid1(VALU_DEP_1)
	v_clz_i32_u32_e32 v167, v166
	v_min_u32_e32 v167, 32, v167
	s_delay_alu instid0(VALU_DEP_1) | instskip(SKIP_1) | instid1(VALU_DEP_2)
	v_subrev_nc_u32_e32 v176, 29, v167
	v_sub_nc_u32_e32 v167, 30, v167
	v_lshlrev_b32_e32 v146, v176, v146
	v_bfe_u32 v176, v10, 26, 5
	v_and_b32_e32 v10, 0x80000000, v10
	s_delay_alu instid0(VALU_DEP_2) | instskip(NEXT) | instid1(VALU_DEP_4)
	v_cmp_eq_u32_e32 vcc_lo, 0, v176
	v_dual_cndmask_b32 v167, v176, v167 :: v_dual_and_b32 v146, 3, v146
	s_delay_alu instid0(VALU_DEP_1) | instskip(NEXT) | instid1(VALU_DEP_2)
	v_cndmask_b32_e32 v146, v166, v146, vcc_lo
	v_lshl_add_u32 v166, v167, 23, 0x37800000
	s_delay_alu instid0(VALU_DEP_2) | instskip(NEXT) | instid1(VALU_DEP_1)
	v_lshlrev_b32_e32 v146, 21, v146
	v_or3_b32 v166, v10, v166, v146
.LBB4_6554:                             ;   in Loop: Header=BB4_6169 Depth=3
	s_or_b32 exec_lo, exec_lo, s15
	s_delay_alu instid0(VALU_DEP_1) | instskip(NEXT) | instid1(VALU_DEP_1)
	v_add_f32_e32 v146, v165, v166
	v_and_b32_e32 v10, 0x7f800000, v146
	s_delay_alu instid0(VALU_DEP_1)
	v_cmp_ne_u32_e32 vcc_lo, 0x7f800000, v10
	v_mov_b32_e32 v10, 0x80
	s_and_saveexec_b32 s15, vcc_lo
	s_cbranch_execz .LBB4_6562
; %bb.6555:                             ;   in Loop: Header=BB4_6169 Depth=3
	v_mov_b32_e32 v10, 0
	s_mov_b32 s34, exec_lo
	v_cmpx_ne_u32_e32 0, v146
	s_cbranch_execz .LBB4_6561
; %bb.6556:                             ;   in Loop: Header=BB4_6169 Depth=3
	v_bfe_u32 v10, v146, 23, 8
	v_and_b32_e32 v165, 0x7fffff, v146
	s_delay_alu instid0(VALU_DEP_2) | instskip(SKIP_1) | instid1(VALU_DEP_3)
	v_sub_nc_u32_e32 v166, 0x70, v10
	v_cmp_gt_u32_e32 vcc_lo, 0x71, v10
	v_or_b32_e32 v167, 0x800000, v165
	s_delay_alu instid0(VALU_DEP_3) | instskip(SKIP_1) | instid1(VALU_DEP_3)
	v_cndmask_b32_e32 v166, 0, v166, vcc_lo
	v_cmp_eq_u32_e32 vcc_lo, 0, v10
	v_dual_cndmask_b32 v165, v167, v165 :: v_dual_add_nc_u32 v10, 0xffffff91, v10
	s_delay_alu instid0(VALU_DEP_3) | instskip(NEXT) | instid1(VALU_DEP_2)
	v_cndmask_b32_e64 v166, v166, 0x6f, vcc_lo
	v_cndmask_b32_e64 v10, v10, 0xffffff92, vcc_lo
	s_delay_alu instid0(VALU_DEP_2) | instskip(SKIP_2) | instid1(VALU_DEP_4)
	v_lshrrev_b32_e32 v176, v166, v165
	v_lshl_add_u32 v167, 0x200000, v166, -1
	v_lshlrev_b32_e64 v178, v166, 0x100000
	v_add_nc_u32_e32 v166, v166, v10
	s_delay_alu instid0(VALU_DEP_4) | instskip(NEXT) | instid1(VALU_DEP_4)
	v_bfe_u32 v177, v176, 21, 1
	v_and_b32_e32 v165, v167, v165
	s_delay_alu instid0(VALU_DEP_2) | instskip(NEXT) | instid1(VALU_DEP_2)
	v_add_nc_u32_e32 v167, -1, v177
	v_cmp_eq_u32_e64 s14, v165, v178
	s_delay_alu instid0(VALU_DEP_1) | instskip(SKIP_2) | instid1(VALU_DEP_2)
	v_cndmask_b32_e64 v165, 0, v167, s14
	v_lshrrev_b32_e32 v167, 23, v176
	s_mov_b32 s14, exec_lo
	v_add_nc_u32_e32 v165, v165, v176
	s_delay_alu instid0(VALU_DEP_2) | instskip(NEXT) | instid1(VALU_DEP_2)
	v_xor_b32_e32 v167, 1, v167
	v_and_b32_e32 v10, 0x1fffff, v165
	s_delay_alu instid0(VALU_DEP_1) | instskip(NEXT) | instid1(VALU_DEP_3)
	v_add_nc_u32_e32 v165, v10, v176
                                        ; implicit-def: $vgpr10
	v_cmpx_ne_u32_e64 v166, v167
	s_xor_b32 s14, exec_lo, s14
; %bb.6557:                             ;   in Loop: Header=BB4_6169 Depth=3
	s_delay_alu instid0(VALU_DEP_2) | instskip(SKIP_2) | instid1(VALU_DEP_2)
	v_cmp_lt_u32_e32 vcc_lo, 0xffffff, v165
	v_sub_nc_u32_e32 v10, v166, v167
	v_cndmask_b32_e64 v166, 0, 1, vcc_lo
	v_add_co_ci_u32_e32 v10, vcc_lo, 0, v10, vcc_lo
	s_delay_alu instid0(VALU_DEP_2)
	v_lshrrev_b32_e32 v165, v166, v165
; %bb.6558:                             ;   in Loop: Header=BB4_6169 Depth=3
	s_and_not1_saveexec_b32 s14, s14
; %bb.6559:                             ;   in Loop: Header=BB4_6169 Depth=3
	s_delay_alu instid0(VALU_DEP_1)
	v_bfe_u32 v10, v165, 23, 1
; %bb.6560:                             ;   in Loop: Header=BB4_6169 Depth=3
	s_or_b32 exec_lo, exec_lo, s14
	v_lshrrev_b32_e32 v165, 21, v165
	s_delay_alu instid0(VALU_DEP_2) | instskip(SKIP_2) | instid1(VALU_DEP_2)
	v_cmp_gt_i32_e32 vcc_lo, 32, v10
	v_lshrrev_b32_e32 v146, 24, v146
	v_min_i32_e32 v166, 31, v10
	v_dual_cndmask_b32 v165, 3, v165 :: v_dual_and_b32 v146, 0x80, v146
	s_delay_alu instid0(VALU_DEP_2) | instskip(NEXT) | instid1(VALU_DEP_2)
	v_lshlrev_b32_e32 v166, 2, v166
	v_or_b32_e32 v10, v10, v165
	s_delay_alu instid0(VALU_DEP_1) | instskip(SKIP_1) | instid1(VALU_DEP_1)
	v_cmp_ne_u32_e32 vcc_lo, 0, v10
	v_and_b32_e32 v167, 3, v165
	v_or3_b32 v146, v166, v146, v167
	s_delay_alu instid0(VALU_DEP_1)
	v_cndmask_b32_e32 v10, 0, v146, vcc_lo
.LBB4_6561:                             ;   in Loop: Header=BB4_6169 Depth=3
	s_or_b32 exec_lo, exec_lo, s34
.LBB4_6562:                             ;   in Loop: Header=BB4_6169 Depth=3
	s_delay_alu instid0(SALU_CYCLE_1) | instskip(SKIP_3) | instid1(VALU_DEP_1)
	s_or_b32 exec_lo, exec_lo, s15
	v_or_b32_e32 v146, v151, v145
	s_mov_b32 s14, 0
	s_mov_b32 s34, exec_lo
                                        ; implicit-def: $sgpr15
	v_and_b32_e32 v151, 0xff, v146
	s_delay_alu instid0(VALU_DEP_1)
	v_cmpx_lt_i16_e64 0x7f, v151
	s_xor_b32 s34, exec_lo, s34
	s_cbranch_execnz .LBB4_6789
; %bb.6563:                             ;   in Loop: Header=BB4_6169 Depth=3
	s_or_saveexec_b32 s34, s34
	v_mov_b32_e32 v145, s15
	s_xor_b32 exec_lo, exec_lo, s34
	s_cbranch_execnz .LBB4_6792
.LBB4_6564:                             ;   in Loop: Header=BB4_6169 Depth=3
	s_or_b32 exec_lo, exec_lo, s34
	s_and_saveexec_b32 s15, s14
	s_cbranch_execz .LBB4_6566
.LBB4_6565:                             ;   in Loop: Header=BB4_6169 Depth=3
	v_and_b32_e32 v145, 3, v146
	v_bfe_u32 v166, v146, 2, 5
	v_lshlrev_b32_e32 v167, 24, v146
	s_delay_alu instid0(VALU_DEP_3) | instskip(NEXT) | instid1(VALU_DEP_3)
	v_clz_i32_u32_e32 v151, v145
	v_cmp_eq_u32_e32 vcc_lo, 0, v166
	s_delay_alu instid0(VALU_DEP_2) | instskip(NEXT) | instid1(VALU_DEP_1)
	v_min_u32_e32 v151, 32, v151
	v_subrev_nc_u32_e32 v165, 29, v151
	v_sub_nc_u32_e32 v151, 30, v151
	s_delay_alu instid0(VALU_DEP_2) | instskip(NEXT) | instid1(VALU_DEP_2)
	v_lshlrev_b32_e32 v165, v165, v146
	v_cndmask_b32_e32 v151, v166, v151, vcc_lo
	s_delay_alu instid0(VALU_DEP_2) | instskip(NEXT) | instid1(VALU_DEP_2)
	v_and_b32_e32 v165, 3, v165
	v_lshl_add_u32 v151, v151, 23, 0x37800000
	s_delay_alu instid0(VALU_DEP_2) | instskip(SKIP_1) | instid1(VALU_DEP_2)
	v_cndmask_b32_e32 v145, v145, v165, vcc_lo
	v_and_b32_e32 v165, 0x80000000, v167
	v_lshlrev_b32_e32 v145, 21, v145
	s_delay_alu instid0(VALU_DEP_1)
	v_or3_b32 v145, v165, v151, v145
.LBB4_6566:                             ;   in Loop: Header=BB4_6169 Depth=3
	s_or_b32 exec_lo, exec_lo, s15
	v_and_b32_e32 v165, 0xff, v11
	s_mov_b32 s14, 0
	s_mov_b32 s34, exec_lo
                                        ; implicit-def: $sgpr15
	s_delay_alu instid0(VALU_DEP_1)
	v_cmpx_lt_i16_e64 0x7f, v165
	s_xor_b32 s34, exec_lo, s34
	s_cbranch_execnz .LBB4_6793
; %bb.6567:                             ;   in Loop: Header=BB4_6169 Depth=3
	s_or_saveexec_b32 s34, s34
	v_mov_b32_e32 v151, s15
	s_xor_b32 exec_lo, exec_lo, s34
	s_cbranch_execnz .LBB4_6796
.LBB4_6568:                             ;   in Loop: Header=BB4_6169 Depth=3
	s_or_b32 exec_lo, exec_lo, s34
	s_and_saveexec_b32 s15, s14
	s_cbranch_execz .LBB4_6570
.LBB4_6569:                             ;   in Loop: Header=BB4_6169 Depth=3
	v_and_b32_e32 v151, 3, v11
	v_bfe_u32 v167, v11, 2, 5
	s_delay_alu instid0(VALU_DEP_2) | instskip(NEXT) | instid1(VALU_DEP_2)
	v_clz_i32_u32_e32 v165, v151
	v_cmp_eq_u32_e32 vcc_lo, 0, v167
	s_delay_alu instid0(VALU_DEP_2) | instskip(NEXT) | instid1(VALU_DEP_1)
	v_min_u32_e32 v165, 32, v165
	v_subrev_nc_u32_e32 v166, 29, v165
	v_sub_nc_u32_e32 v165, 30, v165
	s_delay_alu instid0(VALU_DEP_1) | instskip(NEXT) | instid1(VALU_DEP_1)
	v_dual_cndmask_b32 v165, v167, v165 :: v_dual_lshlrev_b32 v166, v166, v11
	v_and_b32_e32 v166, 3, v166
	v_lshlrev_b32_e32 v176, 24, v11
	s_delay_alu instid0(VALU_DEP_3) | instskip(NEXT) | instid1(VALU_DEP_2)
	v_lshl_add_u32 v165, v165, 23, 0x37800000
	v_dual_cndmask_b32 v151, v151, v166 :: v_dual_and_b32 v166, 0x80000000, v176
	s_delay_alu instid0(VALU_DEP_1) | instskip(NEXT) | instid1(VALU_DEP_1)
	v_lshlrev_b32_e32 v151, 21, v151
	v_or3_b32 v151, v166, v165, v151
.LBB4_6570:                             ;   in Loop: Header=BB4_6169 Depth=3
	s_or_b32 exec_lo, exec_lo, s15
	s_delay_alu instid0(VALU_DEP_1) | instskip(NEXT) | instid1(VALU_DEP_1)
	v_add_f32_e32 v151, v145, v151
	v_and_b32_e32 v145, 0x7f800000, v151
	s_delay_alu instid0(VALU_DEP_1)
	v_cmp_ne_u32_e32 vcc_lo, 0x7f800000, v145
	v_mov_b32_e32 v145, 0x80
	s_and_saveexec_b32 s15, vcc_lo
	s_cbranch_execz .LBB4_6578
; %bb.6571:                             ;   in Loop: Header=BB4_6169 Depth=3
	v_mov_b32_e32 v145, 0
	s_mov_b32 s34, exec_lo
	v_cmpx_ne_u32_e32 0, v151
	s_cbranch_execz .LBB4_6577
; %bb.6572:                             ;   in Loop: Header=BB4_6169 Depth=3
	v_bfe_u32 v145, v151, 23, 8
	s_delay_alu instid0(VALU_DEP_1) | instskip(SKIP_1) | instid1(VALU_DEP_2)
	v_sub_nc_u32_e32 v166, 0x70, v145
	v_cmp_gt_u32_e32 vcc_lo, 0x71, v145
	v_dual_cndmask_b32 v166, 0, v166 :: v_dual_and_b32 v165, 0x7fffff, v151
	s_delay_alu instid0(VALU_DEP_1) | instskip(SKIP_2) | instid1(VALU_DEP_4)
	v_or_b32_e32 v167, 0x800000, v165
	v_cmp_eq_u32_e32 vcc_lo, 0, v145
	v_add_nc_u32_e32 v145, 0xffffff91, v145
	v_cndmask_b32_e64 v166, v166, 0x6f, vcc_lo
	s_delay_alu instid0(VALU_DEP_4) | instskip(NEXT) | instid1(VALU_DEP_3)
	v_cndmask_b32_e32 v165, v167, v165, vcc_lo
	v_cndmask_b32_e64 v145, v145, 0xffffff92, vcc_lo
	s_delay_alu instid0(VALU_DEP_3) | instskip(NEXT) | instid1(VALU_DEP_3)
	v_lshl_add_u32 v167, 0x200000, v166, -1
	v_lshrrev_b32_e32 v176, v166, v165
	v_lshlrev_b32_e64 v178, v166, 0x100000
	s_delay_alu instid0(VALU_DEP_4) | instskip(NEXT) | instid1(VALU_DEP_4)
	v_add_nc_u32_e32 v166, v166, v145
	v_and_b32_e32 v165, v167, v165
	s_delay_alu instid0(VALU_DEP_4) | instskip(NEXT) | instid1(VALU_DEP_2)
	v_bfe_u32 v177, v176, 21, 1
	v_cmp_eq_u32_e64 s14, v165, v178
	s_delay_alu instid0(VALU_DEP_2) | instskip(NEXT) | instid1(VALU_DEP_1)
	v_add_nc_u32_e32 v167, -1, v177
	v_cndmask_b32_e64 v165, 0, v167, s14
	v_lshrrev_b32_e32 v167, 23, v176
	s_mov_b32 s14, exec_lo
	s_delay_alu instid0(VALU_DEP_2) | instskip(NEXT) | instid1(VALU_DEP_2)
	v_add_nc_u32_e32 v165, v165, v176
	v_xor_b32_e32 v167, 1, v167
	s_delay_alu instid0(VALU_DEP_2) | instskip(NEXT) | instid1(VALU_DEP_1)
	v_and_b32_e32 v145, 0x1fffff, v165
	v_add_nc_u32_e32 v165, v145, v176
                                        ; implicit-def: $vgpr145
	s_delay_alu instid0(VALU_DEP_3)
	v_cmpx_ne_u32_e64 v166, v167
	s_xor_b32 s14, exec_lo, s14
; %bb.6573:                             ;   in Loop: Header=BB4_6169 Depth=3
	s_delay_alu instid0(VALU_DEP_2) | instskip(SKIP_2) | instid1(VALU_DEP_2)
	v_cmp_lt_u32_e32 vcc_lo, 0xffffff, v165
	v_sub_nc_u32_e32 v145, v166, v167
	v_cndmask_b32_e64 v166, 0, 1, vcc_lo
	v_add_co_ci_u32_e32 v145, vcc_lo, 0, v145, vcc_lo
	s_delay_alu instid0(VALU_DEP_2)
	v_lshrrev_b32_e32 v165, v166, v165
; %bb.6574:                             ;   in Loop: Header=BB4_6169 Depth=3
	s_and_not1_saveexec_b32 s14, s14
; %bb.6575:                             ;   in Loop: Header=BB4_6169 Depth=3
	s_delay_alu instid0(VALU_DEP_1)
	v_bfe_u32 v145, v165, 23, 1
; %bb.6576:                             ;   in Loop: Header=BB4_6169 Depth=3
	s_or_b32 exec_lo, exec_lo, s14
	v_lshrrev_b32_e32 v165, 21, v165
	s_delay_alu instid0(VALU_DEP_2) | instskip(SKIP_2) | instid1(VALU_DEP_4)
	v_cmp_gt_i32_e32 vcc_lo, 32, v145
	v_lshrrev_b32_e32 v151, 24, v151
	v_min_i32_e32 v166, 31, v145
	v_cndmask_b32_e32 v165, 3, v165, vcc_lo
	s_delay_alu instid0(VALU_DEP_3) | instskip(NEXT) | instid1(VALU_DEP_3)
	v_and_b32_e32 v151, 0x80, v151
	v_lshlrev_b32_e32 v166, 2, v166
	s_delay_alu instid0(VALU_DEP_3) | instskip(SKIP_1) | instid1(VALU_DEP_2)
	v_and_b32_e32 v167, 3, v165
	v_or_b32_e32 v145, v145, v165
	v_or3_b32 v151, v166, v151, v167
	s_delay_alu instid0(VALU_DEP_2) | instskip(NEXT) | instid1(VALU_DEP_2)
	v_cmp_ne_u32_e32 vcc_lo, 0, v145
	v_cndmask_b32_e32 v145, 0, v151, vcc_lo
.LBB4_6577:                             ;   in Loop: Header=BB4_6169 Depth=3
	s_or_b32 exec_lo, exec_lo, s34
.LBB4_6578:                             ;   in Loop: Header=BB4_6169 Depth=3
	s_delay_alu instid0(SALU_CYCLE_1) | instskip(SKIP_3) | instid1(VALU_DEP_1)
	s_or_b32 exec_lo, exec_lo, s15
	v_lshrrev_b16 v165, 8, v146
	s_mov_b32 s14, 0
	s_mov_b32 s34, exec_lo
                                        ; implicit-def: $sgpr15
	v_cmpx_lt_i16_e64 0x7f, v165
	s_xor_b32 s34, exec_lo, s34
	s_cbranch_execnz .LBB4_6797
; %bb.6579:                             ;   in Loop: Header=BB4_6169 Depth=3
	s_or_saveexec_b32 s34, s34
	v_mov_b32_e32 v151, s15
	s_xor_b32 exec_lo, exec_lo, s34
	s_cbranch_execnz .LBB4_6800
.LBB4_6580:                             ;   in Loop: Header=BB4_6169 Depth=3
	s_or_b32 exec_lo, exec_lo, s34
	s_and_saveexec_b32 s15, s14
	s_cbranch_execz .LBB4_6582
.LBB4_6581:                             ;   in Loop: Header=BB4_6169 Depth=3
	v_and_b32_e32 v151, 0xffff, v165
	v_lshlrev_b32_e32 v165, 24, v165
	s_delay_alu instid0(VALU_DEP_2) | instskip(NEXT) | instid1(VALU_DEP_2)
	v_and_b32_e32 v166, 3, v151
	v_and_b32_e32 v165, 0x80000000, v165
	s_delay_alu instid0(VALU_DEP_2) | instskip(NEXT) | instid1(VALU_DEP_1)
	v_clz_i32_u32_e32 v167, v166
	v_min_u32_e32 v167, 32, v167
	s_delay_alu instid0(VALU_DEP_1) | instskip(SKIP_1) | instid1(VALU_DEP_2)
	v_subrev_nc_u32_e32 v176, 29, v167
	v_sub_nc_u32_e32 v167, 30, v167
	v_lshlrev_b32_e32 v176, v176, v151
	v_bfe_u32 v151, v151, 2, 5
	s_delay_alu instid0(VALU_DEP_1) | instskip(NEXT) | instid1(VALU_DEP_3)
	v_cmp_eq_u32_e32 vcc_lo, 0, v151
	v_dual_cndmask_b32 v151, v151, v167 :: v_dual_and_b32 v176, 3, v176
	s_delay_alu instid0(VALU_DEP_1) | instskip(NEXT) | instid1(VALU_DEP_2)
	v_cndmask_b32_e32 v166, v166, v176, vcc_lo
	v_lshl_add_u32 v151, v151, 23, 0x37800000
	s_delay_alu instid0(VALU_DEP_2) | instskip(NEXT) | instid1(VALU_DEP_1)
	v_lshlrev_b32_e32 v166, 21, v166
	v_or3_b32 v151, v165, v151, v166
.LBB4_6582:                             ;   in Loop: Header=BB4_6169 Depth=3
	s_or_b32 exec_lo, exec_lo, s15
	v_lshrrev_b16 v165, 8, v11
	s_mov_b32 s14, 0
	s_mov_b32 s34, exec_lo
                                        ; implicit-def: $sgpr15
	s_delay_alu instid0(VALU_DEP_1)
	v_cmpx_lt_i16_e64 0x7f, v165
	s_xor_b32 s34, exec_lo, s34
	s_cbranch_execnz .LBB4_6801
; %bb.6583:                             ;   in Loop: Header=BB4_6169 Depth=3
	s_or_saveexec_b32 s34, s34
	v_mov_b32_e32 v166, s15
	s_xor_b32 exec_lo, exec_lo, s34
	s_cbranch_execnz .LBB4_6804
.LBB4_6584:                             ;   in Loop: Header=BB4_6169 Depth=3
	s_or_b32 exec_lo, exec_lo, s34
	s_and_saveexec_b32 s15, s14
	s_cbranch_execz .LBB4_6586
.LBB4_6585:                             ;   in Loop: Header=BB4_6169 Depth=3
	v_and_b32_e32 v166, 0xffff, v165
	v_lshlrev_b32_e32 v165, 24, v165
	s_delay_alu instid0(VALU_DEP_2) | instskip(NEXT) | instid1(VALU_DEP_2)
	v_and_b32_e32 v167, 3, v166
	v_and_b32_e32 v165, 0x80000000, v165
	s_delay_alu instid0(VALU_DEP_2) | instskip(NEXT) | instid1(VALU_DEP_1)
	v_clz_i32_u32_e32 v176, v167
	v_min_u32_e32 v176, 32, v176
	s_delay_alu instid0(VALU_DEP_1) | instskip(SKIP_1) | instid1(VALU_DEP_2)
	v_subrev_nc_u32_e32 v177, 29, v176
	v_sub_nc_u32_e32 v176, 30, v176
	v_lshlrev_b32_e32 v177, v177, v166
	v_bfe_u32 v166, v166, 2, 5
	s_delay_alu instid0(VALU_DEP_2) | instskip(NEXT) | instid1(VALU_DEP_2)
	v_and_b32_e32 v177, 3, v177
	v_cmp_eq_u32_e32 vcc_lo, 0, v166
	s_delay_alu instid0(VALU_DEP_2) | instskip(NEXT) | instid1(VALU_DEP_1)
	v_dual_cndmask_b32 v166, v166, v176 :: v_dual_cndmask_b32 v167, v167, v177
	v_lshl_add_u32 v166, v166, 23, 0x37800000
	s_delay_alu instid0(VALU_DEP_2) | instskip(NEXT) | instid1(VALU_DEP_1)
	v_lshlrev_b32_e32 v167, 21, v167
	v_or3_b32 v166, v165, v166, v167
.LBB4_6586:                             ;   in Loop: Header=BB4_6169 Depth=3
	s_or_b32 exec_lo, exec_lo, s15
	s_delay_alu instid0(VALU_DEP_1) | instskip(NEXT) | instid1(VALU_DEP_1)
	v_add_f32_e32 v165, v151, v166
	v_and_b32_e32 v151, 0x7f800000, v165
	s_delay_alu instid0(VALU_DEP_1)
	v_cmp_ne_u32_e32 vcc_lo, 0x7f800000, v151
	v_mov_b32_e32 v151, 0x8000
	s_and_saveexec_b32 s15, vcc_lo
	s_cbranch_execz .LBB4_6594
; %bb.6587:                             ;   in Loop: Header=BB4_6169 Depth=3
	v_mov_b32_e32 v151, 0
	s_mov_b32 s34, exec_lo
	v_cmpx_ne_u32_e32 0, v165
	s_cbranch_execz .LBB4_6593
; %bb.6588:                             ;   in Loop: Header=BB4_6169 Depth=3
	v_bfe_u32 v151, v165, 23, 8
	s_delay_alu instid0(VALU_DEP_1) | instskip(SKIP_1) | instid1(VALU_DEP_2)
	v_sub_nc_u32_e32 v167, 0x70, v151
	v_cmp_gt_u32_e32 vcc_lo, 0x71, v151
	v_dual_cndmask_b32 v167, 0, v167 :: v_dual_and_b32 v166, 0x7fffff, v165
	s_delay_alu instid0(VALU_DEP_1) | instskip(SKIP_2) | instid1(VALU_DEP_4)
	v_or_b32_e32 v176, 0x800000, v166
	v_cmp_eq_u32_e32 vcc_lo, 0, v151
	v_add_nc_u32_e32 v151, 0xffffff91, v151
	v_cndmask_b32_e64 v167, v167, 0x6f, vcc_lo
	s_delay_alu instid0(VALU_DEP_4) | instskip(NEXT) | instid1(VALU_DEP_3)
	v_cndmask_b32_e32 v166, v176, v166, vcc_lo
	v_cndmask_b32_e64 v151, v151, 0xffffff92, vcc_lo
	s_delay_alu instid0(VALU_DEP_3) | instskip(NEXT) | instid1(VALU_DEP_3)
	v_lshl_add_u32 v176, 0x200000, v167, -1
	v_lshrrev_b32_e32 v177, v167, v166
	v_lshlrev_b32_e64 v179, v167, 0x100000
	s_delay_alu instid0(VALU_DEP_4) | instskip(NEXT) | instid1(VALU_DEP_4)
	v_add_nc_u32_e32 v167, v167, v151
	v_and_b32_e32 v166, v176, v166
	s_delay_alu instid0(VALU_DEP_4) | instskip(NEXT) | instid1(VALU_DEP_2)
	v_bfe_u32 v178, v177, 21, 1
	v_cmp_eq_u32_e64 s14, v166, v179
	s_delay_alu instid0(VALU_DEP_2) | instskip(NEXT) | instid1(VALU_DEP_1)
	v_add_nc_u32_e32 v176, -1, v178
	v_cndmask_b32_e64 v166, 0, v176, s14
	v_lshrrev_b32_e32 v176, 23, v177
	s_mov_b32 s14, exec_lo
	s_delay_alu instid0(VALU_DEP_2) | instskip(NEXT) | instid1(VALU_DEP_2)
	v_add_nc_u32_e32 v166, v166, v177
	v_xor_b32_e32 v176, 1, v176
	s_delay_alu instid0(VALU_DEP_2) | instskip(NEXT) | instid1(VALU_DEP_1)
	v_and_b32_e32 v151, 0x1fffff, v166
	v_add_nc_u32_e32 v166, v151, v177
                                        ; implicit-def: $vgpr151
	s_delay_alu instid0(VALU_DEP_3)
	v_cmpx_ne_u32_e64 v167, v176
	s_xor_b32 s14, exec_lo, s14
; %bb.6589:                             ;   in Loop: Header=BB4_6169 Depth=3
	s_delay_alu instid0(VALU_DEP_2) | instskip(SKIP_2) | instid1(VALU_DEP_2)
	v_cmp_lt_u32_e32 vcc_lo, 0xffffff, v166
	v_sub_nc_u32_e32 v151, v167, v176
	v_cndmask_b32_e64 v167, 0, 1, vcc_lo
	v_add_co_ci_u32_e32 v151, vcc_lo, 0, v151, vcc_lo
	s_delay_alu instid0(VALU_DEP_2)
	v_lshrrev_b32_e32 v166, v167, v166
; %bb.6590:                             ;   in Loop: Header=BB4_6169 Depth=3
	s_and_not1_saveexec_b32 s14, s14
; %bb.6591:                             ;   in Loop: Header=BB4_6169 Depth=3
	s_delay_alu instid0(VALU_DEP_1)
	v_bfe_u32 v151, v166, 23, 1
; %bb.6592:                             ;   in Loop: Header=BB4_6169 Depth=3
	s_or_b32 exec_lo, exec_lo, s14
	v_lshrrev_b32_e32 v166, 21, v166
	s_delay_alu instid0(VALU_DEP_2) | instskip(SKIP_2) | instid1(VALU_DEP_2)
	v_cmp_gt_i32_e32 vcc_lo, 32, v151
	v_min_i32_e32 v167, 31, v151
	v_lshrrev_b32_e32 v165, 24, v165
	v_dual_cndmask_b32 v166, 3, v166 :: v_dual_lshlrev_b32 v167, 2, v167
	s_delay_alu instid0(VALU_DEP_2) | instskip(NEXT) | instid1(VALU_DEP_2)
	v_and_b32_e32 v165, 0x80, v165
	v_or_b32_e32 v151, v151, v166
	s_delay_alu instid0(VALU_DEP_3) | instskip(NEXT) | instid1(VALU_DEP_2)
	v_and_b32_e32 v167, 0xfc, v167
	v_cmp_ne_u32_e32 vcc_lo, 0, v151
	v_and_b32_e32 v176, 3, v166
	s_delay_alu instid0(VALU_DEP_1) | instskip(NEXT) | instid1(VALU_DEP_1)
	v_or3_b32 v165, v165, v167, v176
	v_lshlrev_b32_e32 v165, 8, v165
	s_delay_alu instid0(VALU_DEP_1)
	v_cndmask_b32_e32 v151, 0, v165, vcc_lo
.LBB4_6593:                             ;   in Loop: Header=BB4_6169 Depth=3
	s_or_b32 exec_lo, exec_lo, s34
.LBB4_6594:                             ;   in Loop: Header=BB4_6169 Depth=3
	s_delay_alu instid0(SALU_CYCLE_1) | instskip(SKIP_3) | instid1(VALU_DEP_1)
	s_or_b32 exec_lo, exec_lo, s15
	v_or_b32_e32 v148, v148, v144
	s_mov_b32 s14, 0
	s_mov_b32 s34, exec_lo
                                        ; implicit-def: $sgpr15
	v_and_b32_e32 v165, 0xff, v148
	s_delay_alu instid0(VALU_DEP_1)
	v_cmpx_lt_i16_e64 0x7f, v165
	s_xor_b32 s34, exec_lo, s34
	s_cbranch_execnz .LBB4_6805
; %bb.6595:                             ;   in Loop: Header=BB4_6169 Depth=3
	s_or_saveexec_b32 s34, s34
	v_mov_b32_e32 v144, s15
	s_xor_b32 exec_lo, exec_lo, s34
	s_cbranch_execnz .LBB4_6808
.LBB4_6596:                             ;   in Loop: Header=BB4_6169 Depth=3
	s_or_b32 exec_lo, exec_lo, s34
	v_lshl_or_b32 v146, v148, 16, v146
	s_and_saveexec_b32 s15, s14
	s_cbranch_execz .LBB4_6598
.LBB4_6597:                             ;   in Loop: Header=BB4_6169 Depth=3
	s_delay_alu instid0(VALU_DEP_1) | instskip(SKIP_1) | instid1(VALU_DEP_2)
	v_bfe_u32 v144, v146, 16, 2
	v_lshrrev_b32_e32 v165, 16, v146
	v_clz_i32_u32_e32 v148, v144
	s_delay_alu instid0(VALU_DEP_1) | instskip(NEXT) | instid1(VALU_DEP_1)
	v_min_u32_e32 v148, 32, v148
	v_subrev_nc_u32_e32 v166, 29, v148
	v_sub_nc_u32_e32 v148, 30, v148
	s_delay_alu instid0(VALU_DEP_2) | instskip(SKIP_1) | instid1(VALU_DEP_1)
	v_lshlrev_b32_e32 v165, v166, v165
	v_bfe_u32 v166, v146, 18, 5
	v_cmp_eq_u32_e32 vcc_lo, 0, v166
	s_delay_alu instid0(VALU_DEP_3) | instskip(NEXT) | instid1(VALU_DEP_1)
	v_dual_cndmask_b32 v148, v166, v148 :: v_dual_and_b32 v165, 3, v165
	v_dual_cndmask_b32 v144, v144, v165 :: v_dual_lshlrev_b32 v167, 8, v146
	s_delay_alu instid0(VALU_DEP_2) | instskip(NEXT) | instid1(VALU_DEP_2)
	v_lshl_add_u32 v148, v148, 23, 0x37800000
	v_and_b32_e32 v165, 0x80000000, v167
	s_delay_alu instid0(VALU_DEP_3) | instskip(NEXT) | instid1(VALU_DEP_1)
	v_lshlrev_b32_e32 v144, 21, v144
	v_or3_b32 v144, v165, v148, v144
.LBB4_6598:                             ;   in Loop: Header=BB4_6169 Depth=3
	s_or_b32 exec_lo, exec_lo, s15
	v_lshrrev_b32_e32 v148, 16, v11
	s_mov_b32 s14, 0
	s_mov_b32 s34, exec_lo
                                        ; implicit-def: $sgpr15
	s_delay_alu instid0(VALU_DEP_1) | instskip(NEXT) | instid1(VALU_DEP_1)
	v_and_b32_e32 v166, 0xff, v148
	v_cmpx_lt_i16_e64 0x7f, v166
	s_xor_b32 s34, exec_lo, s34
	s_cbranch_execnz .LBB4_6809
; %bb.6599:                             ;   in Loop: Header=BB4_6169 Depth=3
	s_or_saveexec_b32 s34, s34
	v_mov_b32_e32 v165, s15
	s_xor_b32 exec_lo, exec_lo, s34
	s_cbranch_execnz .LBB4_6812
.LBB4_6600:                             ;   in Loop: Header=BB4_6169 Depth=3
	s_or_b32 exec_lo, exec_lo, s34
	s_and_saveexec_b32 s15, s14
	s_cbranch_execz .LBB4_6602
.LBB4_6601:                             ;   in Loop: Header=BB4_6169 Depth=3
	v_bfe_u32 v165, v11, 16, 2
	v_lshlrev_b32_e32 v176, 8, v11
	s_delay_alu instid0(VALU_DEP_2) | instskip(NEXT) | instid1(VALU_DEP_1)
	v_clz_i32_u32_e32 v166, v165
	v_min_u32_e32 v166, 32, v166
	s_delay_alu instid0(VALU_DEP_1) | instskip(SKIP_1) | instid1(VALU_DEP_2)
	v_subrev_nc_u32_e32 v167, 29, v166
	v_sub_nc_u32_e32 v166, 30, v166
	v_lshlrev_b32_e32 v148, v167, v148
	v_bfe_u32 v167, v11, 18, 5
	s_delay_alu instid0(VALU_DEP_2) | instskip(NEXT) | instid1(VALU_DEP_2)
	v_and_b32_e32 v148, 3, v148
	v_cmp_eq_u32_e32 vcc_lo, 0, v167
	v_cndmask_b32_e32 v166, v167, v166, vcc_lo
	s_delay_alu instid0(VALU_DEP_3) | instskip(SKIP_1) | instid1(VALU_DEP_3)
	v_cndmask_b32_e32 v148, v165, v148, vcc_lo
	v_and_b32_e32 v165, 0x80000000, v176
	v_lshl_add_u32 v166, v166, 23, 0x37800000
	s_delay_alu instid0(VALU_DEP_3) | instskip(NEXT) | instid1(VALU_DEP_1)
	v_lshlrev_b32_e32 v148, 21, v148
	v_or3_b32 v165, v165, v166, v148
.LBB4_6602:                             ;   in Loop: Header=BB4_6169 Depth=3
	s_or_b32 exec_lo, exec_lo, s15
	s_delay_alu instid0(VALU_DEP_1) | instskip(NEXT) | instid1(VALU_DEP_1)
	v_add_f32_e32 v148, v144, v165
	v_and_b32_e32 v144, 0x7f800000, v148
	s_delay_alu instid0(VALU_DEP_1)
	v_cmp_ne_u32_e32 vcc_lo, 0x7f800000, v144
	v_mov_b32_e32 v144, 0x80
	s_and_saveexec_b32 s15, vcc_lo
	s_cbranch_execz .LBB4_6610
; %bb.6603:                             ;   in Loop: Header=BB4_6169 Depth=3
	v_mov_b32_e32 v144, 0
	s_mov_b32 s34, exec_lo
	v_cmpx_ne_u32_e32 0, v148
	s_cbranch_execz .LBB4_6609
; %bb.6604:                             ;   in Loop: Header=BB4_6169 Depth=3
	v_bfe_u32 v144, v148, 23, 8
	s_delay_alu instid0(VALU_DEP_1) | instskip(SKIP_1) | instid1(VALU_DEP_2)
	v_sub_nc_u32_e32 v166, 0x70, v144
	v_cmp_gt_u32_e32 vcc_lo, 0x71, v144
	v_dual_cndmask_b32 v166, 0, v166 :: v_dual_and_b32 v165, 0x7fffff, v148
	s_delay_alu instid0(VALU_DEP_1) | instskip(SKIP_2) | instid1(VALU_DEP_4)
	v_or_b32_e32 v167, 0x800000, v165
	v_cmp_eq_u32_e32 vcc_lo, 0, v144
	v_add_nc_u32_e32 v144, 0xffffff91, v144
	v_cndmask_b32_e64 v166, v166, 0x6f, vcc_lo
	s_delay_alu instid0(VALU_DEP_4) | instskip(NEXT) | instid1(VALU_DEP_3)
	v_cndmask_b32_e32 v165, v167, v165, vcc_lo
	v_cndmask_b32_e64 v144, v144, 0xffffff92, vcc_lo
	s_delay_alu instid0(VALU_DEP_3) | instskip(NEXT) | instid1(VALU_DEP_3)
	v_lshl_add_u32 v167, 0x200000, v166, -1
	v_lshrrev_b32_e32 v176, v166, v165
	v_lshlrev_b32_e64 v178, v166, 0x100000
	s_delay_alu instid0(VALU_DEP_4) | instskip(NEXT) | instid1(VALU_DEP_4)
	v_add_nc_u32_e32 v166, v166, v144
	v_and_b32_e32 v165, v167, v165
	s_delay_alu instid0(VALU_DEP_4) | instskip(NEXT) | instid1(VALU_DEP_2)
	v_bfe_u32 v177, v176, 21, 1
	v_cmp_eq_u32_e64 s14, v165, v178
	s_delay_alu instid0(VALU_DEP_2) | instskip(NEXT) | instid1(VALU_DEP_1)
	v_add_nc_u32_e32 v167, -1, v177
	v_cndmask_b32_e64 v165, 0, v167, s14
	v_lshrrev_b32_e32 v167, 23, v176
	s_mov_b32 s14, exec_lo
	s_delay_alu instid0(VALU_DEP_2) | instskip(NEXT) | instid1(VALU_DEP_2)
	v_add_nc_u32_e32 v165, v165, v176
	v_xor_b32_e32 v167, 1, v167
	s_delay_alu instid0(VALU_DEP_2) | instskip(NEXT) | instid1(VALU_DEP_1)
	v_and_b32_e32 v144, 0x1fffff, v165
	v_add_nc_u32_e32 v165, v144, v176
                                        ; implicit-def: $vgpr144
	s_delay_alu instid0(VALU_DEP_3)
	v_cmpx_ne_u32_e64 v166, v167
	s_xor_b32 s14, exec_lo, s14
; %bb.6605:                             ;   in Loop: Header=BB4_6169 Depth=3
	s_delay_alu instid0(VALU_DEP_2) | instskip(SKIP_2) | instid1(VALU_DEP_2)
	v_cmp_lt_u32_e32 vcc_lo, 0xffffff, v165
	v_sub_nc_u32_e32 v144, v166, v167
	v_cndmask_b32_e64 v166, 0, 1, vcc_lo
	v_add_co_ci_u32_e32 v144, vcc_lo, 0, v144, vcc_lo
	s_delay_alu instid0(VALU_DEP_2)
	v_lshrrev_b32_e32 v165, v166, v165
; %bb.6606:                             ;   in Loop: Header=BB4_6169 Depth=3
	s_and_not1_saveexec_b32 s14, s14
; %bb.6607:                             ;   in Loop: Header=BB4_6169 Depth=3
	s_delay_alu instid0(VALU_DEP_1)
	v_bfe_u32 v144, v165, 23, 1
; %bb.6608:                             ;   in Loop: Header=BB4_6169 Depth=3
	s_or_b32 exec_lo, exec_lo, s14
	v_lshrrev_b32_e32 v165, 21, v165
	s_delay_alu instid0(VALU_DEP_2) | instskip(SKIP_2) | instid1(VALU_DEP_2)
	v_cmp_gt_i32_e32 vcc_lo, 32, v144
	v_min_i32_e32 v166, 31, v144
	v_lshrrev_b32_e32 v148, 24, v148
	v_dual_cndmask_b32 v165, 3, v165 :: v_dual_lshlrev_b32 v166, 2, v166
	s_delay_alu instid0(VALU_DEP_2) | instskip(NEXT) | instid1(VALU_DEP_2)
	v_and_b32_e32 v148, 0x80, v148
	v_or_b32_e32 v144, v144, v165
	s_delay_alu instid0(VALU_DEP_3) | instskip(NEXT) | instid1(VALU_DEP_2)
	v_and_b32_e32 v166, 0xfc, v166
	v_cmp_ne_u32_e32 vcc_lo, 0, v144
	v_and_b32_e32 v167, 3, v165
	s_delay_alu instid0(VALU_DEP_1) | instskip(NEXT) | instid1(VALU_DEP_1)
	v_or3_b32 v148, v166, v148, v167
	v_cndmask_b32_e32 v144, 0, v148, vcc_lo
.LBB4_6609:                             ;   in Loop: Header=BB4_6169 Depth=3
	s_or_b32 exec_lo, exec_lo, s34
.LBB4_6610:                             ;   in Loop: Header=BB4_6169 Depth=3
	s_delay_alu instid0(SALU_CYCLE_1) | instskip(SKIP_3) | instid1(VALU_DEP_1)
	s_or_b32 exec_lo, exec_lo, s15
	v_lshrrev_b32_e32 v165, 24, v146
	s_mov_b32 s14, 0
	s_mov_b32 s34, exec_lo
                                        ; implicit-def: $sgpr15
	v_cmpx_lt_i16_e64 0x7f, v165
	s_xor_b32 s34, exec_lo, s34
	s_cbranch_execnz .LBB4_6813
; %bb.6611:                             ;   in Loop: Header=BB4_6169 Depth=3
	s_or_saveexec_b32 s34, s34
	v_mov_b32_e32 v148, s15
	s_xor_b32 exec_lo, exec_lo, s34
	s_cbranch_execnz .LBB4_6816
.LBB4_6612:                             ;   in Loop: Header=BB4_6169 Depth=3
	s_or_b32 exec_lo, exec_lo, s34
	s_and_saveexec_b32 s15, s14
	s_cbranch_execz .LBB4_6614
.LBB4_6613:                             ;   in Loop: Header=BB4_6169 Depth=3
	v_bfe_u32 v148, v146, 24, 2
	s_delay_alu instid0(VALU_DEP_1) | instskip(NEXT) | instid1(VALU_DEP_1)
	v_clz_i32_u32_e32 v166, v148
	v_min_u32_e32 v166, 32, v166
	s_delay_alu instid0(VALU_DEP_1) | instskip(SKIP_1) | instid1(VALU_DEP_2)
	v_subrev_nc_u32_e32 v167, 29, v166
	v_sub_nc_u32_e32 v166, 30, v166
	v_lshlrev_b32_e32 v165, v167, v165
	v_bfe_u32 v167, v146, 26, 5
	v_and_b32_e32 v146, 0x80000000, v146
	s_delay_alu instid0(VALU_DEP_2) | instskip(NEXT) | instid1(VALU_DEP_4)
	v_cmp_eq_u32_e32 vcc_lo, 0, v167
	v_dual_cndmask_b32 v166, v167, v166 :: v_dual_and_b32 v165, 3, v165
	s_delay_alu instid0(VALU_DEP_1) | instskip(NEXT) | instid1(VALU_DEP_2)
	v_cndmask_b32_e32 v148, v148, v165, vcc_lo
	v_lshl_add_u32 v165, v166, 23, 0x37800000
	s_delay_alu instid0(VALU_DEP_2) | instskip(NEXT) | instid1(VALU_DEP_1)
	v_lshlrev_b32_e32 v148, 21, v148
	v_or3_b32 v148, v146, v165, v148
.LBB4_6614:                             ;   in Loop: Header=BB4_6169 Depth=3
	s_or_b32 exec_lo, exec_lo, s15
	v_lshrrev_b32_e32 v146, 24, v11
	s_mov_b32 s14, 0
	s_mov_b32 s34, exec_lo
                                        ; implicit-def: $sgpr15
	s_delay_alu instid0(VALU_DEP_1)
	v_cmpx_lt_i16_e64 0x7f, v146
	s_xor_b32 s34, exec_lo, s34
	s_cbranch_execnz .LBB4_6817
; %bb.6615:                             ;   in Loop: Header=BB4_6169 Depth=3
	s_or_saveexec_b32 s34, s34
	v_mov_b32_e32 v165, s15
	s_xor_b32 exec_lo, exec_lo, s34
	s_cbranch_execnz .LBB4_6820
.LBB4_6616:                             ;   in Loop: Header=BB4_6169 Depth=3
	s_or_b32 exec_lo, exec_lo, s34
	s_and_saveexec_b32 s15, s14
	s_cbranch_execz .LBB4_6618
.LBB4_6617:                             ;   in Loop: Header=BB4_6169 Depth=3
	v_bfe_u32 v165, v11, 24, 2
	s_delay_alu instid0(VALU_DEP_1) | instskip(NEXT) | instid1(VALU_DEP_1)
	v_clz_i32_u32_e32 v166, v165
	v_min_u32_e32 v166, 32, v166
	s_delay_alu instid0(VALU_DEP_1) | instskip(SKIP_1) | instid1(VALU_DEP_2)
	v_subrev_nc_u32_e32 v167, 29, v166
	v_sub_nc_u32_e32 v166, 30, v166
	v_lshlrev_b32_e32 v146, v167, v146
	v_bfe_u32 v167, v11, 26, 5
	v_and_b32_e32 v11, 0x80000000, v11
	s_delay_alu instid0(VALU_DEP_3) | instskip(NEXT) | instid1(VALU_DEP_3)
	v_and_b32_e32 v146, 3, v146
	v_cmp_eq_u32_e32 vcc_lo, 0, v167
	v_cndmask_b32_e32 v166, v167, v166, vcc_lo
	s_delay_alu instid0(VALU_DEP_3) | instskip(NEXT) | instid1(VALU_DEP_2)
	v_cndmask_b32_e32 v146, v165, v146, vcc_lo
	v_lshl_add_u32 v165, v166, 23, 0x37800000
	s_delay_alu instid0(VALU_DEP_2) | instskip(NEXT) | instid1(VALU_DEP_1)
	v_lshlrev_b32_e32 v146, 21, v146
	v_or3_b32 v165, v11, v165, v146
.LBB4_6618:                             ;   in Loop: Header=BB4_6169 Depth=3
	s_or_b32 exec_lo, exec_lo, s15
	s_delay_alu instid0(VALU_DEP_1) | instskip(NEXT) | instid1(VALU_DEP_1)
	v_add_f32_e32 v11, v148, v165
	v_and_b32_e32 v146, 0x7f800000, v11
	s_delay_alu instid0(VALU_DEP_1)
	v_cmp_ne_u32_e32 vcc_lo, 0x7f800000, v146
	v_mov_b32_e32 v146, 0x8000
	s_and_saveexec_b32 s15, vcc_lo
	s_cbranch_execz .LBB4_6626
; %bb.6619:                             ;   in Loop: Header=BB4_6169 Depth=3
	v_mov_b32_e32 v146, 0
	s_mov_b32 s34, exec_lo
	v_cmpx_ne_u32_e32 0, v11
	s_cbranch_execz .LBB4_6625
; %bb.6620:                             ;   in Loop: Header=BB4_6169 Depth=3
	v_bfe_u32 v146, v11, 23, 8
	s_delay_alu instid0(VALU_DEP_1) | instskip(SKIP_1) | instid1(VALU_DEP_2)
	v_sub_nc_u32_e32 v165, 0x70, v146
	v_cmp_gt_u32_e32 vcc_lo, 0x71, v146
	v_dual_cndmask_b32 v165, 0, v165 :: v_dual_and_b32 v148, 0x7fffff, v11
	s_delay_alu instid0(VALU_DEP_1) | instskip(SKIP_2) | instid1(VALU_DEP_4)
	v_or_b32_e32 v166, 0x800000, v148
	v_cmp_eq_u32_e32 vcc_lo, 0, v146
	v_add_nc_u32_e32 v146, 0xffffff91, v146
	v_cndmask_b32_e64 v165, v165, 0x6f, vcc_lo
	s_delay_alu instid0(VALU_DEP_2) | instskip(SKIP_1) | instid1(VALU_DEP_3)
	v_cndmask_b32_e64 v146, v146, 0xffffff92, vcc_lo
	v_cndmask_b32_e32 v148, v166, v148, vcc_lo
	v_lshl_add_u32 v166, 0x200000, v165, -1
	v_lshlrev_b32_e64 v177, v165, 0x100000
	s_delay_alu instid0(VALU_DEP_3) | instskip(SKIP_1) | instid1(VALU_DEP_4)
	v_lshrrev_b32_e32 v167, v165, v148
	v_add_nc_u32_e32 v165, v165, v146
	v_and_b32_e32 v148, v166, v148
	s_delay_alu instid0(VALU_DEP_3) | instskip(NEXT) | instid1(VALU_DEP_2)
	v_bfe_u32 v176, v167, 21, 1
	v_cmp_eq_u32_e64 s14, v148, v177
	s_delay_alu instid0(VALU_DEP_2) | instskip(NEXT) | instid1(VALU_DEP_1)
	v_add_nc_u32_e32 v166, -1, v176
	v_cndmask_b32_e64 v148, 0, v166, s14
	v_lshrrev_b32_e32 v166, 23, v167
	s_mov_b32 s14, exec_lo
	s_delay_alu instid0(VALU_DEP_2) | instskip(NEXT) | instid1(VALU_DEP_2)
	v_add_nc_u32_e32 v148, v148, v167
	v_xor_b32_e32 v166, 1, v166
	s_delay_alu instid0(VALU_DEP_2) | instskip(NEXT) | instid1(VALU_DEP_1)
	v_and_b32_e32 v146, 0x1fffff, v148
	v_add_nc_u32_e32 v148, v146, v167
                                        ; implicit-def: $vgpr146
	s_delay_alu instid0(VALU_DEP_3)
	v_cmpx_ne_u32_e64 v165, v166
	s_xor_b32 s14, exec_lo, s14
; %bb.6621:                             ;   in Loop: Header=BB4_6169 Depth=3
	s_delay_alu instid0(VALU_DEP_2) | instskip(SKIP_2) | instid1(VALU_DEP_2)
	v_cmp_lt_u32_e32 vcc_lo, 0xffffff, v148
	v_sub_nc_u32_e32 v146, v165, v166
	v_cndmask_b32_e64 v165, 0, 1, vcc_lo
	v_add_co_ci_u32_e32 v146, vcc_lo, 0, v146, vcc_lo
	s_delay_alu instid0(VALU_DEP_2)
	v_lshrrev_b32_e32 v148, v165, v148
; %bb.6622:                             ;   in Loop: Header=BB4_6169 Depth=3
	s_and_not1_saveexec_b32 s14, s14
; %bb.6623:                             ;   in Loop: Header=BB4_6169 Depth=3
	s_delay_alu instid0(VALU_DEP_1)
	v_bfe_u32 v146, v148, 23, 1
; %bb.6624:                             ;   in Loop: Header=BB4_6169 Depth=3
	s_or_b32 exec_lo, exec_lo, s14
	v_lshrrev_b32_e32 v148, 21, v148
	s_delay_alu instid0(VALU_DEP_2) | instskip(SKIP_2) | instid1(VALU_DEP_2)
	v_cmp_gt_i32_e32 vcc_lo, 32, v146
	v_min_i32_e32 v165, 31, v146
	v_lshrrev_b32_e32 v11, 24, v11
	v_dual_cndmask_b32 v148, 3, v148 :: v_dual_lshlrev_b32 v165, 2, v165
	s_delay_alu instid0(VALU_DEP_2) | instskip(NEXT) | instid1(VALU_DEP_2)
	v_and_b32_e32 v11, 0x80, v11
	v_or_b32_e32 v146, v146, v148
	v_and_b32_e32 v166, 3, v148
	s_delay_alu instid0(VALU_DEP_2) | instskip(SKIP_1) | instid1(VALU_DEP_1)
	v_cmp_ne_u32_e32 vcc_lo, 0, v146
	v_and_b32_e32 v165, 0xfc, v165
	v_or3_b32 v11, v11, v165, v166
	s_delay_alu instid0(VALU_DEP_1) | instskip(NEXT) | instid1(VALU_DEP_1)
	v_lshlrev_b32_e32 v11, 8, v11
	v_cndmask_b32_e32 v146, 0, v11, vcc_lo
.LBB4_6625:                             ;   in Loop: Header=BB4_6169 Depth=3
	s_or_b32 exec_lo, exec_lo, s34
.LBB4_6626:                             ;   in Loop: Header=BB4_6169 Depth=3
	s_delay_alu instid0(SALU_CYCLE_1)
	s_or_b32 exec_lo, exec_lo, s15
	v_or_b32_e32 v9, v9, v162
	v_and_b32_e32 v11, 0xff, v161
	v_lshlrev_b32_e32 v147, 8, v147
	v_and_b32_e32 v149, 0xff, v149
	v_lshlrev_b32_e32 v150, 8, v150
	v_or_b32_e32 v144, v146, v144
	v_and_b32_e32 v148, 0xff, v163
	v_lshlrev_b32_e32 v8, 24, v8
	v_lshlrev_b32_e32 v9, 16, v9
	;; [unrolled: 1-line block ×3, first 2 shown]
	v_perm_b32 v135, v147, v135, 0xc0c0500
	v_lshlrev_b32_e32 v10, 24, v10
	v_lshlrev_b32_e32 v146, 16, v149
	v_perm_b32 v147, v150, v160, 0xc0c0500
	v_and_b32_e32 v145, 0xff, v145
	v_lshlrev_b32_e32 v144, 16, v144
	v_or3_b32 v9, v164, v148, v9
	v_or3_b32 v8, v8, v11, v135
	;; [unrolled: 1-line block ×3, first 2 shown]
	s_mov_b64 s[14:15], 0
	v_or3_b32 v11, v151, v145, v144
	s_mov_b32 s34, -1
.LBB4_6627:                             ;   Parent Loop BB4_51 Depth=1
                                        ;     Parent Loop BB4_4786 Depth=2
                                        ;       Parent Loop BB4_6169 Depth=3
                                        ; =>      This Inner Loop Header: Depth=4
	s_cmp_eq_u32 s14, 0
	v_cndmask_b32_e64 v135, 0, 1, s34
	s_cselect_b32 vcc_lo, -1, 0
	s_cmp_eq_u32 s14, 1
	s_mov_b32 s34, 0
	s_cselect_b32 s14, -1, 0
	s_delay_alu instid0(SALU_CYCLE_1) | instskip(SKIP_1) | instid1(VALU_DEP_2)
	v_cndmask_b32_e64 v144, v12, v14, s14
	v_cndmask_b32_e64 v145, v13, v15, s14
	v_add_co_u32 v146, s15, 0x200, v144
	s_delay_alu instid0(VALU_DEP_1) | instskip(SKIP_1) | instid1(VALU_DEP_3)
	v_add_co_ci_u32_e64 v147, s15, 0, v145, s15
	v_cmp_ne_u32_e64 s15, 1, v135
	v_cndmask_b32_e64 v14, v14, v146, s14
	v_cndmask_b32_e32 v12, v12, v146, vcc_lo
	s_delay_alu instid0(VALU_DEP_4)
	v_cndmask_b32_e64 v15, v15, v147, s14
	v_cndmask_b32_e32 v13, v13, v147, vcc_lo
	s_and_b32 vcc_lo, exec_lo, s15
	s_mov_b64 s[14:15], 1
	global_store_b128 v[144:145], v[8:11], off glc slc dlc
	s_cbranch_vccz .LBB4_6627
; %bb.6628:                             ;   in Loop: Header=BB4_6169 Depth=3
	v_add_co_u32 v53, vcc_lo, v53, v101
	v_add_co_ci_u32_e32 v54, vcc_lo, v54, v102, vcc_lo
	v_add_co_u32 v64, vcc_lo, v64, v101
	v_sub_nc_u32_e32 v67, v67, v85
	v_add_co_ci_u32_e32 v65, vcc_lo, v65, v102, vcc_lo
	v_add_co_u32 v12, vcc_lo, v12, v87
	v_add_co_ci_u32_e32 v13, vcc_lo, v13, v99, vcc_lo
	s_delay_alu instid0(VALU_DEP_4) | instskip(SKIP_1) | instid1(VALU_DEP_1)
	v_cmp_gt_i32_e32 vcc_lo, 16, v67
	v_add_co_u32 v14, s14, v14, v87
	v_add_co_ci_u32_e64 v15, s14, v15, v99, s14
	v_sub_nc_u32_e32 v133, v133, v81
	s_or_b32 s30, vcc_lo, s30
	s_delay_alu instid0(SALU_CYCLE_1)
	s_and_not1_b32 exec_lo, exec_lo, s30
	s_cbranch_execnz .LBB4_6169
	s_branch .LBB4_6821
.LBB4_6629:                             ;   in Loop: Header=BB4_6169 Depth=3
	s_mov_b32 s14, -1
	s_mov_b32 s36, exec_lo
                                        ; implicit-def: $sgpr34
	v_cmpx_eq_u16_e64 0x80, v144
; %bb.6630:                             ;   in Loop: Header=BB4_6169 Depth=3
	s_mov_b32 s34, 0x7f800001
	s_xor_b32 s14, exec_lo, -1
; %bb.6631:                             ;   in Loop: Header=BB4_6169 Depth=3
	s_or_b32 exec_lo, exec_lo, s36
	s_delay_alu instid0(SALU_CYCLE_1)
	s_and_b32 s14, s14, exec_lo
                                        ; implicit-def: $vgpr144
	s_or_saveexec_b32 s35, s35
	v_mov_b32_e32 v135, s34
	s_xor_b32 exec_lo, exec_lo, s35
	s_cbranch_execz .LBB4_6180
.LBB4_6632:                             ;   in Loop: Header=BB4_6169 Depth=3
	v_cmp_ne_u16_e64 vcc_lo, 0, v144
	v_mov_b32_e32 v135, 0
	s_and_not1_b32 s14, s14, exec_lo
	s_delay_alu instid0(VALU_DEP_2) | instskip(NEXT) | instid1(SALU_CYCLE_1)
	s_and_b32 vcc_lo, vcc_lo, exec_lo
	s_or_b32 s14, s14, vcc_lo
	s_or_b32 exec_lo, exec_lo, s35
	s_and_saveexec_b32 s34, s14
	s_cbranch_execnz .LBB4_6181
	s_branch .LBB4_6182
.LBB4_6633:                             ;   in Loop: Header=BB4_6169 Depth=3
	s_mov_b32 s14, -1
	s_mov_b32 s36, exec_lo
                                        ; implicit-def: $sgpr34
	v_cmpx_eq_u16_e64 0x80, v144
; %bb.6634:                             ;   in Loop: Header=BB4_6169 Depth=3
	s_mov_b32 s34, 0x7f800001
	s_xor_b32 s14, exec_lo, -1
; %bb.6635:                             ;   in Loop: Header=BB4_6169 Depth=3
	s_or_b32 exec_lo, exec_lo, s36
	s_delay_alu instid0(SALU_CYCLE_1)
	s_and_b32 s14, s14, exec_lo
	s_or_saveexec_b32 s35, s35
	v_mov_b32_e32 v145, s34
	s_xor_b32 exec_lo, exec_lo, s35
	s_cbranch_execz .LBB4_6192
.LBB4_6636:                             ;   in Loop: Header=BB4_6169 Depth=3
	v_cmp_ne_u16_e64 vcc_lo, 0, v144
	v_mov_b32_e32 v145, 0
	s_and_not1_b32 s14, s14, exec_lo
	s_delay_alu instid0(VALU_DEP_2) | instskip(NEXT) | instid1(SALU_CYCLE_1)
	s_and_b32 vcc_lo, vcc_lo, exec_lo
	s_or_b32 s14, s14, vcc_lo
	s_or_b32 exec_lo, exec_lo, s35
	s_and_saveexec_b32 s34, s14
	s_cbranch_execnz .LBB4_6193
	s_branch .LBB4_6194
.LBB4_6637:                             ;   in Loop: Header=BB4_6169 Depth=3
	s_mov_b32 s14, -1
	s_mov_b32 s36, exec_lo
                                        ; implicit-def: $sgpr34
	v_cmpx_eq_u16_e64 0x80, v146
; %bb.6638:                             ;   in Loop: Header=BB4_6169 Depth=3
	s_mov_b32 s34, 0x7f800001
	s_xor_b32 s14, exec_lo, -1
; %bb.6639:                             ;   in Loop: Header=BB4_6169 Depth=3
	s_or_b32 exec_lo, exec_lo, s36
	s_delay_alu instid0(SALU_CYCLE_1)
	s_and_b32 s14, s14, exec_lo
                                        ; implicit-def: $vgpr146
	s_or_saveexec_b32 s35, s35
	v_mov_b32_e32 v145, s34
	s_xor_b32 exec_lo, exec_lo, s35
	s_cbranch_execz .LBB4_6204
.LBB4_6640:                             ;   in Loop: Header=BB4_6169 Depth=3
	v_cmp_ne_u16_e64 vcc_lo, 0, v146
	v_mov_b32_e32 v145, 0
	s_and_not1_b32 s14, s14, exec_lo
	s_delay_alu instid0(VALU_DEP_2) | instskip(NEXT) | instid1(SALU_CYCLE_1)
	s_and_b32 vcc_lo, vcc_lo, exec_lo
	s_or_b32 s14, s14, vcc_lo
	s_or_b32 exec_lo, exec_lo, s35
	s_and_saveexec_b32 s34, s14
	s_cbranch_execnz .LBB4_6205
	s_branch .LBB4_6206
.LBB4_6641:                             ;   in Loop: Header=BB4_6169 Depth=3
	s_mov_b32 s14, -1
	s_mov_b32 s36, exec_lo
                                        ; implicit-def: $sgpr34
	v_cmpx_eq_u16_e64 0x80, v144
; %bb.6642:                             ;   in Loop: Header=BB4_6169 Depth=3
	s_mov_b32 s34, 0x7f800001
	s_xor_b32 s14, exec_lo, -1
; %bb.6643:                             ;   in Loop: Header=BB4_6169 Depth=3
	s_or_b32 exec_lo, exec_lo, s36
	s_delay_alu instid0(SALU_CYCLE_1)
	s_and_b32 s14, s14, exec_lo
	s_or_saveexec_b32 s35, s35
	v_mov_b32_e32 v145, s34
	s_xor_b32 exec_lo, exec_lo, s35
	s_cbranch_execz .LBB4_6216
.LBB4_6644:                             ;   in Loop: Header=BB4_6169 Depth=3
	v_cmp_ne_u16_e64 vcc_lo, 0, v144
	v_mov_b32_e32 v145, 0
	s_and_not1_b32 s14, s14, exec_lo
	s_delay_alu instid0(VALU_DEP_2) | instskip(NEXT) | instid1(SALU_CYCLE_1)
	s_and_b32 vcc_lo, vcc_lo, exec_lo
	s_or_b32 s14, s14, vcc_lo
	s_or_b32 exec_lo, exec_lo, s35
	s_and_saveexec_b32 s34, s14
	s_cbranch_execnz .LBB4_6217
	s_branch .LBB4_6218
.LBB4_6645:                             ;   in Loop: Header=BB4_6169 Depth=3
	s_mov_b32 s14, -1
	s_mov_b32 s36, exec_lo
                                        ; implicit-def: $sgpr34
	v_cmpx_eq_u16_e64 0x80, v144
; %bb.6646:                             ;   in Loop: Header=BB4_6169 Depth=3
	s_mov_b32 s34, 0x7f800001
	s_xor_b32 s14, exec_lo, -1
; %bb.6647:                             ;   in Loop: Header=BB4_6169 Depth=3
	s_or_b32 exec_lo, exec_lo, s36
	s_delay_alu instid0(SALU_CYCLE_1)
	s_and_b32 s14, s14, exec_lo
                                        ; implicit-def: $vgpr144
	s_or_saveexec_b32 s35, s35
	v_mov_b32_e32 v8, s34
	s_xor_b32 exec_lo, exec_lo, s35
	s_cbranch_execz .LBB4_6228
.LBB4_6648:                             ;   in Loop: Header=BB4_6169 Depth=3
	v_cmp_ne_u16_e64 vcc_lo, 0, v144
	v_mov_b32_e32 v8, 0
	s_and_not1_b32 s14, s14, exec_lo
	s_delay_alu instid0(VALU_DEP_2) | instskip(NEXT) | instid1(SALU_CYCLE_1)
	s_and_b32 vcc_lo, vcc_lo, exec_lo
	s_or_b32 s14, s14, vcc_lo
	s_or_b32 exec_lo, exec_lo, s35
	s_and_saveexec_b32 s34, s14
	s_cbranch_execnz .LBB4_6229
	s_branch .LBB4_6230
.LBB4_6649:                             ;   in Loop: Header=BB4_6169 Depth=3
	s_mov_b32 s14, -1
	s_mov_b32 s36, exec_lo
                                        ; implicit-def: $sgpr34
	v_cmpx_eq_u16_e32 0x80, v8
; %bb.6650:                             ;   in Loop: Header=BB4_6169 Depth=3
	s_mov_b32 s34, 0x7f800001
	s_xor_b32 s14, exec_lo, -1
; %bb.6651:                             ;   in Loop: Header=BB4_6169 Depth=3
	s_or_b32 exec_lo, exec_lo, s36
	s_delay_alu instid0(SALU_CYCLE_1)
	s_and_b32 s14, s14, exec_lo
	s_or_saveexec_b32 s35, s35
	v_mov_b32_e32 v144, s34
	s_xor_b32 exec_lo, exec_lo, s35
	s_cbranch_execz .LBB4_6240
.LBB4_6652:                             ;   in Loop: Header=BB4_6169 Depth=3
	v_cmp_ne_u16_e32 vcc_lo, 0, v8
	v_mov_b32_e32 v144, 0
	s_and_not1_b32 s14, s14, exec_lo
	s_and_b32 vcc_lo, vcc_lo, exec_lo
	s_delay_alu instid0(SALU_CYCLE_1)
	s_or_b32 s14, s14, vcc_lo
	s_or_b32 exec_lo, exec_lo, s35
	s_and_saveexec_b32 s34, s14
	s_cbranch_execnz .LBB4_6241
	s_branch .LBB4_6242
.LBB4_6653:                             ;   in Loop: Header=BB4_6169 Depth=3
	s_mov_b32 s14, -1
	s_mov_b32 s36, exec_lo
                                        ; implicit-def: $sgpr34
	v_cmpx_eq_u16_e64 0x80, v145
; %bb.6654:                             ;   in Loop: Header=BB4_6169 Depth=3
	s_mov_b32 s34, 0x7f800001
	s_xor_b32 s14, exec_lo, -1
; %bb.6655:                             ;   in Loop: Header=BB4_6169 Depth=3
	s_or_b32 exec_lo, exec_lo, s36
	s_delay_alu instid0(SALU_CYCLE_1)
	s_and_b32 s14, s14, exec_lo
                                        ; implicit-def: $vgpr145
	s_or_saveexec_b32 s35, s35
	v_mov_b32_e32 v144, s34
	s_xor_b32 exec_lo, exec_lo, s35
	s_cbranch_execz .LBB4_6252
.LBB4_6656:                             ;   in Loop: Header=BB4_6169 Depth=3
	v_cmp_ne_u16_e64 vcc_lo, 0, v145
	v_mov_b32_e32 v144, 0
	s_and_not1_b32 s14, s14, exec_lo
	s_delay_alu instid0(VALU_DEP_2) | instskip(NEXT) | instid1(SALU_CYCLE_1)
	s_and_b32 vcc_lo, vcc_lo, exec_lo
	s_or_b32 s14, s14, vcc_lo
	s_or_b32 exec_lo, exec_lo, s35
	s_and_saveexec_b32 s34, s14
	s_cbranch_execnz .LBB4_6253
	s_branch .LBB4_6254
.LBB4_6657:                             ;   in Loop: Header=BB4_6169 Depth=3
	s_mov_b32 s14, -1
	s_mov_b32 s36, exec_lo
                                        ; implicit-def: $sgpr34
	v_cmpx_eq_u16_e32 0x80, v8
; %bb.6658:                             ;   in Loop: Header=BB4_6169 Depth=3
	s_mov_b32 s34, 0x7f800001
	s_xor_b32 s14, exec_lo, -1
; %bb.6659:                             ;   in Loop: Header=BB4_6169 Depth=3
	s_or_b32 exec_lo, exec_lo, s36
	s_delay_alu instid0(SALU_CYCLE_1)
	s_and_b32 s14, s14, exec_lo
	s_or_saveexec_b32 s35, s35
	v_mov_b32_e32 v144, s34
	s_xor_b32 exec_lo, exec_lo, s35
	s_cbranch_execz .LBB4_6264
.LBB4_6660:                             ;   in Loop: Header=BB4_6169 Depth=3
	v_cmp_ne_u16_e32 vcc_lo, 0, v8
	v_mov_b32_e32 v144, 0
	s_and_not1_b32 s14, s14, exec_lo
	s_and_b32 vcc_lo, vcc_lo, exec_lo
	s_delay_alu instid0(SALU_CYCLE_1)
	s_or_b32 s14, s14, vcc_lo
	s_or_b32 exec_lo, exec_lo, s35
	s_and_saveexec_b32 s34, s14
	s_cbranch_execnz .LBB4_6265
	s_branch .LBB4_6266
.LBB4_6661:                             ;   in Loop: Header=BB4_6169 Depth=3
	s_mov_b32 s14, -1
	s_mov_b32 s36, exec_lo
                                        ; implicit-def: $sgpr34
	v_cmpx_eq_u16_e32 0x80, v9
; %bb.6662:                             ;   in Loop: Header=BB4_6169 Depth=3
	s_mov_b32 s34, 0x7f800001
	s_xor_b32 s14, exec_lo, -1
; %bb.6663:                             ;   in Loop: Header=BB4_6169 Depth=3
	s_or_b32 exec_lo, exec_lo, s36
	s_delay_alu instid0(SALU_CYCLE_1)
	s_and_b32 s14, s14, exec_lo
                                        ; implicit-def: $vgpr9
	s_or_saveexec_b32 s35, s35
	v_mov_b32_e32 v8, s34
	s_xor_b32 exec_lo, exec_lo, s35
	s_cbranch_execz .LBB4_6276
.LBB4_6664:                             ;   in Loop: Header=BB4_6169 Depth=3
	v_cmp_ne_u16_e32 vcc_lo, 0, v9
	v_mov_b32_e32 v8, 0
	s_and_not1_b32 s14, s14, exec_lo
	s_and_b32 vcc_lo, vcc_lo, exec_lo
	s_delay_alu instid0(SALU_CYCLE_1)
	s_or_b32 s14, s14, vcc_lo
	s_or_b32 exec_lo, exec_lo, s35
	s_and_saveexec_b32 s34, s14
	s_cbranch_execnz .LBB4_6277
	s_branch .LBB4_6278
.LBB4_6665:                             ;   in Loop: Header=BB4_6169 Depth=3
	s_mov_b32 s14, -1
	s_mov_b32 s36, exec_lo
                                        ; implicit-def: $sgpr34
	v_cmpx_eq_u16_e32 0x80, v8
; %bb.6666:                             ;   in Loop: Header=BB4_6169 Depth=3
	s_mov_b32 s34, 0x7f800001
	s_xor_b32 s14, exec_lo, -1
; %bb.6667:                             ;   in Loop: Header=BB4_6169 Depth=3
	s_or_b32 exec_lo, exec_lo, s36
	s_delay_alu instid0(SALU_CYCLE_1)
	s_and_b32 s14, s14, exec_lo
	s_or_saveexec_b32 s35, s35
	v_mov_b32_e32 v9, s34
	s_xor_b32 exec_lo, exec_lo, s35
	s_cbranch_execz .LBB4_6288
.LBB4_6668:                             ;   in Loop: Header=BB4_6169 Depth=3
	v_cmp_ne_u16_e32 vcc_lo, 0, v8
	v_mov_b32_e32 v9, 0
	s_and_not1_b32 s14, s14, exec_lo
	s_and_b32 vcc_lo, vcc_lo, exec_lo
	s_delay_alu instid0(SALU_CYCLE_1)
	s_or_b32 s14, s14, vcc_lo
	s_or_b32 exec_lo, exec_lo, s35
	s_and_saveexec_b32 s34, s14
	s_cbranch_execnz .LBB4_6289
	s_branch .LBB4_6290
.LBB4_6669:                             ;   in Loop: Header=BB4_6169 Depth=3
	s_mov_b32 s14, -1
	s_mov_b32 s36, exec_lo
                                        ; implicit-def: $sgpr34
	v_cmpx_eq_u16_e64 0x80, v144
; %bb.6670:                             ;   in Loop: Header=BB4_6169 Depth=3
	s_mov_b32 s34, 0x7f800001
	s_xor_b32 s14, exec_lo, -1
; %bb.6671:                             ;   in Loop: Header=BB4_6169 Depth=3
	s_or_b32 exec_lo, exec_lo, s36
	s_delay_alu instid0(SALU_CYCLE_1)
	s_and_b32 s14, s14, exec_lo
                                        ; implicit-def: $vgpr144
	s_or_saveexec_b32 s35, s35
	v_mov_b32_e32 v9, s34
	s_xor_b32 exec_lo, exec_lo, s35
	s_cbranch_execz .LBB4_6300
.LBB4_6672:                             ;   in Loop: Header=BB4_6169 Depth=3
	v_cmp_ne_u16_e64 vcc_lo, 0, v144
	v_mov_b32_e32 v9, 0
	s_and_not1_b32 s14, s14, exec_lo
	s_delay_alu instid0(VALU_DEP_2) | instskip(NEXT) | instid1(SALU_CYCLE_1)
	s_and_b32 vcc_lo, vcc_lo, exec_lo
	s_or_b32 s14, s14, vcc_lo
	s_or_b32 exec_lo, exec_lo, s35
	s_and_saveexec_b32 s34, s14
	s_cbranch_execnz .LBB4_6301
	s_branch .LBB4_6302
.LBB4_6673:                             ;   in Loop: Header=BB4_6169 Depth=3
	s_mov_b32 s14, -1
	s_mov_b32 s36, exec_lo
                                        ; implicit-def: $sgpr34
	v_cmpx_eq_u16_e32 0x80, v8
; %bb.6674:                             ;   in Loop: Header=BB4_6169 Depth=3
	s_mov_b32 s34, 0x7f800001
	s_xor_b32 s14, exec_lo, -1
; %bb.6675:                             ;   in Loop: Header=BB4_6169 Depth=3
	s_or_b32 exec_lo, exec_lo, s36
	s_delay_alu instid0(SALU_CYCLE_1)
	s_and_b32 s14, s14, exec_lo
	s_or_saveexec_b32 s35, s35
	v_mov_b32_e32 v9, s34
	s_xor_b32 exec_lo, exec_lo, s35
	s_cbranch_execz .LBB4_6312
.LBB4_6676:                             ;   in Loop: Header=BB4_6169 Depth=3
	v_cmp_ne_u16_e32 vcc_lo, 0, v8
	v_mov_b32_e32 v9, 0
	s_and_not1_b32 s14, s14, exec_lo
	s_and_b32 vcc_lo, vcc_lo, exec_lo
	s_delay_alu instid0(SALU_CYCLE_1)
	s_or_b32 s14, s14, vcc_lo
	s_or_b32 exec_lo, exec_lo, s35
	s_and_saveexec_b32 s34, s14
	s_cbranch_execnz .LBB4_6313
	s_branch .LBB4_6314
.LBB4_6677:                             ;   in Loop: Header=BB4_6169 Depth=3
	s_mov_b32 s14, -1
	s_mov_b32 s36, exec_lo
                                        ; implicit-def: $sgpr34
	v_cmpx_eq_u16_e32 0x80, v9
; %bb.6678:                             ;   in Loop: Header=BB4_6169 Depth=3
	s_mov_b32 s34, 0x7f800001
	s_xor_b32 s14, exec_lo, -1
; %bb.6679:                             ;   in Loop: Header=BB4_6169 Depth=3
	s_or_b32 exec_lo, exec_lo, s36
	s_delay_alu instid0(SALU_CYCLE_1)
	s_and_b32 s14, s14, exec_lo
                                        ; implicit-def: $vgpr9
	s_or_saveexec_b32 s35, s35
	v_mov_b32_e32 v8, s34
	s_xor_b32 exec_lo, exec_lo, s35
	s_cbranch_execz .LBB4_6324
.LBB4_6680:                             ;   in Loop: Header=BB4_6169 Depth=3
	v_cmp_ne_u16_e32 vcc_lo, 0, v9
	v_mov_b32_e32 v8, 0
	s_and_not1_b32 s14, s14, exec_lo
	s_and_b32 vcc_lo, vcc_lo, exec_lo
	s_delay_alu instid0(SALU_CYCLE_1)
	s_or_b32 s14, s14, vcc_lo
	s_or_b32 exec_lo, exec_lo, s35
	s_and_saveexec_b32 s34, s14
	s_cbranch_execnz .LBB4_6325
	s_branch .LBB4_6326
.LBB4_6681:                             ;   in Loop: Header=BB4_6169 Depth=3
	s_mov_b32 s14, -1
	s_mov_b32 s36, exec_lo
                                        ; implicit-def: $sgpr34
	v_cmpx_eq_u16_e32 0x80, v8
; %bb.6682:                             ;   in Loop: Header=BB4_6169 Depth=3
	s_mov_b32 s34, 0x7f800001
	s_xor_b32 s14, exec_lo, -1
; %bb.6683:                             ;   in Loop: Header=BB4_6169 Depth=3
	s_or_b32 exec_lo, exec_lo, s36
	s_delay_alu instid0(SALU_CYCLE_1)
	s_and_b32 s14, s14, exec_lo
	s_or_saveexec_b32 s35, s35
	v_mov_b32_e32 v9, s34
	s_xor_b32 exec_lo, exec_lo, s35
	s_cbranch_execz .LBB4_6336
.LBB4_6684:                             ;   in Loop: Header=BB4_6169 Depth=3
	v_cmp_ne_u16_e32 vcc_lo, 0, v8
	v_mov_b32_e32 v9, 0
	s_and_not1_b32 s14, s14, exec_lo
	s_and_b32 vcc_lo, vcc_lo, exec_lo
	s_delay_alu instid0(SALU_CYCLE_1)
	s_or_b32 s14, s14, vcc_lo
	s_or_b32 exec_lo, exec_lo, s35
	s_and_saveexec_b32 s34, s14
	s_cbranch_execnz .LBB4_6337
	s_branch .LBB4_6338
.LBB4_6685:                             ;   in Loop: Header=BB4_6169 Depth=3
	s_mov_b32 s14, -1
	s_mov_b32 s36, exec_lo
                                        ; implicit-def: $sgpr34
	v_cmpx_eq_u16_e32 0x80, v10
; %bb.6686:                             ;   in Loop: Header=BB4_6169 Depth=3
	s_mov_b32 s34, 0x7f800001
	s_xor_b32 s14, exec_lo, -1
; %bb.6687:                             ;   in Loop: Header=BB4_6169 Depth=3
	s_or_b32 exec_lo, exec_lo, s36
	s_delay_alu instid0(SALU_CYCLE_1)
	s_and_b32 s14, s14, exec_lo
                                        ; implicit-def: $vgpr10
	s_or_saveexec_b32 s35, s35
	v_mov_b32_e32 v9, s34
	s_xor_b32 exec_lo, exec_lo, s35
	s_cbranch_execz .LBB4_6348
.LBB4_6688:                             ;   in Loop: Header=BB4_6169 Depth=3
	v_cmp_ne_u16_e32 vcc_lo, 0, v10
	v_mov_b32_e32 v9, 0
	s_and_not1_b32 s14, s14, exec_lo
	s_and_b32 vcc_lo, vcc_lo, exec_lo
	s_delay_alu instid0(SALU_CYCLE_1)
	s_or_b32 s14, s14, vcc_lo
	s_or_b32 exec_lo, exec_lo, s35
	s_and_saveexec_b32 s34, s14
	s_cbranch_execnz .LBB4_6349
	s_branch .LBB4_6350
.LBB4_6689:                             ;   in Loop: Header=BB4_6169 Depth=3
	s_mov_b32 s14, -1
	s_mov_b32 s36, exec_lo
                                        ; implicit-def: $sgpr34
	v_cmpx_eq_u16_e32 0x80, v8
; %bb.6690:                             ;   in Loop: Header=BB4_6169 Depth=3
	s_mov_b32 s34, 0x7f800001
	s_xor_b32 s14, exec_lo, -1
; %bb.6691:                             ;   in Loop: Header=BB4_6169 Depth=3
	s_or_b32 exec_lo, exec_lo, s36
	s_delay_alu instid0(SALU_CYCLE_1)
	s_and_b32 s14, s14, exec_lo
	s_or_saveexec_b32 s35, s35
	v_mov_b32_e32 v9, s34
	s_xor_b32 exec_lo, exec_lo, s35
	s_cbranch_execz .LBB4_6360
.LBB4_6692:                             ;   in Loop: Header=BB4_6169 Depth=3
	v_cmp_ne_u16_e32 vcc_lo, 0, v8
	v_mov_b32_e32 v9, 0
	s_and_not1_b32 s14, s14, exec_lo
	s_and_b32 vcc_lo, vcc_lo, exec_lo
	s_delay_alu instid0(SALU_CYCLE_1)
	s_or_b32 s14, s14, vcc_lo
	s_or_b32 exec_lo, exec_lo, s35
	s_and_saveexec_b32 s34, s14
	s_cbranch_execnz .LBB4_6361
	s_branch .LBB4_6362
.LBB4_6693:                             ;   in Loop: Header=BB4_6169 Depth=3
	s_mov_b32 s14, -1
	s_mov_b32 s35, exec_lo
                                        ; implicit-def: $sgpr15
	v_cmpx_eq_u16_e64 0x80, v176
; %bb.6694:                             ;   in Loop: Header=BB4_6169 Depth=3
	s_mov_b32 s15, 0x7f800001
	s_xor_b32 s14, exec_lo, -1
; %bb.6695:                             ;   in Loop: Header=BB4_6169 Depth=3
	s_or_b32 exec_lo, exec_lo, s35
	s_delay_alu instid0(SALU_CYCLE_1)
	s_and_b32 s14, s14, exec_lo
                                        ; implicit-def: $vgpr176
	s_or_saveexec_b32 s34, s34
	v_mov_b32_e32 v167, s15
	s_xor_b32 exec_lo, exec_lo, s34
	s_cbranch_execz .LBB4_6372
.LBB4_6696:                             ;   in Loop: Header=BB4_6169 Depth=3
	v_cmp_ne_u16_e64 vcc_lo, 0, v176
	v_mov_b32_e32 v167, 0
	s_and_not1_b32 s14, s14, exec_lo
	s_delay_alu instid0(VALU_DEP_2) | instskip(NEXT) | instid1(SALU_CYCLE_1)
	s_and_b32 s15, vcc_lo, exec_lo
	s_or_b32 s14, s14, s15
	s_or_b32 exec_lo, exec_lo, s34
	s_and_saveexec_b32 s15, s14
	s_cbranch_execnz .LBB4_6373
	s_branch .LBB4_6374
.LBB4_6697:                             ;   in Loop: Header=BB4_6169 Depth=3
	s_mov_b32 s14, -1
	s_mov_b32 s35, exec_lo
                                        ; implicit-def: $sgpr15
	v_cmpx_eq_u16_e64 0x80, v176
; %bb.6698:                             ;   in Loop: Header=BB4_6169 Depth=3
	s_mov_b32 s15, 0x7f800001
	s_xor_b32 s14, exec_lo, -1
; %bb.6699:                             ;   in Loop: Header=BB4_6169 Depth=3
	s_or_b32 exec_lo, exec_lo, s35
	s_delay_alu instid0(SALU_CYCLE_1)
	s_and_b32 s14, s14, exec_lo
                                        ; implicit-def: $vgpr176
	s_or_saveexec_b32 s34, s34
	v_mov_b32_e32 v135, s15
	s_xor_b32 exec_lo, exec_lo, s34
	s_cbranch_execz .LBB4_6376
.LBB4_6700:                             ;   in Loop: Header=BB4_6169 Depth=3
	v_cmp_ne_u16_e64 vcc_lo, 0, v176
	v_mov_b32_e32 v135, 0
	s_and_not1_b32 s14, s14, exec_lo
	s_delay_alu instid0(VALU_DEP_2) | instskip(NEXT) | instid1(SALU_CYCLE_1)
	s_and_b32 s15, vcc_lo, exec_lo
	s_or_b32 s14, s14, s15
	s_or_b32 exec_lo, exec_lo, s34
	s_and_saveexec_b32 s15, s14
	s_cbranch_execnz .LBB4_6377
	s_branch .LBB4_6378
.LBB4_6701:                             ;   in Loop: Header=BB4_6169 Depth=3
	s_mov_b32 s14, -1
	s_mov_b32 s35, exec_lo
                                        ; implicit-def: $sgpr15
	v_cmpx_eq_u16_e64 0x80, v176
; %bb.6702:                             ;   in Loop: Header=BB4_6169 Depth=3
	s_mov_b32 s15, 0x7f800001
	s_xor_b32 s14, exec_lo, -1
; %bb.6703:                             ;   in Loop: Header=BB4_6169 Depth=3
	s_or_b32 exec_lo, exec_lo, s35
	s_delay_alu instid0(SALU_CYCLE_1)
	s_and_b32 s14, s14, exec_lo
                                        ; implicit-def: $vgpr176
	s_or_saveexec_b32 s34, s34
	v_mov_b32_e32 v167, s15
	s_xor_b32 exec_lo, exec_lo, s34
	s_cbranch_execz .LBB4_6388
.LBB4_6704:                             ;   in Loop: Header=BB4_6169 Depth=3
	v_cmp_ne_u16_e64 vcc_lo, 0, v176
	v_mov_b32_e32 v167, 0
	s_and_not1_b32 s14, s14, exec_lo
	s_delay_alu instid0(VALU_DEP_2) | instskip(NEXT) | instid1(SALU_CYCLE_1)
	s_and_b32 s15, vcc_lo, exec_lo
	s_or_b32 s14, s14, s15
	s_or_b32 exec_lo, exec_lo, s34
	s_and_saveexec_b32 s15, s14
	s_cbranch_execnz .LBB4_6389
	s_branch .LBB4_6390
.LBB4_6705:                             ;   in Loop: Header=BB4_6169 Depth=3
	s_mov_b32 s14, -1
	s_mov_b32 s35, exec_lo
                                        ; implicit-def: $sgpr15
	v_cmpx_eq_u16_e64 0x80, v147
; %bb.6706:                             ;   in Loop: Header=BB4_6169 Depth=3
	s_mov_b32 s15, 0x7f800001
	s_xor_b32 s14, exec_lo, -1
; %bb.6707:                             ;   in Loop: Header=BB4_6169 Depth=3
	s_or_b32 exec_lo, exec_lo, s35
	s_delay_alu instid0(SALU_CYCLE_1)
	s_and_b32 s14, s14, exec_lo
	s_or_saveexec_b32 s34, s34
	v_mov_b32_e32 v176, s15
	s_xor_b32 exec_lo, exec_lo, s34
	s_cbranch_execz .LBB4_6392
.LBB4_6708:                             ;   in Loop: Header=BB4_6169 Depth=3
	v_cmp_ne_u16_e64 vcc_lo, 0, v147
	v_mov_b32_e32 v176, 0
	s_and_not1_b32 s14, s14, exec_lo
	s_delay_alu instid0(VALU_DEP_2) | instskip(NEXT) | instid1(SALU_CYCLE_1)
	s_and_b32 s15, vcc_lo, exec_lo
	s_or_b32 s14, s14, s15
	s_or_b32 exec_lo, exec_lo, s34
	s_and_saveexec_b32 s15, s14
	s_cbranch_execnz .LBB4_6393
	s_branch .LBB4_6394
.LBB4_6709:                             ;   in Loop: Header=BB4_6169 Depth=3
	s_mov_b32 s14, -1
	s_mov_b32 s35, exec_lo
                                        ; implicit-def: $sgpr15
	v_cmpx_eq_u16_e64 0x80, v176
; %bb.6710:                             ;   in Loop: Header=BB4_6169 Depth=3
	s_mov_b32 s15, 0x7f800001
	s_xor_b32 s14, exec_lo, -1
; %bb.6711:                             ;   in Loop: Header=BB4_6169 Depth=3
	s_or_b32 exec_lo, exec_lo, s35
	s_delay_alu instid0(SALU_CYCLE_1)
	s_and_b32 s14, s14, exec_lo
                                        ; implicit-def: $vgpr176
	s_or_saveexec_b32 s34, s34
	v_mov_b32_e32 v167, s15
	s_xor_b32 exec_lo, exec_lo, s34
	s_cbranch_execz .LBB4_6404
.LBB4_6712:                             ;   in Loop: Header=BB4_6169 Depth=3
	v_cmp_ne_u16_e64 vcc_lo, 0, v176
	v_mov_b32_e32 v167, 0
	s_and_not1_b32 s14, s14, exec_lo
	s_delay_alu instid0(VALU_DEP_2) | instskip(NEXT) | instid1(SALU_CYCLE_1)
	s_and_b32 s15, vcc_lo, exec_lo
	s_or_b32 s14, s14, s15
	s_or_b32 exec_lo, exec_lo, s34
	s_and_saveexec_b32 s15, s14
	s_cbranch_execnz .LBB4_6405
	s_branch .LBB4_6406
.LBB4_6713:                             ;   in Loop: Header=BB4_6169 Depth=3
	s_mov_b32 s14, -1
	s_mov_b32 s35, exec_lo
                                        ; implicit-def: $sgpr15
	v_cmpx_eq_u16_e64 0x80, v177
; %bb.6714:                             ;   in Loop: Header=BB4_6169 Depth=3
	s_mov_b32 s15, 0x7f800001
	s_xor_b32 s14, exec_lo, -1
; %bb.6715:                             ;   in Loop: Header=BB4_6169 Depth=3
	s_or_b32 exec_lo, exec_lo, s35
	s_delay_alu instid0(SALU_CYCLE_1)
	s_and_b32 s14, s14, exec_lo
                                        ; implicit-def: $vgpr177
	s_or_saveexec_b32 s34, s34
	v_mov_b32_e32 v176, s15
	s_xor_b32 exec_lo, exec_lo, s34
	s_cbranch_execz .LBB4_6408
.LBB4_6716:                             ;   in Loop: Header=BB4_6169 Depth=3
	v_cmp_ne_u16_e64 vcc_lo, 0, v177
	v_mov_b32_e32 v176, 0
	s_and_not1_b32 s14, s14, exec_lo
	s_delay_alu instid0(VALU_DEP_2) | instskip(NEXT) | instid1(SALU_CYCLE_1)
	s_and_b32 s15, vcc_lo, exec_lo
	s_or_b32 s14, s14, s15
	s_or_b32 exec_lo, exec_lo, s34
	s_and_saveexec_b32 s15, s14
	s_cbranch_execnz .LBB4_6409
	s_branch .LBB4_6410
.LBB4_6717:                             ;   in Loop: Header=BB4_6169 Depth=3
	s_mov_b32 s14, -1
	s_mov_b32 s35, exec_lo
                                        ; implicit-def: $sgpr15
	v_cmpx_eq_u16_e64 0x80, v176
; %bb.6718:                             ;   in Loop: Header=BB4_6169 Depth=3
	s_mov_b32 s15, 0x7f800001
	s_xor_b32 s14, exec_lo, -1
; %bb.6719:                             ;   in Loop: Header=BB4_6169 Depth=3
	s_or_b32 exec_lo, exec_lo, s35
	s_delay_alu instid0(SALU_CYCLE_1)
	s_and_b32 s14, s14, exec_lo
	s_or_saveexec_b32 s34, s34
	v_mov_b32_e32 v167, s15
	s_xor_b32 exec_lo, exec_lo, s34
	s_cbranch_execz .LBB4_6420
.LBB4_6720:                             ;   in Loop: Header=BB4_6169 Depth=3
	v_cmp_ne_u16_e64 vcc_lo, 0, v176
	v_mov_b32_e32 v167, 0
	s_and_not1_b32 s14, s14, exec_lo
	s_delay_alu instid0(VALU_DEP_2) | instskip(NEXT) | instid1(SALU_CYCLE_1)
	s_and_b32 s15, vcc_lo, exec_lo
	s_or_b32 s14, s14, s15
	s_or_b32 exec_lo, exec_lo, s34
	s_and_saveexec_b32 s15, s14
	s_cbranch_execnz .LBB4_6421
	s_branch .LBB4_6422
.LBB4_6721:                             ;   in Loop: Header=BB4_6169 Depth=3
	s_mov_b32 s14, -1
	s_mov_b32 s35, exec_lo
                                        ; implicit-def: $sgpr15
	v_cmpx_eq_u16_e64 0x80, v164
; %bb.6722:                             ;   in Loop: Header=BB4_6169 Depth=3
	s_mov_b32 s15, 0x7f800001
	s_xor_b32 s14, exec_lo, -1
; %bb.6723:                             ;   in Loop: Header=BB4_6169 Depth=3
	s_or_b32 exec_lo, exec_lo, s35
	s_delay_alu instid0(SALU_CYCLE_1)
	s_and_b32 s14, s14, exec_lo
	s_or_saveexec_b32 s34, s34
	v_mov_b32_e32 v176, s15
	s_xor_b32 exec_lo, exec_lo, s34
	s_cbranch_execz .LBB4_6424
.LBB4_6724:                             ;   in Loop: Header=BB4_6169 Depth=3
	v_cmp_ne_u16_e64 vcc_lo, 0, v164
	v_mov_b32_e32 v176, 0
	s_and_not1_b32 s14, s14, exec_lo
	s_delay_alu instid0(VALU_DEP_2) | instskip(NEXT) | instid1(SALU_CYCLE_1)
	s_and_b32 s15, vcc_lo, exec_lo
	s_or_b32 s14, s14, s15
	s_or_b32 exec_lo, exec_lo, s34
	s_and_saveexec_b32 s15, s14
	s_cbranch_execnz .LBB4_6425
	s_branch .LBB4_6426
.LBB4_6725:                             ;   in Loop: Header=BB4_6169 Depth=3
	s_mov_b32 s14, -1
	s_mov_b32 s35, exec_lo
                                        ; implicit-def: $sgpr15
	v_cmpx_eq_u16_e64 0x80, v164
; %bb.6726:                             ;   in Loop: Header=BB4_6169 Depth=3
	s_mov_b32 s15, 0x7f800001
	s_xor_b32 s14, exec_lo, -1
; %bb.6727:                             ;   in Loop: Header=BB4_6169 Depth=3
	s_or_b32 exec_lo, exec_lo, s35
	s_delay_alu instid0(SALU_CYCLE_1)
	s_and_b32 s14, s14, exec_lo
                                        ; implicit-def: $vgpr164
	s_or_saveexec_b32 s34, s34
	v_mov_b32_e32 v163, s15
	s_xor_b32 exec_lo, exec_lo, s34
	s_cbranch_execz .LBB4_6436
.LBB4_6728:                             ;   in Loop: Header=BB4_6169 Depth=3
	v_cmp_ne_u16_e64 vcc_lo, 0, v164
	v_mov_b32_e32 v163, 0
	s_and_not1_b32 s14, s14, exec_lo
	s_delay_alu instid0(VALU_DEP_2) | instskip(NEXT) | instid1(SALU_CYCLE_1)
	s_and_b32 s15, vcc_lo, exec_lo
	s_or_b32 s14, s14, s15
	s_or_b32 exec_lo, exec_lo, s34
	s_and_saveexec_b32 s15, s14
	s_cbranch_execnz .LBB4_6437
	s_branch .LBB4_6438
.LBB4_6729:                             ;   in Loop: Header=BB4_6169 Depth=3
	s_mov_b32 s14, -1
	s_mov_b32 s35, exec_lo
                                        ; implicit-def: $sgpr15
	v_cmpx_eq_u16_e64 0x80, v167
; %bb.6730:                             ;   in Loop: Header=BB4_6169 Depth=3
	s_mov_b32 s15, 0x7f800001
	s_xor_b32 s14, exec_lo, -1
; %bb.6731:                             ;   in Loop: Header=BB4_6169 Depth=3
	s_or_b32 exec_lo, exec_lo, s35
	s_delay_alu instid0(SALU_CYCLE_1)
	s_and_b32 s14, s14, exec_lo
                                        ; implicit-def: $vgpr167
	s_or_saveexec_b32 s34, s34
	v_mov_b32_e32 v164, s15
	s_xor_b32 exec_lo, exec_lo, s34
	s_cbranch_execz .LBB4_6440
.LBB4_6732:                             ;   in Loop: Header=BB4_6169 Depth=3
	v_cmp_ne_u16_e64 vcc_lo, 0, v167
	v_mov_b32_e32 v164, 0
	s_and_not1_b32 s14, s14, exec_lo
	s_delay_alu instid0(VALU_DEP_2) | instskip(NEXT) | instid1(SALU_CYCLE_1)
	s_and_b32 s15, vcc_lo, exec_lo
	s_or_b32 s14, s14, s15
	s_or_b32 exec_lo, exec_lo, s34
	s_and_saveexec_b32 s15, s14
	s_cbranch_execnz .LBB4_6441
	s_branch .LBB4_6442
.LBB4_6733:                             ;   in Loop: Header=BB4_6169 Depth=3
	s_mov_b32 s14, -1
	s_mov_b32 s35, exec_lo
                                        ; implicit-def: $sgpr15
	v_cmpx_eq_u16_e64 0x80, v167
; %bb.6734:                             ;   in Loop: Header=BB4_6169 Depth=3
	s_mov_b32 s15, 0x7f800001
	s_xor_b32 s14, exec_lo, -1
; %bb.6735:                             ;   in Loop: Header=BB4_6169 Depth=3
	s_or_b32 exec_lo, exec_lo, s35
	s_delay_alu instid0(SALU_CYCLE_1)
	s_and_b32 s14, s14, exec_lo
	s_or_saveexec_b32 s34, s34
	v_mov_b32_e32 v164, s15
	s_xor_b32 exec_lo, exec_lo, s34
	s_cbranch_execz .LBB4_6452
.LBB4_6736:                             ;   in Loop: Header=BB4_6169 Depth=3
	v_cmp_ne_u16_e64 vcc_lo, 0, v167
	v_mov_b32_e32 v164, 0
	s_and_not1_b32 s14, s14, exec_lo
	s_delay_alu instid0(VALU_DEP_2) | instskip(NEXT) | instid1(SALU_CYCLE_1)
	s_and_b32 s15, vcc_lo, exec_lo
	s_or_b32 s14, s14, s15
	s_or_b32 exec_lo, exec_lo, s34
	s_and_saveexec_b32 s15, s14
	s_cbranch_execnz .LBB4_6453
	s_branch .LBB4_6454
.LBB4_6737:                             ;   in Loop: Header=BB4_6169 Depth=3
	s_mov_b32 s14, -1
	s_mov_b32 s35, exec_lo
                                        ; implicit-def: $sgpr15
	v_cmpx_eq_u16_e64 0x80, v167
; %bb.6738:                             ;   in Loop: Header=BB4_6169 Depth=3
	s_mov_b32 s15, 0x7f800001
	s_xor_b32 s14, exec_lo, -1
; %bb.6739:                             ;   in Loop: Header=BB4_6169 Depth=3
	s_or_b32 exec_lo, exec_lo, s35
	s_delay_alu instid0(SALU_CYCLE_1)
	s_and_b32 s14, s14, exec_lo
	s_or_saveexec_b32 s34, s34
	v_mov_b32_e32 v176, s15
	s_xor_b32 exec_lo, exec_lo, s34
	s_cbranch_execz .LBB4_6456
.LBB4_6740:                             ;   in Loop: Header=BB4_6169 Depth=3
	v_cmp_ne_u16_e64 vcc_lo, 0, v167
	v_mov_b32_e32 v176, 0
	s_and_not1_b32 s14, s14, exec_lo
	s_delay_alu instid0(VALU_DEP_2) | instskip(NEXT) | instid1(SALU_CYCLE_1)
	s_and_b32 s15, vcc_lo, exec_lo
	s_or_b32 s14, s14, s15
	s_or_b32 exec_lo, exec_lo, s34
	s_and_saveexec_b32 s15, s14
	s_cbranch_execnz .LBB4_6457
	s_branch .LBB4_6458
.LBB4_6741:                             ;   in Loop: Header=BB4_6169 Depth=3
	s_mov_b32 s14, -1
	s_mov_b32 s35, exec_lo
                                        ; implicit-def: $sgpr15
	v_cmpx_eq_u16_e64 0x80, v167
; %bb.6742:                             ;   in Loop: Header=BB4_6169 Depth=3
	s_mov_b32 s15, 0x7f800001
	s_xor_b32 s14, exec_lo, -1
; %bb.6743:                             ;   in Loop: Header=BB4_6169 Depth=3
	s_or_b32 exec_lo, exec_lo, s35
	s_delay_alu instid0(SALU_CYCLE_1)
	s_and_b32 s14, s14, exec_lo
                                        ; implicit-def: $vgpr167
	s_or_saveexec_b32 s34, s34
	v_mov_b32_e32 v162, s15
	s_xor_b32 exec_lo, exec_lo, s34
	s_cbranch_execz .LBB4_6468
.LBB4_6744:                             ;   in Loop: Header=BB4_6169 Depth=3
	v_cmp_ne_u16_e64 vcc_lo, 0, v167
	v_mov_b32_e32 v162, 0
	s_and_not1_b32 s14, s14, exec_lo
	s_delay_alu instid0(VALU_DEP_2) | instskip(NEXT) | instid1(SALU_CYCLE_1)
	s_and_b32 s15, vcc_lo, exec_lo
	s_or_b32 s14, s14, s15
	s_or_b32 exec_lo, exec_lo, s34
	v_lshl_or_b32 v165, v165, 16, v166
	s_and_saveexec_b32 s15, s14
	s_cbranch_execnz .LBB4_6469
	s_branch .LBB4_6470
.LBB4_6745:                             ;   in Loop: Header=BB4_6169 Depth=3
	s_mov_b32 s14, -1
	s_mov_b32 s35, exec_lo
                                        ; implicit-def: $sgpr15
	v_cmpx_eq_u16_e64 0x80, v176
; %bb.6746:                             ;   in Loop: Header=BB4_6169 Depth=3
	s_mov_b32 s15, 0x7f800001
	s_xor_b32 s14, exec_lo, -1
; %bb.6747:                             ;   in Loop: Header=BB4_6169 Depth=3
	s_or_b32 exec_lo, exec_lo, s35
	s_delay_alu instid0(SALU_CYCLE_1)
	s_and_b32 s14, s14, exec_lo
                                        ; implicit-def: $vgpr176
	s_or_saveexec_b32 s34, s34
	v_mov_b32_e32 v167, s15
	s_xor_b32 exec_lo, exec_lo, s34
	s_cbranch_execz .LBB4_6472
.LBB4_6748:                             ;   in Loop: Header=BB4_6169 Depth=3
	v_cmp_ne_u16_e64 vcc_lo, 0, v176
	v_mov_b32_e32 v167, 0
	s_and_not1_b32 s14, s14, exec_lo
	s_delay_alu instid0(VALU_DEP_2) | instskip(NEXT) | instid1(SALU_CYCLE_1)
	s_and_b32 s15, vcc_lo, exec_lo
	s_or_b32 s14, s14, s15
	s_or_b32 exec_lo, exec_lo, s34
	s_and_saveexec_b32 s15, s14
	s_cbranch_execnz .LBB4_6473
	s_branch .LBB4_6474
.LBB4_6749:                             ;   in Loop: Header=BB4_6169 Depth=3
	s_mov_b32 s14, -1
	s_mov_b32 s35, exec_lo
                                        ; implicit-def: $sgpr15
	v_cmpx_eq_u16_e64 0x80, v167
; %bb.6750:                             ;   in Loop: Header=BB4_6169 Depth=3
	s_mov_b32 s15, 0x7f800001
	s_xor_b32 s14, exec_lo, -1
; %bb.6751:                             ;   in Loop: Header=BB4_6169 Depth=3
	s_or_b32 exec_lo, exec_lo, s35
	s_delay_alu instid0(SALU_CYCLE_1)
	s_and_b32 s14, s14, exec_lo
	s_or_saveexec_b32 s34, s34
	v_mov_b32_e32 v166, s15
	s_xor_b32 exec_lo, exec_lo, s34
	s_cbranch_execz .LBB4_6484
.LBB4_6752:                             ;   in Loop: Header=BB4_6169 Depth=3
	v_cmp_ne_u16_e64 vcc_lo, 0, v167
	v_mov_b32_e32 v166, 0
	s_and_not1_b32 s14, s14, exec_lo
	s_delay_alu instid0(VALU_DEP_2) | instskip(NEXT) | instid1(SALU_CYCLE_1)
	s_and_b32 s15, vcc_lo, exec_lo
	s_or_b32 s14, s14, s15
	s_or_b32 exec_lo, exec_lo, s34
	s_and_saveexec_b32 s15, s14
	s_cbranch_execnz .LBB4_6485
	s_branch .LBB4_6486
.LBB4_6753:                             ;   in Loop: Header=BB4_6169 Depth=3
	s_mov_b32 s14, -1
	s_mov_b32 s35, exec_lo
                                        ; implicit-def: $sgpr15
	v_cmpx_eq_u16_e64 0x80, v165
; %bb.6754:                             ;   in Loop: Header=BB4_6169 Depth=3
	s_mov_b32 s15, 0x7f800001
	s_xor_b32 s14, exec_lo, -1
; %bb.6755:                             ;   in Loop: Header=BB4_6169 Depth=3
	s_or_b32 exec_lo, exec_lo, s35
	s_delay_alu instid0(SALU_CYCLE_1)
	s_and_b32 s14, s14, exec_lo
	s_or_saveexec_b32 s34, s34
	v_mov_b32_e32 v167, s15
	s_xor_b32 exec_lo, exec_lo, s34
	s_cbranch_execz .LBB4_6488
.LBB4_6756:                             ;   in Loop: Header=BB4_6169 Depth=3
	v_cmp_ne_u16_e64 vcc_lo, 0, v165
	v_mov_b32_e32 v167, 0
	s_and_not1_b32 s14, s14, exec_lo
	s_delay_alu instid0(VALU_DEP_2) | instskip(NEXT) | instid1(SALU_CYCLE_1)
	s_and_b32 s15, vcc_lo, exec_lo
	s_or_b32 s14, s14, s15
	s_or_b32 exec_lo, exec_lo, s34
	s_and_saveexec_b32 s15, s14
	s_cbranch_execnz .LBB4_6489
	s_branch .LBB4_6490
.LBB4_6757:                             ;   in Loop: Header=BB4_6169 Depth=3
	s_mov_b32 s14, -1
	s_mov_b32 s35, exec_lo
                                        ; implicit-def: $sgpr15
	v_cmpx_eq_u16_e64 0x80, v166
; %bb.6758:                             ;   in Loop: Header=BB4_6169 Depth=3
	s_mov_b32 s15, 0x7f800001
	s_xor_b32 s14, exec_lo, -1
; %bb.6759:                             ;   in Loop: Header=BB4_6169 Depth=3
	s_or_b32 exec_lo, exec_lo, s35
	s_delay_alu instid0(SALU_CYCLE_1)
	s_and_b32 s14, s14, exec_lo
                                        ; implicit-def: $vgpr166
	s_or_saveexec_b32 s34, s34
	v_mov_b32_e32 v165, s15
	s_xor_b32 exec_lo, exec_lo, s34
	s_cbranch_execz .LBB4_6500
.LBB4_6760:                             ;   in Loop: Header=BB4_6169 Depth=3
	v_cmp_ne_u16_e64 vcc_lo, 0, v166
	v_mov_b32_e32 v165, 0
	s_and_not1_b32 s14, s14, exec_lo
	s_delay_alu instid0(VALU_DEP_2) | instskip(NEXT) | instid1(SALU_CYCLE_1)
	s_and_b32 s15, vcc_lo, exec_lo
	s_or_b32 s14, s14, s15
	s_or_b32 exec_lo, exec_lo, s34
	s_and_saveexec_b32 s15, s14
	s_cbranch_execnz .LBB4_6501
	s_branch .LBB4_6502
.LBB4_6761:                             ;   in Loop: Header=BB4_6169 Depth=3
	s_mov_b32 s14, -1
	s_mov_b32 s35, exec_lo
                                        ; implicit-def: $sgpr15
	v_cmpx_eq_u16_e64 0x80, v166
; %bb.6762:                             ;   in Loop: Header=BB4_6169 Depth=3
	s_mov_b32 s15, 0x7f800001
	s_xor_b32 s14, exec_lo, -1
; %bb.6763:                             ;   in Loop: Header=BB4_6169 Depth=3
	s_or_b32 exec_lo, exec_lo, s35
	s_delay_alu instid0(SALU_CYCLE_1)
	s_and_b32 s14, s14, exec_lo
                                        ; implicit-def: $vgpr166
	s_or_saveexec_b32 s34, s34
	v_mov_b32_e32 v160, s15
	s_xor_b32 exec_lo, exec_lo, s34
	s_cbranch_execz .LBB4_6504
.LBB4_6764:                             ;   in Loop: Header=BB4_6169 Depth=3
	v_cmp_ne_u16_e64 vcc_lo, 0, v166
	v_mov_b32_e32 v160, 0
	s_and_not1_b32 s14, s14, exec_lo
	s_delay_alu instid0(VALU_DEP_2) | instskip(NEXT) | instid1(SALU_CYCLE_1)
	s_and_b32 s15, vcc_lo, exec_lo
	s_or_b32 s14, s14, s15
	s_or_b32 exec_lo, exec_lo, s34
	s_and_saveexec_b32 s15, s14
	s_cbranch_execnz .LBB4_6505
	s_branch .LBB4_6506
.LBB4_6765:                             ;   in Loop: Header=BB4_6169 Depth=3
	s_mov_b32 s14, -1
	s_mov_b32 s35, exec_lo
                                        ; implicit-def: $sgpr15
	v_cmpx_eq_u16_e64 0x80, v166
; %bb.6766:                             ;   in Loop: Header=BB4_6169 Depth=3
	s_mov_b32 s15, 0x7f800001
	s_xor_b32 s14, exec_lo, -1
; %bb.6767:                             ;   in Loop: Header=BB4_6169 Depth=3
	s_or_b32 exec_lo, exec_lo, s35
	s_delay_alu instid0(SALU_CYCLE_1)
	s_and_b32 s14, s14, exec_lo
                                        ; implicit-def: $vgpr166
	s_or_saveexec_b32 s34, s34
	v_mov_b32_e32 v165, s15
	s_xor_b32 exec_lo, exec_lo, s34
	s_cbranch_execz .LBB4_6516
.LBB4_6768:                             ;   in Loop: Header=BB4_6169 Depth=3
	v_cmp_ne_u16_e64 vcc_lo, 0, v166
	v_mov_b32_e32 v165, 0
	s_and_not1_b32 s14, s14, exec_lo
	s_delay_alu instid0(VALU_DEP_2) | instskip(NEXT) | instid1(SALU_CYCLE_1)
	s_and_b32 s15, vcc_lo, exec_lo
	s_or_b32 s14, s14, s15
	s_or_b32 exec_lo, exec_lo, s34
	s_and_saveexec_b32 s15, s14
	s_cbranch_execnz .LBB4_6517
	s_branch .LBB4_6518
.LBB4_6769:                             ;   in Loop: Header=BB4_6169 Depth=3
	s_mov_b32 s14, -1
	s_mov_b32 s35, exec_lo
                                        ; implicit-def: $sgpr15
	v_cmpx_eq_u16_e64 0x80, v150
; %bb.6770:                             ;   in Loop: Header=BB4_6169 Depth=3
	s_mov_b32 s15, 0x7f800001
	s_xor_b32 s14, exec_lo, -1
; %bb.6771:                             ;   in Loop: Header=BB4_6169 Depth=3
	s_or_b32 exec_lo, exec_lo, s35
	s_delay_alu instid0(SALU_CYCLE_1)
	s_and_b32 s14, s14, exec_lo
	s_or_saveexec_b32 s34, s34
	v_mov_b32_e32 v166, s15
	s_xor_b32 exec_lo, exec_lo, s34
	s_cbranch_execz .LBB4_6520
.LBB4_6772:                             ;   in Loop: Header=BB4_6169 Depth=3
	v_cmp_ne_u16_e64 vcc_lo, 0, v150
	v_mov_b32_e32 v166, 0
	s_and_not1_b32 s14, s14, exec_lo
	s_delay_alu instid0(VALU_DEP_2) | instskip(NEXT) | instid1(SALU_CYCLE_1)
	s_and_b32 s15, vcc_lo, exec_lo
	s_or_b32 s14, s14, s15
	s_or_b32 exec_lo, exec_lo, s34
	s_and_saveexec_b32 s15, s14
	s_cbranch_execnz .LBB4_6521
	s_branch .LBB4_6522
.LBB4_6773:                             ;   in Loop: Header=BB4_6169 Depth=3
	s_mov_b32 s14, -1
	s_mov_b32 s35, exec_lo
                                        ; implicit-def: $sgpr15
	v_cmpx_eq_u16_e64 0x80, v166
; %bb.6774:                             ;   in Loop: Header=BB4_6169 Depth=3
	s_mov_b32 s15, 0x7f800001
	s_xor_b32 s14, exec_lo, -1
; %bb.6775:                             ;   in Loop: Header=BB4_6169 Depth=3
	s_or_b32 exec_lo, exec_lo, s35
	s_delay_alu instid0(SALU_CYCLE_1)
	s_and_b32 s14, s14, exec_lo
                                        ; implicit-def: $vgpr166
	s_or_saveexec_b32 s34, s34
	v_mov_b32_e32 v165, s15
	s_xor_b32 exec_lo, exec_lo, s34
	s_cbranch_execz .LBB4_6532
.LBB4_6776:                             ;   in Loop: Header=BB4_6169 Depth=3
	v_cmp_ne_u16_e64 vcc_lo, 0, v166
	v_mov_b32_e32 v165, 0
	s_and_not1_b32 s14, s14, exec_lo
	s_delay_alu instid0(VALU_DEP_2) | instskip(NEXT) | instid1(SALU_CYCLE_1)
	s_and_b32 s15, vcc_lo, exec_lo
	s_or_b32 s14, s14, s15
	s_or_b32 exec_lo, exec_lo, s34
	s_and_saveexec_b32 s15, s14
	s_cbranch_execnz .LBB4_6533
	s_branch .LBB4_6534
.LBB4_6777:                             ;   in Loop: Header=BB4_6169 Depth=3
	s_mov_b32 s14, -1
	s_mov_b32 s35, exec_lo
                                        ; implicit-def: $sgpr15
	v_cmpx_eq_u16_e64 0x80, v167
; %bb.6778:                             ;   in Loop: Header=BB4_6169 Depth=3
	s_mov_b32 s15, 0x7f800001
	s_xor_b32 s14, exec_lo, -1
; %bb.6779:                             ;   in Loop: Header=BB4_6169 Depth=3
	s_or_b32 exec_lo, exec_lo, s35
	s_delay_alu instid0(SALU_CYCLE_1)
	s_and_b32 s14, s14, exec_lo
                                        ; implicit-def: $vgpr167
	s_or_saveexec_b32 s34, s34
	v_mov_b32_e32 v166, s15
	s_xor_b32 exec_lo, exec_lo, s34
	s_cbranch_execz .LBB4_6536
.LBB4_6780:                             ;   in Loop: Header=BB4_6169 Depth=3
	v_cmp_ne_u16_e64 vcc_lo, 0, v167
	v_mov_b32_e32 v166, 0
	s_and_not1_b32 s14, s14, exec_lo
	s_delay_alu instid0(VALU_DEP_2) | instskip(NEXT) | instid1(SALU_CYCLE_1)
	s_and_b32 s15, vcc_lo, exec_lo
	s_or_b32 s14, s14, s15
	s_or_b32 exec_lo, exec_lo, s34
	s_and_saveexec_b32 s15, s14
	s_cbranch_execnz .LBB4_6537
	s_branch .LBB4_6538
.LBB4_6781:                             ;   in Loop: Header=BB4_6169 Depth=3
	s_mov_b32 s14, -1
	s_mov_b32 s35, exec_lo
                                        ; implicit-def: $sgpr15
	v_cmpx_eq_u16_e64 0x80, v166
; %bb.6782:                             ;   in Loop: Header=BB4_6169 Depth=3
	s_mov_b32 s15, 0x7f800001
	s_xor_b32 s14, exec_lo, -1
; %bb.6783:                             ;   in Loop: Header=BB4_6169 Depth=3
	s_or_b32 exec_lo, exec_lo, s35
	s_delay_alu instid0(SALU_CYCLE_1)
	s_and_b32 s14, s14, exec_lo
	s_or_saveexec_b32 s34, s34
	v_mov_b32_e32 v165, s15
	s_xor_b32 exec_lo, exec_lo, s34
	s_cbranch_execz .LBB4_6548
.LBB4_6784:                             ;   in Loop: Header=BB4_6169 Depth=3
	v_cmp_ne_u16_e64 vcc_lo, 0, v166
	v_mov_b32_e32 v165, 0
	s_and_not1_b32 s14, s14, exec_lo
	s_delay_alu instid0(VALU_DEP_2) | instskip(NEXT) | instid1(SALU_CYCLE_1)
	s_and_b32 s15, vcc_lo, exec_lo
	s_or_b32 s14, s14, s15
	s_or_b32 exec_lo, exec_lo, s34
	s_and_saveexec_b32 s15, s14
	s_cbranch_execnz .LBB4_6549
	s_branch .LBB4_6550
.LBB4_6785:                             ;   in Loop: Header=BB4_6169 Depth=3
	s_mov_b32 s14, -1
	s_mov_b32 s35, exec_lo
                                        ; implicit-def: $sgpr15
	v_cmpx_eq_u16_e64 0x80, v146
; %bb.6786:                             ;   in Loop: Header=BB4_6169 Depth=3
	s_mov_b32 s15, 0x7f800001
	s_xor_b32 s14, exec_lo, -1
; %bb.6787:                             ;   in Loop: Header=BB4_6169 Depth=3
	s_or_b32 exec_lo, exec_lo, s35
	s_delay_alu instid0(SALU_CYCLE_1)
	s_and_b32 s14, s14, exec_lo
	s_or_saveexec_b32 s34, s34
	v_mov_b32_e32 v166, s15
	s_xor_b32 exec_lo, exec_lo, s34
	s_cbranch_execz .LBB4_6552
.LBB4_6788:                             ;   in Loop: Header=BB4_6169 Depth=3
	v_cmp_ne_u16_e64 vcc_lo, 0, v146
	v_mov_b32_e32 v166, 0
	s_and_not1_b32 s14, s14, exec_lo
	s_delay_alu instid0(VALU_DEP_2) | instskip(NEXT) | instid1(SALU_CYCLE_1)
	s_and_b32 s15, vcc_lo, exec_lo
	s_or_b32 s14, s14, s15
	s_or_b32 exec_lo, exec_lo, s34
	s_and_saveexec_b32 s15, s14
	s_cbranch_execnz .LBB4_6553
	s_branch .LBB4_6554
.LBB4_6789:                             ;   in Loop: Header=BB4_6169 Depth=3
	s_mov_b32 s14, -1
	s_mov_b32 s35, exec_lo
                                        ; implicit-def: $sgpr15
	v_cmpx_eq_u16_e64 0x80, v151
; %bb.6790:                             ;   in Loop: Header=BB4_6169 Depth=3
	s_mov_b32 s15, 0x7f800001
	s_xor_b32 s14, exec_lo, -1
; %bb.6791:                             ;   in Loop: Header=BB4_6169 Depth=3
	s_or_b32 exec_lo, exec_lo, s35
	s_delay_alu instid0(SALU_CYCLE_1)
	s_and_b32 s14, s14, exec_lo
                                        ; implicit-def: $vgpr151
	s_or_saveexec_b32 s34, s34
	v_mov_b32_e32 v145, s15
	s_xor_b32 exec_lo, exec_lo, s34
	s_cbranch_execz .LBB4_6564
.LBB4_6792:                             ;   in Loop: Header=BB4_6169 Depth=3
	v_cmp_ne_u16_e64 vcc_lo, 0, v151
	v_mov_b32_e32 v145, 0
	s_and_not1_b32 s14, s14, exec_lo
	s_delay_alu instid0(VALU_DEP_2) | instskip(NEXT) | instid1(SALU_CYCLE_1)
	s_and_b32 s15, vcc_lo, exec_lo
	s_or_b32 s14, s14, s15
	s_or_b32 exec_lo, exec_lo, s34
	s_and_saveexec_b32 s15, s14
	s_cbranch_execnz .LBB4_6565
	s_branch .LBB4_6566
.LBB4_6793:                             ;   in Loop: Header=BB4_6169 Depth=3
	s_mov_b32 s14, -1
	s_mov_b32 s35, exec_lo
                                        ; implicit-def: $sgpr15
	v_cmpx_eq_u16_e64 0x80, v165
; %bb.6794:                             ;   in Loop: Header=BB4_6169 Depth=3
	s_mov_b32 s15, 0x7f800001
	s_xor_b32 s14, exec_lo, -1
; %bb.6795:                             ;   in Loop: Header=BB4_6169 Depth=3
	s_or_b32 exec_lo, exec_lo, s35
	s_delay_alu instid0(SALU_CYCLE_1)
	s_and_b32 s14, s14, exec_lo
                                        ; implicit-def: $vgpr165
	s_or_saveexec_b32 s34, s34
	v_mov_b32_e32 v151, s15
	s_xor_b32 exec_lo, exec_lo, s34
	s_cbranch_execz .LBB4_6568
.LBB4_6796:                             ;   in Loop: Header=BB4_6169 Depth=3
	v_cmp_ne_u16_e64 vcc_lo, 0, v165
	v_mov_b32_e32 v151, 0
	s_and_not1_b32 s14, s14, exec_lo
	s_delay_alu instid0(VALU_DEP_2) | instskip(NEXT) | instid1(SALU_CYCLE_1)
	s_and_b32 s15, vcc_lo, exec_lo
	s_or_b32 s14, s14, s15
	s_or_b32 exec_lo, exec_lo, s34
	s_and_saveexec_b32 s15, s14
	s_cbranch_execnz .LBB4_6569
	s_branch .LBB4_6570
.LBB4_6797:                             ;   in Loop: Header=BB4_6169 Depth=3
	s_mov_b32 s14, -1
	s_mov_b32 s35, exec_lo
                                        ; implicit-def: $sgpr15
	v_cmpx_eq_u16_e64 0x80, v165
; %bb.6798:                             ;   in Loop: Header=BB4_6169 Depth=3
	s_mov_b32 s15, 0x7f800001
	s_xor_b32 s14, exec_lo, -1
; %bb.6799:                             ;   in Loop: Header=BB4_6169 Depth=3
	s_or_b32 exec_lo, exec_lo, s35
	s_delay_alu instid0(SALU_CYCLE_1)
	s_and_b32 s14, s14, exec_lo
	s_or_saveexec_b32 s34, s34
	v_mov_b32_e32 v151, s15
	s_xor_b32 exec_lo, exec_lo, s34
	s_cbranch_execz .LBB4_6580
.LBB4_6800:                             ;   in Loop: Header=BB4_6169 Depth=3
	v_cmp_ne_u16_e64 vcc_lo, 0, v165
	v_mov_b32_e32 v151, 0
	s_and_not1_b32 s14, s14, exec_lo
	s_delay_alu instid0(VALU_DEP_2) | instskip(NEXT) | instid1(SALU_CYCLE_1)
	s_and_b32 s15, vcc_lo, exec_lo
	s_or_b32 s14, s14, s15
	s_or_b32 exec_lo, exec_lo, s34
	s_and_saveexec_b32 s15, s14
	s_cbranch_execnz .LBB4_6581
	s_branch .LBB4_6582
.LBB4_6801:                             ;   in Loop: Header=BB4_6169 Depth=3
	s_mov_b32 s14, -1
	s_mov_b32 s35, exec_lo
                                        ; implicit-def: $sgpr15
	v_cmpx_eq_u16_e64 0x80, v165
; %bb.6802:                             ;   in Loop: Header=BB4_6169 Depth=3
	s_mov_b32 s15, 0x7f800001
	s_xor_b32 s14, exec_lo, -1
; %bb.6803:                             ;   in Loop: Header=BB4_6169 Depth=3
	s_or_b32 exec_lo, exec_lo, s35
	s_delay_alu instid0(SALU_CYCLE_1)
	s_and_b32 s14, s14, exec_lo
	s_or_saveexec_b32 s34, s34
	v_mov_b32_e32 v166, s15
	s_xor_b32 exec_lo, exec_lo, s34
	s_cbranch_execz .LBB4_6584
.LBB4_6804:                             ;   in Loop: Header=BB4_6169 Depth=3
	v_cmp_ne_u16_e64 vcc_lo, 0, v165
	v_mov_b32_e32 v166, 0
	s_and_not1_b32 s14, s14, exec_lo
	s_delay_alu instid0(VALU_DEP_2) | instskip(NEXT) | instid1(SALU_CYCLE_1)
	s_and_b32 s15, vcc_lo, exec_lo
	s_or_b32 s14, s14, s15
	s_or_b32 exec_lo, exec_lo, s34
	s_and_saveexec_b32 s15, s14
	s_cbranch_execnz .LBB4_6585
	s_branch .LBB4_6586
.LBB4_6805:                             ;   in Loop: Header=BB4_6169 Depth=3
	s_mov_b32 s14, -1
	s_mov_b32 s35, exec_lo
                                        ; implicit-def: $sgpr15
	v_cmpx_eq_u16_e64 0x80, v165
; %bb.6806:                             ;   in Loop: Header=BB4_6169 Depth=3
	s_mov_b32 s15, 0x7f800001
	s_xor_b32 s14, exec_lo, -1
; %bb.6807:                             ;   in Loop: Header=BB4_6169 Depth=3
	s_or_b32 exec_lo, exec_lo, s35
	s_delay_alu instid0(SALU_CYCLE_1)
	s_and_b32 s14, s14, exec_lo
                                        ; implicit-def: $vgpr165
	s_or_saveexec_b32 s34, s34
	v_mov_b32_e32 v144, s15
	s_xor_b32 exec_lo, exec_lo, s34
	s_cbranch_execz .LBB4_6596
.LBB4_6808:                             ;   in Loop: Header=BB4_6169 Depth=3
	v_cmp_ne_u16_e64 vcc_lo, 0, v165
	v_mov_b32_e32 v144, 0
	s_and_not1_b32 s14, s14, exec_lo
	s_delay_alu instid0(VALU_DEP_2) | instskip(NEXT) | instid1(SALU_CYCLE_1)
	s_and_b32 s15, vcc_lo, exec_lo
	s_or_b32 s14, s14, s15
	s_or_b32 exec_lo, exec_lo, s34
	v_lshl_or_b32 v146, v148, 16, v146
	s_and_saveexec_b32 s15, s14
	s_cbranch_execnz .LBB4_6597
	s_branch .LBB4_6598
.LBB4_6809:                             ;   in Loop: Header=BB4_6169 Depth=3
	s_mov_b32 s14, -1
	s_mov_b32 s35, exec_lo
                                        ; implicit-def: $sgpr15
	v_cmpx_eq_u16_e64 0x80, v166
; %bb.6810:                             ;   in Loop: Header=BB4_6169 Depth=3
	s_mov_b32 s15, 0x7f800001
	s_xor_b32 s14, exec_lo, -1
; %bb.6811:                             ;   in Loop: Header=BB4_6169 Depth=3
	s_or_b32 exec_lo, exec_lo, s35
	s_delay_alu instid0(SALU_CYCLE_1)
	s_and_b32 s14, s14, exec_lo
                                        ; implicit-def: $vgpr166
	s_or_saveexec_b32 s34, s34
	v_mov_b32_e32 v165, s15
	s_xor_b32 exec_lo, exec_lo, s34
	s_cbranch_execz .LBB4_6600
.LBB4_6812:                             ;   in Loop: Header=BB4_6169 Depth=3
	v_cmp_ne_u16_e64 vcc_lo, 0, v166
	v_mov_b32_e32 v165, 0
	s_and_not1_b32 s14, s14, exec_lo
	s_delay_alu instid0(VALU_DEP_2) | instskip(NEXT) | instid1(SALU_CYCLE_1)
	s_and_b32 s15, vcc_lo, exec_lo
	s_or_b32 s14, s14, s15
	s_or_b32 exec_lo, exec_lo, s34
	s_and_saveexec_b32 s15, s14
	s_cbranch_execnz .LBB4_6601
	s_branch .LBB4_6602
.LBB4_6813:                             ;   in Loop: Header=BB4_6169 Depth=3
	s_mov_b32 s14, -1
	s_mov_b32 s35, exec_lo
                                        ; implicit-def: $sgpr15
	v_cmpx_eq_u16_e64 0x80, v165
; %bb.6814:                             ;   in Loop: Header=BB4_6169 Depth=3
	s_mov_b32 s15, 0x7f800001
	s_xor_b32 s14, exec_lo, -1
; %bb.6815:                             ;   in Loop: Header=BB4_6169 Depth=3
	s_or_b32 exec_lo, exec_lo, s35
	s_delay_alu instid0(SALU_CYCLE_1)
	s_and_b32 s14, s14, exec_lo
	s_or_saveexec_b32 s34, s34
	v_mov_b32_e32 v148, s15
	s_xor_b32 exec_lo, exec_lo, s34
	s_cbranch_execz .LBB4_6612
.LBB4_6816:                             ;   in Loop: Header=BB4_6169 Depth=3
	v_cmp_ne_u16_e64 vcc_lo, 0, v165
	v_mov_b32_e32 v148, 0
	s_and_not1_b32 s14, s14, exec_lo
	s_delay_alu instid0(VALU_DEP_2) | instskip(NEXT) | instid1(SALU_CYCLE_1)
	s_and_b32 s15, vcc_lo, exec_lo
	s_or_b32 s14, s14, s15
	s_or_b32 exec_lo, exec_lo, s34
	s_and_saveexec_b32 s15, s14
	s_cbranch_execnz .LBB4_6613
	s_branch .LBB4_6614
.LBB4_6817:                             ;   in Loop: Header=BB4_6169 Depth=3
	s_mov_b32 s14, -1
	s_mov_b32 s35, exec_lo
                                        ; implicit-def: $sgpr15
	v_cmpx_eq_u16_e64 0x80, v146
; %bb.6818:                             ;   in Loop: Header=BB4_6169 Depth=3
	s_mov_b32 s15, 0x7f800001
	s_xor_b32 s14, exec_lo, -1
; %bb.6819:                             ;   in Loop: Header=BB4_6169 Depth=3
	s_or_b32 exec_lo, exec_lo, s35
	s_delay_alu instid0(SALU_CYCLE_1)
	s_and_b32 s14, s14, exec_lo
	s_or_saveexec_b32 s34, s34
	v_mov_b32_e32 v165, s15
	s_xor_b32 exec_lo, exec_lo, s34
	s_cbranch_execz .LBB4_6616
.LBB4_6820:                             ;   in Loop: Header=BB4_6169 Depth=3
	v_cmp_ne_u16_e64 vcc_lo, 0, v146
	v_mov_b32_e32 v165, 0
	s_and_not1_b32 s14, s14, exec_lo
	s_delay_alu instid0(VALU_DEP_2) | instskip(NEXT) | instid1(SALU_CYCLE_1)
	s_and_b32 s15, vcc_lo, exec_lo
	s_or_b32 s14, s14, s15
	s_or_b32 exec_lo, exec_lo, s34
	s_and_saveexec_b32 s15, s14
	s_cbranch_execnz .LBB4_6617
	s_branch .LBB4_6618
.LBB4_6821:                             ;   in Loop: Header=BB4_4786 Depth=2
	s_or_b32 exec_lo, exec_lo, s30
.LBB4_6822:                             ;   in Loop: Header=BB4_4786 Depth=2
	s_delay_alu instid0(SALU_CYCLE_1) | instskip(SKIP_3) | instid1(VALU_DEP_1)
	s_or_b32 exec_lo, exec_lo, s17
	v_dual_mov_b32 v64, 0 :: v_dual_and_b32 v9, 15, v132
	s_mov_b32 s14, 0
	s_mov_b32 s15, exec_lo
                                        ; implicit-def: $vgpr67
                                        ; implicit-def: $vgpr8
	v_cndmask_b32_e64 v65, v69, v9, s13
	s_delay_alu instid0(VALU_DEP_1)
	v_cmpx_ne_u32_e32 0, v65
	s_cbranch_execz .LBB4_6824
; %bb.6823:                             ;   in Loop: Header=BB4_4786 Depth=2
	v_cmp_lt_i32_e32 vcc_lo, 0, v133
	v_sub_nc_u32_e32 v9, v69, v9
	s_mov_b32 s14, exec_lo
	v_cndmask_b32_e32 v8, 0, v81, vcc_lo
	s_delay_alu instid0(VALU_DEP_2) | instskip(NEXT) | instid1(VALU_DEP_2)
	v_cndmask_b32_e64 v9, 0, v9, s13
	v_sub_nc_u32_e32 v8, v8, v133
	s_delay_alu instid0(VALU_DEP_2) | instskip(NEXT) | instid1(VALU_DEP_2)
	v_add3_u32 v64, v2, v66, v9
	v_lshl_add_u32 v67, v8, 5, v68
	s_delay_alu instid0(VALU_DEP_1) | instskip(NEXT) | instid1(VALU_DEP_1)
	v_ashrrev_i32_e32 v8, 31, v67
	v_lshrrev_b32_e32 v8, 27, v8
	s_delay_alu instid0(VALU_DEP_1) | instskip(NEXT) | instid1(VALU_DEP_1)
	v_add_nc_u32_e32 v8, v67, v8
	v_ashrrev_i32_e32 v8, 5, v8
.LBB4_6824:                             ;   in Loop: Header=BB4_4786 Depth=2
	s_or_b32 exec_lo, exec_lo, s15
	s_delay_alu instid0(SALU_CYCLE_1)
	s_and_b32 s13, s14, exec_lo
.LBB4_6825:                             ;   in Loop: Header=BB4_4786 Depth=2
	s_or_b32 exec_lo, exec_lo, s16
.LBB4_6826:                             ;   in Loop: Header=BB4_4786 Depth=2
	s_and_saveexec_b32 s15, s13
	s_cbranch_execz .LBB4_7540
; %bb.6827:                             ;   in Loop: Header=BB4_4786 Depth=2
	v_ashrrev_i32_e32 v2, 31, v65
	s_mov_b32 s14, exec_lo
	s_delay_alu instid0(VALU_DEP_1) | instskip(NEXT) | instid1(VALU_DEP_1)
	v_lshrrev_b32_e32 v2, 23, v2
	v_add_nc_u32_e32 v2, v65, v2
	s_delay_alu instid0(VALU_DEP_1) | instskip(NEXT) | instid1(VALU_DEP_1)
	v_ashrrev_i32_e32 v66, 9, v2
	v_sub_nc_u32_e32 v2, v66, v8
	s_delay_alu instid0(VALU_DEP_1)
	v_cmpx_lt_i32_e32 0, v2
	s_cbranch_execz .LBB4_7482
; %bb.6828:                             ;   in Loop: Header=BB4_4786 Depth=2
	s_cbranch_execz .LBB4_6829
; %bb.11711:
	s_getpc_b64 s[48:49]
.Lpost_getpc264:
	s_add_u32 s48, s48, (.LBB4_11261-.Lpost_getpc264)&4294967295
	s_addc_u32 s49, s49, (.LBB4_11261-.Lpost_getpc264)>>32
	s_setpc_b64 s[48:49]
.LBB4_6829:                             ;   in Loop: Header=BB4_4786 Depth=2
	v_ashrrev_i32_e32 v9, 31, v67
	v_lshlrev_b32_e32 v8, 9, v8
	s_mov_b32 s16, 0
	s_delay_alu instid0(VALU_DEP_2) | instskip(NEXT) | instid1(VALU_DEP_1)
	v_lshrrev_b32_e32 v9, 27, v9
	v_add_nc_u32_e32 v13, v67, v9
	ds_load_b128 v[9:12], v0
	v_and_b32_e32 v13, 0xffffffe0, v13
	s_delay_alu instid0(VALU_DEP_1) | instskip(NEXT) | instid1(VALU_DEP_1)
	v_sub_nc_u32_e32 v13, v67, v13
	v_add3_u32 v13, v64, v13, v8
	s_delay_alu instid0(VALU_DEP_1) | instskip(SKIP_2) | instid1(VALU_DEP_2)
	v_ashrrev_i32_e32 v14, 31, v13
	s_waitcnt lgkmcnt(0)
	v_add_co_u32 v8, vcc_lo, v9, v13
	v_add_co_ci_u32_e32 v9, vcc_lo, v10, v14, vcc_lo
	v_add_co_u32 v10, vcc_lo, v11, v13
	v_add_co_ci_u32_e32 v11, vcc_lo, v12, v14, vcc_lo
	s_delay_alu instid0(VALU_DEP_3) | instskip(NEXT) | instid1(VALU_DEP_2)
	v_dual_mov_b32 v13, v9 :: v_dual_mov_b32 v12, v8
	v_dual_mov_b32 v15, v11 :: v_dual_mov_b32 v14, v10
.LBB4_6830:                             ;   Parent Loop BB4_51 Depth=1
                                        ;     Parent Loop BB4_4786 Depth=2
                                        ; =>    This Inner Loop Header: Depth=3
	s_cbranch_execz .LBB4_6831
; %bb.11713:
	s_getpc_b64 s[48:49]
.Lpost_getpc265:
	s_add_u32 s48, s48, (.LBB4_11263-.Lpost_getpc265)&4294967295
	s_addc_u32 s49, s49, (.LBB4_11263-.Lpost_getpc265)>>32
	s_setpc_b64 s[48:49]
.LBB4_6831:                             ;   in Loop: Header=BB4_6830 Depth=3
	ds_load_b64 v[53:54], v0
	s_waitcnt lgkmcnt(0)
	v_and_b32_e32 v54, 0xff, v53
	v_readfirstlane_b32 s13, v53
	s_delay_alu instid0(VALU_DEP_2)
	v_cmp_gt_i16_e32 vcc_lo, 0x80, v54
	s_cbranch_vccnz .LBB4_6835
; %bb.6832:                             ;   in Loop: Header=BB4_6830 Depth=3
	v_cmp_eq_u16_e32 vcc_lo, 0x80, v54
	s_mov_b32 s17, -1
                                        ; implicit-def: $sgpr30
	s_cbranch_vccz .LBB4_6834
; %bb.6833:                             ;   in Loop: Header=BB4_6830 Depth=3
	s_mov_b32 s17, 0
	s_mov_b32 s30, 0x7f800001
.LBB4_6834:                             ;   in Loop: Header=BB4_6830 Depth=3
	s_mov_b32 vcc_lo, 0
	s_branch .LBB4_6836
.LBB4_6835:                             ;   in Loop: Header=BB4_6830 Depth=3
	s_mov_b32 vcc_lo, -1
	s_mov_b32 s17, 0
                                        ; implicit-def: $sgpr30
.LBB4_6836:                             ;   in Loop: Header=BB4_6830 Depth=3
	s_and_b32 vcc_lo, exec_lo, vcc_lo
	s_cbranch_vccz .LBB4_6838
; %bb.6837:                             ;   in Loop: Header=BB4_6830 Depth=3
	v_cmp_ne_u16_e64 s17, 0, v54
	s_mov_b32 s30, 0
.LBB4_6838:                             ;   in Loop: Header=BB4_6830 Depth=3
	s_delay_alu instid0(SALU_CYCLE_1) | instskip(NEXT) | instid1(VALU_DEP_2)
	v_mov_b32_e32 v54, s30
	s_and_not1_b32 vcc_lo, exec_lo, s17
	s_cbranch_vccnz .LBB4_6840
; %bb.6839:                             ;   in Loop: Header=BB4_6830 Depth=3
	s_and_b32 s17, s13, 3
	s_bfe_u32 s30, s13, 0x50002
	s_clz_i32_u32 vcc_lo, s17
	v_lshlrev_b32_e32 v53, 24, v53
	s_min_u32 vcc_lo, vcc_lo, 32
	s_delay_alu instid0(SALU_CYCLE_1)
	s_sub_i32 s31, vcc_lo, 29
	s_sub_i32 vcc_lo, 30, vcc_lo
	s_lshl_b32 s13, s13, s31
	v_and_b32_e32 v53, 0x80000000, v53
	s_and_b32 s13, s13, 3
	s_cmp_eq_u32 s30, 0
	s_cselect_b32 vcc_lo, vcc_lo, s30
	s_cselect_b32 s13, s13, s17
	s_lshl_b32 s17, vcc_lo, 23
	s_lshl_b32 s13, s13, 21
	s_add_i32 s17, s17, 0x37800000
	s_delay_alu instid0(SALU_CYCLE_1) | instskip(NEXT) | instid1(VALU_DEP_1)
	v_or_b32_e32 v53, s17, v53
	v_or_b32_e32 v54, s13, v53
.LBB4_6840:                             ;   in Loop: Header=BB4_6830 Depth=3
	flat_load_u8 v53, v[8:9] slc dlc
	s_mov_b32 s13, 0
	s_mov_b32 s30, exec_lo
                                        ; implicit-def: $sgpr17
	s_waitcnt vmcnt(0) lgkmcnt(0)
	v_cmpx_lt_i16_e32 0x7f, v53
	s_xor_b32 s30, exec_lo, s30
	s_cbranch_execnz .LBB4_7289
; %bb.6841:                             ;   in Loop: Header=BB4_6830 Depth=3
	s_or_saveexec_b32 s30, s30
	v_mov_b32_e32 v68, s17
	s_xor_b32 exec_lo, exec_lo, s30
	s_cbranch_execnz .LBB4_7292
.LBB4_6842:                             ;   in Loop: Header=BB4_6830 Depth=3
	s_or_b32 exec_lo, exec_lo, s30
	s_and_saveexec_b32 s17, s13
	s_cbranch_execz .LBB4_6844
.LBB4_6843:                             ;   in Loop: Header=BB4_6830 Depth=3
	v_and_b32_e32 v68, 0xffff, v53
	v_lshlrev_b32_e32 v53, 24, v53
	s_delay_alu instid0(VALU_DEP_2) | instskip(NEXT) | instid1(VALU_DEP_2)
	v_and_b32_e32 v69, 3, v68
	v_and_b32_e32 v53, 0x80000000, v53
	s_delay_alu instid0(VALU_DEP_2) | instskip(NEXT) | instid1(VALU_DEP_1)
	v_clz_i32_u32_e32 v133, v69
	v_min_u32_e32 v133, 32, v133
	s_delay_alu instid0(VALU_DEP_1) | instskip(SKIP_1) | instid1(VALU_DEP_2)
	v_subrev_nc_u32_e32 v134, 29, v133
	v_sub_nc_u32_e32 v133, 30, v133
	v_lshlrev_b32_e32 v134, v134, v68
	v_bfe_u32 v68, v68, 2, 5
	s_delay_alu instid0(VALU_DEP_2) | instskip(NEXT) | instid1(VALU_DEP_2)
	v_and_b32_e32 v134, 3, v134
	v_cmp_eq_u32_e32 vcc_lo, 0, v68
	s_delay_alu instid0(VALU_DEP_2) | instskip(NEXT) | instid1(VALU_DEP_1)
	v_dual_cndmask_b32 v68, v68, v133 :: v_dual_cndmask_b32 v69, v69, v134
	v_lshl_add_u32 v68, v68, 23, 0x37800000
	s_delay_alu instid0(VALU_DEP_2) | instskip(NEXT) | instid1(VALU_DEP_1)
	v_lshlrev_b32_e32 v69, 21, v69
	v_or3_b32 v68, v53, v68, v69
.LBB4_6844:                             ;   in Loop: Header=BB4_6830 Depth=3
	s_or_b32 exec_lo, exec_lo, s17
	s_delay_alu instid0(VALU_DEP_1) | instskip(NEXT) | instid1(VALU_DEP_1)
	v_mul_f32_e32 v53, v54, v68
	v_and_b32_e32 v68, 0x7f800000, v53
	s_delay_alu instid0(VALU_DEP_1)
	v_cmp_ne_u32_e32 vcc_lo, 0x7f800000, v68
	v_mov_b32_e32 v68, 0x80
	s_and_saveexec_b32 s17, vcc_lo
	s_cbranch_execz .LBB4_6852
; %bb.6845:                             ;   in Loop: Header=BB4_6830 Depth=3
	v_mov_b32_e32 v68, 0
	s_mov_b32 s30, exec_lo
	v_cmpx_ne_u32_e32 0, v53
	s_cbranch_execz .LBB4_6851
; %bb.6846:                             ;   in Loop: Header=BB4_6830 Depth=3
	v_bfe_u32 v68, v53, 23, 8
	v_and_b32_e32 v69, 0x7fffff, v53
	s_delay_alu instid0(VALU_DEP_2) | instskip(SKIP_1) | instid1(VALU_DEP_3)
	v_sub_nc_u32_e32 v133, 0x70, v68
	v_cmp_gt_u32_e32 vcc_lo, 0x71, v68
	v_or_b32_e32 v134, 0x800000, v69
	s_delay_alu instid0(VALU_DEP_3) | instskip(SKIP_2) | instid1(VALU_DEP_3)
	v_cndmask_b32_e32 v133, 0, v133, vcc_lo
	v_cmp_eq_u32_e32 vcc_lo, 0, v68
	v_add_nc_u32_e32 v68, 0xffffff91, v68
	v_cndmask_b32_e64 v133, v133, 0x6f, vcc_lo
	v_cndmask_b32_e32 v69, v134, v69, vcc_lo
	s_delay_alu instid0(VALU_DEP_3) | instskip(NEXT) | instid1(VALU_DEP_3)
	v_cndmask_b32_e64 v68, v68, 0xffffff92, vcc_lo
	v_lshl_add_u32 v134, 0x200000, v133, -1
	s_delay_alu instid0(VALU_DEP_3) | instskip(SKIP_1) | instid1(VALU_DEP_4)
	v_lshrrev_b32_e32 v135, v133, v69
	v_lshlrev_b32_e64 v145, v133, 0x100000
	v_add_nc_u32_e32 v133, v133, v68
	s_delay_alu instid0(VALU_DEP_4) | instskip(NEXT) | instid1(VALU_DEP_4)
	v_and_b32_e32 v69, v134, v69
	v_bfe_u32 v144, v135, 21, 1
	s_delay_alu instid0(VALU_DEP_2) | instskip(NEXT) | instid1(VALU_DEP_2)
	v_cmp_eq_u32_e64 s13, v69, v145
	v_add_nc_u32_e32 v134, -1, v144
	s_delay_alu instid0(VALU_DEP_1) | instskip(SKIP_2) | instid1(VALU_DEP_2)
	v_cndmask_b32_e64 v69, 0, v134, s13
	v_lshrrev_b32_e32 v134, 23, v135
	s_mov_b32 s13, exec_lo
	v_add_nc_u32_e32 v69, v69, v135
	s_delay_alu instid0(VALU_DEP_2) | instskip(NEXT) | instid1(VALU_DEP_2)
	v_xor_b32_e32 v134, 1, v134
	v_and_b32_e32 v68, 0x1fffff, v69
	s_delay_alu instid0(VALU_DEP_1) | instskip(NEXT) | instid1(VALU_DEP_3)
	v_add_nc_u32_e32 v69, v68, v135
                                        ; implicit-def: $vgpr68
	v_cmpx_ne_u32_e64 v133, v134
	s_xor_b32 s13, exec_lo, s13
; %bb.6847:                             ;   in Loop: Header=BB4_6830 Depth=3
	s_delay_alu instid0(VALU_DEP_2) | instskip(SKIP_2) | instid1(VALU_DEP_2)
	v_cmp_lt_u32_e32 vcc_lo, 0xffffff, v69
	v_sub_nc_u32_e32 v68, v133, v134
	v_cndmask_b32_e64 v133, 0, 1, vcc_lo
	v_add_co_ci_u32_e32 v68, vcc_lo, 0, v68, vcc_lo
	s_delay_alu instid0(VALU_DEP_2)
	v_lshrrev_b32_e32 v69, v133, v69
; %bb.6848:                             ;   in Loop: Header=BB4_6830 Depth=3
	s_and_not1_saveexec_b32 s13, s13
; %bb.6849:                             ;   in Loop: Header=BB4_6830 Depth=3
	s_delay_alu instid0(VALU_DEP_1)
	v_bfe_u32 v68, v69, 23, 1
; %bb.6850:                             ;   in Loop: Header=BB4_6830 Depth=3
	s_or_b32 exec_lo, exec_lo, s13
	v_lshrrev_b32_e32 v69, 21, v69
	s_delay_alu instid0(VALU_DEP_2) | instskip(SKIP_2) | instid1(VALU_DEP_4)
	v_cmp_gt_i32_e32 vcc_lo, 32, v68
	v_lshrrev_b32_e32 v53, 24, v53
	v_min_i32_e32 v133, 31, v68
	v_cndmask_b32_e32 v69, 3, v69, vcc_lo
	s_delay_alu instid0(VALU_DEP_3) | instskip(NEXT) | instid1(VALU_DEP_3)
	v_and_b32_e32 v53, 0x80, v53
	v_lshlrev_b32_e32 v133, 2, v133
	s_delay_alu instid0(VALU_DEP_3) | instskip(SKIP_1) | instid1(VALU_DEP_2)
	v_and_b32_e32 v134, 3, v69
	v_or_b32_e32 v68, v68, v69
	v_or3_b32 v53, v133, v53, v134
	s_delay_alu instid0(VALU_DEP_2) | instskip(NEXT) | instid1(VALU_DEP_2)
	v_cmp_ne_u32_e32 vcc_lo, 0, v68
	v_cndmask_b32_e32 v68, 0, v53, vcc_lo
.LBB4_6851:                             ;   in Loop: Header=BB4_6830 Depth=3
	s_or_b32 exec_lo, exec_lo, s30
.LBB4_6852:                             ;   in Loop: Header=BB4_6830 Depth=3
	s_delay_alu instid0(SALU_CYCLE_1)
	s_or_b32 exec_lo, exec_lo, s17
	flat_load_u8 v53, v[8:9] offset:32 slc dlc
	s_mov_b32 s13, 0
	s_mov_b32 s30, exec_lo
                                        ; implicit-def: $sgpr17
	s_waitcnt vmcnt(0) lgkmcnt(0)
	v_cmpx_lt_i16_e32 0x7f, v53
	s_xor_b32 s30, exec_lo, s30
	s_cbranch_execnz .LBB4_7293
; %bb.6853:                             ;   in Loop: Header=BB4_6830 Depth=3
	s_or_saveexec_b32 s30, s30
	v_mov_b32_e32 v69, s17
	s_xor_b32 exec_lo, exec_lo, s30
	s_cbranch_execnz .LBB4_7296
.LBB4_6854:                             ;   in Loop: Header=BB4_6830 Depth=3
	s_or_b32 exec_lo, exec_lo, s30
	s_and_saveexec_b32 s17, s13
	s_cbranch_execz .LBB4_6856
.LBB4_6855:                             ;   in Loop: Header=BB4_6830 Depth=3
	v_and_b32_e32 v69, 0xffff, v53
	v_lshlrev_b32_e32 v53, 24, v53
	s_delay_alu instid0(VALU_DEP_2) | instskip(NEXT) | instid1(VALU_DEP_2)
	v_and_b32_e32 v133, 3, v69
	v_and_b32_e32 v53, 0x80000000, v53
	s_delay_alu instid0(VALU_DEP_2) | instskip(NEXT) | instid1(VALU_DEP_1)
	v_clz_i32_u32_e32 v134, v133
	v_min_u32_e32 v134, 32, v134
	s_delay_alu instid0(VALU_DEP_1) | instskip(SKIP_1) | instid1(VALU_DEP_2)
	v_subrev_nc_u32_e32 v135, 29, v134
	v_sub_nc_u32_e32 v134, 30, v134
	v_lshlrev_b32_e32 v135, v135, v69
	v_bfe_u32 v69, v69, 2, 5
	s_delay_alu instid0(VALU_DEP_2) | instskip(NEXT) | instid1(VALU_DEP_2)
	v_and_b32_e32 v135, 3, v135
	v_cmp_eq_u32_e32 vcc_lo, 0, v69
	v_cndmask_b32_e32 v69, v69, v134, vcc_lo
	s_delay_alu instid0(VALU_DEP_3) | instskip(NEXT) | instid1(VALU_DEP_2)
	v_cndmask_b32_e32 v133, v133, v135, vcc_lo
	v_lshl_add_u32 v69, v69, 23, 0x37800000
	s_delay_alu instid0(VALU_DEP_2) | instskip(NEXT) | instid1(VALU_DEP_1)
	v_lshlrev_b32_e32 v133, 21, v133
	v_or3_b32 v69, v53, v69, v133
.LBB4_6856:                             ;   in Loop: Header=BB4_6830 Depth=3
	s_or_b32 exec_lo, exec_lo, s17
	s_delay_alu instid0(VALU_DEP_1) | instskip(SKIP_1) | instid1(VALU_DEP_1)
	v_dual_mul_f32 v53, v54, v69 :: v_dual_mov_b32 v144, 0x80
	s_mov_b32 s17, exec_lo
	v_and_b32_e32 v69, 0x7f800000, v53
	s_delay_alu instid0(VALU_DEP_1)
	v_cmpx_ne_u32_e32 0x7f800000, v69
	s_cbranch_execz .LBB4_6864
; %bb.6857:                             ;   in Loop: Header=BB4_6830 Depth=3
	v_mov_b32_e32 v144, 0
	s_mov_b32 s30, exec_lo
	v_cmpx_ne_u32_e32 0, v53
	s_cbranch_execz .LBB4_6863
; %bb.6858:                             ;   in Loop: Header=BB4_6830 Depth=3
	v_bfe_u32 v69, v53, 23, 8
	s_delay_alu instid0(VALU_DEP_1) | instskip(SKIP_1) | instid1(VALU_DEP_2)
	v_sub_nc_u32_e32 v134, 0x70, v69
	v_cmp_gt_u32_e32 vcc_lo, 0x71, v69
	v_dual_cndmask_b32 v134, 0, v134 :: v_dual_and_b32 v133, 0x7fffff, v53
	s_delay_alu instid0(VALU_DEP_1) | instskip(SKIP_2) | instid1(VALU_DEP_4)
	v_or_b32_e32 v135, 0x800000, v133
	v_cmp_eq_u32_e32 vcc_lo, 0, v69
	v_add_nc_u32_e32 v69, 0xffffff91, v69
	v_cndmask_b32_e64 v134, v134, 0x6f, vcc_lo
	s_delay_alu instid0(VALU_DEP_4) | instskip(NEXT) | instid1(VALU_DEP_3)
	v_cndmask_b32_e32 v133, v135, v133, vcc_lo
	v_cndmask_b32_e64 v69, v69, 0xffffff92, vcc_lo
	s_delay_alu instid0(VALU_DEP_3) | instskip(NEXT) | instid1(VALU_DEP_3)
	v_lshl_add_u32 v135, 0x200000, v134, -1
	v_lshrrev_b32_e32 v144, v134, v133
	v_lshlrev_b32_e64 v146, v134, 0x100000
	s_delay_alu instid0(VALU_DEP_4) | instskip(NEXT) | instid1(VALU_DEP_4)
	v_add_nc_u32_e32 v134, v134, v69
	v_and_b32_e32 v133, v135, v133
	s_delay_alu instid0(VALU_DEP_4) | instskip(NEXT) | instid1(VALU_DEP_2)
	v_bfe_u32 v145, v144, 21, 1
	v_cmp_eq_u32_e64 s13, v133, v146
	s_delay_alu instid0(VALU_DEP_2) | instskip(NEXT) | instid1(VALU_DEP_1)
	v_add_nc_u32_e32 v135, -1, v145
	v_cndmask_b32_e64 v133, 0, v135, s13
	v_lshrrev_b32_e32 v135, 23, v144
	s_mov_b32 s13, exec_lo
	s_delay_alu instid0(VALU_DEP_2) | instskip(NEXT) | instid1(VALU_DEP_2)
	v_add_nc_u32_e32 v133, v133, v144
	v_xor_b32_e32 v135, 1, v135
	s_delay_alu instid0(VALU_DEP_2) | instskip(NEXT) | instid1(VALU_DEP_1)
	v_and_b32_e32 v69, 0x1fffff, v133
	v_add_nc_u32_e32 v133, v69, v144
                                        ; implicit-def: $vgpr69
	s_delay_alu instid0(VALU_DEP_3)
	v_cmpx_ne_u32_e64 v134, v135
	s_xor_b32 s13, exec_lo, s13
; %bb.6859:                             ;   in Loop: Header=BB4_6830 Depth=3
	s_delay_alu instid0(VALU_DEP_2) | instskip(SKIP_2) | instid1(VALU_DEP_2)
	v_cmp_lt_u32_e32 vcc_lo, 0xffffff, v133
	v_sub_nc_u32_e32 v69, v134, v135
	v_cndmask_b32_e64 v134, 0, 1, vcc_lo
	v_add_co_ci_u32_e32 v69, vcc_lo, 0, v69, vcc_lo
	s_delay_alu instid0(VALU_DEP_2)
	v_lshrrev_b32_e32 v133, v134, v133
; %bb.6860:                             ;   in Loop: Header=BB4_6830 Depth=3
	s_and_not1_saveexec_b32 s13, s13
; %bb.6861:                             ;   in Loop: Header=BB4_6830 Depth=3
	s_delay_alu instid0(VALU_DEP_1)
	v_bfe_u32 v69, v133, 23, 1
; %bb.6862:                             ;   in Loop: Header=BB4_6830 Depth=3
	s_or_b32 exec_lo, exec_lo, s13
	v_lshrrev_b32_e32 v133, 21, v133
	s_delay_alu instid0(VALU_DEP_2) | instskip(SKIP_2) | instid1(VALU_DEP_4)
	v_cmp_gt_i32_e32 vcc_lo, 32, v69
	v_lshrrev_b32_e32 v53, 24, v53
	v_min_i32_e32 v134, 31, v69
	v_cndmask_b32_e32 v133, 3, v133, vcc_lo
	s_delay_alu instid0(VALU_DEP_3) | instskip(NEXT) | instid1(VALU_DEP_3)
	v_and_b32_e32 v53, 0x80, v53
	v_lshlrev_b32_e32 v134, 2, v134
	s_delay_alu instid0(VALU_DEP_3) | instskip(SKIP_1) | instid1(VALU_DEP_2)
	v_and_b32_e32 v135, 3, v133
	v_or_b32_e32 v69, v69, v133
	v_or3_b32 v53, v134, v53, v135
	s_delay_alu instid0(VALU_DEP_2) | instskip(NEXT) | instid1(VALU_DEP_2)
	v_cmp_ne_u32_e32 vcc_lo, 0, v69
	v_cndmask_b32_e32 v144, 0, v53, vcc_lo
.LBB4_6863:                             ;   in Loop: Header=BB4_6830 Depth=3
	s_or_b32 exec_lo, exec_lo, s30
.LBB4_6864:                             ;   in Loop: Header=BB4_6830 Depth=3
	s_delay_alu instid0(SALU_CYCLE_1)
	s_or_b32 exec_lo, exec_lo, s17
	flat_load_u8 v53, v[8:9] offset:64 slc dlc
	s_mov_b32 s13, 0
	s_mov_b32 s30, exec_lo
                                        ; implicit-def: $sgpr17
	s_waitcnt vmcnt(0) lgkmcnt(0)
	v_cmpx_lt_i16_e32 0x7f, v53
	s_xor_b32 s30, exec_lo, s30
	s_cbranch_execnz .LBB4_7297
; %bb.6865:                             ;   in Loop: Header=BB4_6830 Depth=3
	s_or_saveexec_b32 s30, s30
	v_mov_b32_e32 v69, s17
	s_xor_b32 exec_lo, exec_lo, s30
	s_cbranch_execnz .LBB4_7300
.LBB4_6866:                             ;   in Loop: Header=BB4_6830 Depth=3
	s_or_b32 exec_lo, exec_lo, s30
	s_and_saveexec_b32 s17, s13
	s_cbranch_execz .LBB4_6868
.LBB4_6867:                             ;   in Loop: Header=BB4_6830 Depth=3
	v_and_b32_e32 v69, 0xffff, v53
	v_lshlrev_b32_e32 v53, 24, v53
	s_delay_alu instid0(VALU_DEP_2) | instskip(NEXT) | instid1(VALU_DEP_2)
	v_and_b32_e32 v133, 3, v69
	v_and_b32_e32 v53, 0x80000000, v53
	s_delay_alu instid0(VALU_DEP_2) | instskip(NEXT) | instid1(VALU_DEP_1)
	v_clz_i32_u32_e32 v134, v133
	v_min_u32_e32 v134, 32, v134
	s_delay_alu instid0(VALU_DEP_1) | instskip(SKIP_1) | instid1(VALU_DEP_2)
	v_subrev_nc_u32_e32 v135, 29, v134
	v_sub_nc_u32_e32 v134, 30, v134
	v_lshlrev_b32_e32 v135, v135, v69
	v_bfe_u32 v69, v69, 2, 5
	s_delay_alu instid0(VALU_DEP_2) | instskip(NEXT) | instid1(VALU_DEP_2)
	v_and_b32_e32 v135, 3, v135
	v_cmp_eq_u32_e32 vcc_lo, 0, v69
	v_cndmask_b32_e32 v69, v69, v134, vcc_lo
	s_delay_alu instid0(VALU_DEP_3) | instskip(NEXT) | instid1(VALU_DEP_2)
	v_cndmask_b32_e32 v133, v133, v135, vcc_lo
	v_lshl_add_u32 v69, v69, 23, 0x37800000
	s_delay_alu instid0(VALU_DEP_2) | instskip(NEXT) | instid1(VALU_DEP_1)
	v_lshlrev_b32_e32 v133, 21, v133
	v_or3_b32 v69, v53, v69, v133
.LBB4_6868:                             ;   in Loop: Header=BB4_6830 Depth=3
	s_or_b32 exec_lo, exec_lo, s17
	s_delay_alu instid0(VALU_DEP_1) | instskip(SKIP_1) | instid1(VALU_DEP_1)
	v_dual_mul_f32 v53, v54, v69 :: v_dual_mov_b32 v150, 0x80
	s_mov_b32 s17, exec_lo
	v_and_b32_e32 v69, 0x7f800000, v53
	s_delay_alu instid0(VALU_DEP_1)
	v_cmpx_ne_u32_e32 0x7f800000, v69
	s_cbranch_execz .LBB4_6876
; %bb.6869:                             ;   in Loop: Header=BB4_6830 Depth=3
	v_mov_b32_e32 v150, 0
	s_mov_b32 s30, exec_lo
	v_cmpx_ne_u32_e32 0, v53
	s_cbranch_execz .LBB4_6875
; %bb.6870:                             ;   in Loop: Header=BB4_6830 Depth=3
	v_bfe_u32 v69, v53, 23, 8
	s_delay_alu instid0(VALU_DEP_1) | instskip(SKIP_1) | instid1(VALU_DEP_2)
	v_sub_nc_u32_e32 v134, 0x70, v69
	v_cmp_gt_u32_e32 vcc_lo, 0x71, v69
	v_dual_cndmask_b32 v134, 0, v134 :: v_dual_and_b32 v133, 0x7fffff, v53
	s_delay_alu instid0(VALU_DEP_1) | instskip(SKIP_2) | instid1(VALU_DEP_4)
	v_or_b32_e32 v135, 0x800000, v133
	v_cmp_eq_u32_e32 vcc_lo, 0, v69
	v_add_nc_u32_e32 v69, 0xffffff91, v69
	v_cndmask_b32_e64 v134, v134, 0x6f, vcc_lo
	s_delay_alu instid0(VALU_DEP_4) | instskip(NEXT) | instid1(VALU_DEP_3)
	v_cndmask_b32_e32 v133, v135, v133, vcc_lo
	v_cndmask_b32_e64 v69, v69, 0xffffff92, vcc_lo
	s_delay_alu instid0(VALU_DEP_3) | instskip(NEXT) | instid1(VALU_DEP_3)
	v_lshl_add_u32 v135, 0x200000, v134, -1
	v_lshrrev_b32_e32 v145, v134, v133
	v_lshlrev_b32_e64 v147, v134, 0x100000
	s_delay_alu instid0(VALU_DEP_4) | instskip(NEXT) | instid1(VALU_DEP_4)
	v_add_nc_u32_e32 v134, v134, v69
	v_and_b32_e32 v133, v135, v133
	s_delay_alu instid0(VALU_DEP_4) | instskip(NEXT) | instid1(VALU_DEP_2)
	v_bfe_u32 v146, v145, 21, 1
	v_cmp_eq_u32_e64 s13, v133, v147
	s_delay_alu instid0(VALU_DEP_2) | instskip(NEXT) | instid1(VALU_DEP_1)
	v_add_nc_u32_e32 v135, -1, v146
	v_cndmask_b32_e64 v133, 0, v135, s13
	v_lshrrev_b32_e32 v135, 23, v145
	s_mov_b32 s13, exec_lo
	s_delay_alu instid0(VALU_DEP_2) | instskip(NEXT) | instid1(VALU_DEP_2)
	v_add_nc_u32_e32 v133, v133, v145
	v_xor_b32_e32 v135, 1, v135
	s_delay_alu instid0(VALU_DEP_2) | instskip(NEXT) | instid1(VALU_DEP_1)
	v_and_b32_e32 v69, 0x1fffff, v133
	v_add_nc_u32_e32 v133, v69, v145
                                        ; implicit-def: $vgpr69
	s_delay_alu instid0(VALU_DEP_3)
	v_cmpx_ne_u32_e64 v134, v135
	s_xor_b32 s13, exec_lo, s13
; %bb.6871:                             ;   in Loop: Header=BB4_6830 Depth=3
	s_delay_alu instid0(VALU_DEP_2) | instskip(SKIP_2) | instid1(VALU_DEP_2)
	v_cmp_lt_u32_e32 vcc_lo, 0xffffff, v133
	v_sub_nc_u32_e32 v69, v134, v135
	v_cndmask_b32_e64 v134, 0, 1, vcc_lo
	v_add_co_ci_u32_e32 v69, vcc_lo, 0, v69, vcc_lo
	s_delay_alu instid0(VALU_DEP_2)
	v_lshrrev_b32_e32 v133, v134, v133
; %bb.6872:                             ;   in Loop: Header=BB4_6830 Depth=3
	s_and_not1_saveexec_b32 s13, s13
; %bb.6873:                             ;   in Loop: Header=BB4_6830 Depth=3
	s_delay_alu instid0(VALU_DEP_1)
	v_bfe_u32 v69, v133, 23, 1
; %bb.6874:                             ;   in Loop: Header=BB4_6830 Depth=3
	s_or_b32 exec_lo, exec_lo, s13
	v_lshrrev_b32_e32 v133, 21, v133
	s_delay_alu instid0(VALU_DEP_2) | instskip(SKIP_2) | instid1(VALU_DEP_4)
	v_cmp_gt_i32_e32 vcc_lo, 32, v69
	v_lshrrev_b32_e32 v53, 24, v53
	v_min_i32_e32 v134, 31, v69
	v_cndmask_b32_e32 v133, 3, v133, vcc_lo
	s_delay_alu instid0(VALU_DEP_3) | instskip(NEXT) | instid1(VALU_DEP_3)
	v_and_b32_e32 v53, 0x80, v53
	v_lshlrev_b32_e32 v134, 2, v134
	s_delay_alu instid0(VALU_DEP_3) | instskip(SKIP_1) | instid1(VALU_DEP_2)
	v_and_b32_e32 v135, 3, v133
	v_or_b32_e32 v69, v69, v133
	v_or3_b32 v53, v134, v53, v135
	s_delay_alu instid0(VALU_DEP_2) | instskip(NEXT) | instid1(VALU_DEP_2)
	v_cmp_ne_u32_e32 vcc_lo, 0, v69
	v_cndmask_b32_e32 v150, 0, v53, vcc_lo
.LBB4_6875:                             ;   in Loop: Header=BB4_6830 Depth=3
	s_or_b32 exec_lo, exec_lo, s30
.LBB4_6876:                             ;   in Loop: Header=BB4_6830 Depth=3
	s_delay_alu instid0(SALU_CYCLE_1)
	s_or_b32 exec_lo, exec_lo, s17
	flat_load_u8 v53, v[8:9] offset:96 slc dlc
	s_mov_b32 s13, 0
	s_mov_b32 s30, exec_lo
                                        ; implicit-def: $sgpr17
	s_waitcnt vmcnt(0) lgkmcnt(0)
	v_cmpx_lt_i16_e32 0x7f, v53
	s_xor_b32 s30, exec_lo, s30
	s_cbranch_execnz .LBB4_7301
; %bb.6877:                             ;   in Loop: Header=BB4_6830 Depth=3
	s_or_saveexec_b32 s30, s30
	v_mov_b32_e32 v69, s17
	s_xor_b32 exec_lo, exec_lo, s30
	s_cbranch_execnz .LBB4_7304
.LBB4_6878:                             ;   in Loop: Header=BB4_6830 Depth=3
	s_or_b32 exec_lo, exec_lo, s30
	s_and_saveexec_b32 s17, s13
	s_cbranch_execz .LBB4_6880
.LBB4_6879:                             ;   in Loop: Header=BB4_6830 Depth=3
	v_and_b32_e32 v69, 0xffff, v53
	v_lshlrev_b32_e32 v53, 24, v53
	s_delay_alu instid0(VALU_DEP_2) | instskip(NEXT) | instid1(VALU_DEP_2)
	v_and_b32_e32 v133, 3, v69
	v_and_b32_e32 v53, 0x80000000, v53
	s_delay_alu instid0(VALU_DEP_2) | instskip(NEXT) | instid1(VALU_DEP_1)
	v_clz_i32_u32_e32 v134, v133
	v_min_u32_e32 v134, 32, v134
	s_delay_alu instid0(VALU_DEP_1) | instskip(SKIP_1) | instid1(VALU_DEP_2)
	v_subrev_nc_u32_e32 v135, 29, v134
	v_sub_nc_u32_e32 v134, 30, v134
	v_lshlrev_b32_e32 v135, v135, v69
	v_bfe_u32 v69, v69, 2, 5
	s_delay_alu instid0(VALU_DEP_2) | instskip(NEXT) | instid1(VALU_DEP_2)
	v_and_b32_e32 v135, 3, v135
	v_cmp_eq_u32_e32 vcc_lo, 0, v69
	v_cndmask_b32_e32 v69, v69, v134, vcc_lo
	s_delay_alu instid0(VALU_DEP_3) | instskip(NEXT) | instid1(VALU_DEP_2)
	v_cndmask_b32_e32 v133, v133, v135, vcc_lo
	v_lshl_add_u32 v69, v69, 23, 0x37800000
	s_delay_alu instid0(VALU_DEP_2) | instskip(NEXT) | instid1(VALU_DEP_1)
	v_lshlrev_b32_e32 v133, 21, v133
	v_or3_b32 v69, v53, v69, v133
.LBB4_6880:                             ;   in Loop: Header=BB4_6830 Depth=3
	s_or_b32 exec_lo, exec_lo, s17
	s_delay_alu instid0(VALU_DEP_1) | instskip(SKIP_2) | instid1(VALU_DEP_2)
	v_mul_f32_e32 v53, v54, v69
	v_mov_b32_e32 v163, 0x80
	s_mov_b32 s17, exec_lo
	v_and_b32_e32 v69, 0x7f800000, v53
	s_delay_alu instid0(VALU_DEP_1)
	v_cmpx_ne_u32_e32 0x7f800000, v69
	s_cbranch_execz .LBB4_6888
; %bb.6881:                             ;   in Loop: Header=BB4_6830 Depth=3
	v_mov_b32_e32 v163, 0
	s_mov_b32 s30, exec_lo
	v_cmpx_ne_u32_e32 0, v53
	s_cbranch_execz .LBB4_6887
; %bb.6882:                             ;   in Loop: Header=BB4_6830 Depth=3
	v_bfe_u32 v69, v53, 23, 8
	s_delay_alu instid0(VALU_DEP_1) | instskip(SKIP_1) | instid1(VALU_DEP_2)
	v_sub_nc_u32_e32 v134, 0x70, v69
	v_cmp_gt_u32_e32 vcc_lo, 0x71, v69
	v_dual_cndmask_b32 v134, 0, v134 :: v_dual_and_b32 v133, 0x7fffff, v53
	s_delay_alu instid0(VALU_DEP_1) | instskip(SKIP_2) | instid1(VALU_DEP_4)
	v_or_b32_e32 v135, 0x800000, v133
	v_cmp_eq_u32_e32 vcc_lo, 0, v69
	v_add_nc_u32_e32 v69, 0xffffff91, v69
	v_cndmask_b32_e64 v134, v134, 0x6f, vcc_lo
	s_delay_alu instid0(VALU_DEP_4) | instskip(NEXT) | instid1(VALU_DEP_3)
	v_cndmask_b32_e32 v133, v135, v133, vcc_lo
	v_cndmask_b32_e64 v69, v69, 0xffffff92, vcc_lo
	s_delay_alu instid0(VALU_DEP_3) | instskip(NEXT) | instid1(VALU_DEP_3)
	v_lshl_add_u32 v135, 0x200000, v134, -1
	v_lshrrev_b32_e32 v145, v134, v133
	v_lshlrev_b32_e64 v147, v134, 0x100000
	s_delay_alu instid0(VALU_DEP_4) | instskip(NEXT) | instid1(VALU_DEP_4)
	v_add_nc_u32_e32 v134, v134, v69
	v_and_b32_e32 v133, v135, v133
	s_delay_alu instid0(VALU_DEP_4) | instskip(NEXT) | instid1(VALU_DEP_2)
	v_bfe_u32 v146, v145, 21, 1
	v_cmp_eq_u32_e64 s13, v133, v147
	s_delay_alu instid0(VALU_DEP_2) | instskip(NEXT) | instid1(VALU_DEP_1)
	v_add_nc_u32_e32 v135, -1, v146
	v_cndmask_b32_e64 v133, 0, v135, s13
	v_lshrrev_b32_e32 v135, 23, v145
	s_mov_b32 s13, exec_lo
	s_delay_alu instid0(VALU_DEP_2) | instskip(NEXT) | instid1(VALU_DEP_2)
	v_add_nc_u32_e32 v133, v133, v145
	v_xor_b32_e32 v135, 1, v135
	s_delay_alu instid0(VALU_DEP_2) | instskip(NEXT) | instid1(VALU_DEP_1)
	v_and_b32_e32 v69, 0x1fffff, v133
	v_add_nc_u32_e32 v133, v69, v145
                                        ; implicit-def: $vgpr69
	s_delay_alu instid0(VALU_DEP_3)
	v_cmpx_ne_u32_e64 v134, v135
	s_xor_b32 s13, exec_lo, s13
; %bb.6883:                             ;   in Loop: Header=BB4_6830 Depth=3
	s_delay_alu instid0(VALU_DEP_2) | instskip(SKIP_2) | instid1(VALU_DEP_2)
	v_cmp_lt_u32_e32 vcc_lo, 0xffffff, v133
	v_sub_nc_u32_e32 v69, v134, v135
	v_cndmask_b32_e64 v134, 0, 1, vcc_lo
	v_add_co_ci_u32_e32 v69, vcc_lo, 0, v69, vcc_lo
	s_delay_alu instid0(VALU_DEP_2)
	v_lshrrev_b32_e32 v133, v134, v133
; %bb.6884:                             ;   in Loop: Header=BB4_6830 Depth=3
	s_and_not1_saveexec_b32 s13, s13
; %bb.6885:                             ;   in Loop: Header=BB4_6830 Depth=3
	s_delay_alu instid0(VALU_DEP_1)
	v_bfe_u32 v69, v133, 23, 1
; %bb.6886:                             ;   in Loop: Header=BB4_6830 Depth=3
	s_or_b32 exec_lo, exec_lo, s13
	v_lshrrev_b32_e32 v133, 21, v133
	s_delay_alu instid0(VALU_DEP_2) | instskip(SKIP_2) | instid1(VALU_DEP_4)
	v_cmp_gt_i32_e32 vcc_lo, 32, v69
	v_lshrrev_b32_e32 v53, 24, v53
	v_min_i32_e32 v134, 31, v69
	v_cndmask_b32_e32 v133, 3, v133, vcc_lo
	s_delay_alu instid0(VALU_DEP_3) | instskip(NEXT) | instid1(VALU_DEP_3)
	v_and_b32_e32 v53, 0x80, v53
	v_lshlrev_b32_e32 v134, 2, v134
	s_delay_alu instid0(VALU_DEP_3) | instskip(SKIP_1) | instid1(VALU_DEP_2)
	v_and_b32_e32 v135, 3, v133
	v_or_b32_e32 v69, v69, v133
	v_or3_b32 v53, v134, v53, v135
	s_delay_alu instid0(VALU_DEP_2) | instskip(NEXT) | instid1(VALU_DEP_2)
	v_cmp_ne_u32_e32 vcc_lo, 0, v69
	v_cndmask_b32_e32 v163, 0, v53, vcc_lo
.LBB4_6887:                             ;   in Loop: Header=BB4_6830 Depth=3
	s_or_b32 exec_lo, exec_lo, s30
.LBB4_6888:                             ;   in Loop: Header=BB4_6830 Depth=3
	s_delay_alu instid0(SALU_CYCLE_1)
	s_or_b32 exec_lo, exec_lo, s17
	flat_load_u8 v53, v[8:9] offset:128 slc dlc
	s_mov_b32 s13, 0
	s_mov_b32 s30, exec_lo
                                        ; implicit-def: $sgpr17
	s_waitcnt vmcnt(0) lgkmcnt(0)
	v_cmpx_lt_i16_e32 0x7f, v53
	s_xor_b32 s30, exec_lo, s30
	s_cbranch_execnz .LBB4_7305
; %bb.6889:                             ;   in Loop: Header=BB4_6830 Depth=3
	s_or_saveexec_b32 s30, s30
	v_mov_b32_e32 v69, s17
	s_xor_b32 exec_lo, exec_lo, s30
	s_cbranch_execnz .LBB4_7308
.LBB4_6890:                             ;   in Loop: Header=BB4_6830 Depth=3
	s_or_b32 exec_lo, exec_lo, s30
	s_and_saveexec_b32 s17, s13
	s_cbranch_execz .LBB4_6892
.LBB4_6891:                             ;   in Loop: Header=BB4_6830 Depth=3
	v_and_b32_e32 v69, 0xffff, v53
	v_lshlrev_b32_e32 v53, 24, v53
	s_delay_alu instid0(VALU_DEP_2) | instskip(NEXT) | instid1(VALU_DEP_2)
	v_and_b32_e32 v133, 3, v69
	v_and_b32_e32 v53, 0x80000000, v53
	s_delay_alu instid0(VALU_DEP_2) | instskip(NEXT) | instid1(VALU_DEP_1)
	v_clz_i32_u32_e32 v134, v133
	v_min_u32_e32 v134, 32, v134
	s_delay_alu instid0(VALU_DEP_1) | instskip(SKIP_1) | instid1(VALU_DEP_2)
	v_subrev_nc_u32_e32 v135, 29, v134
	v_sub_nc_u32_e32 v134, 30, v134
	v_lshlrev_b32_e32 v135, v135, v69
	v_bfe_u32 v69, v69, 2, 5
	s_delay_alu instid0(VALU_DEP_2) | instskip(NEXT) | instid1(VALU_DEP_2)
	v_and_b32_e32 v135, 3, v135
	v_cmp_eq_u32_e32 vcc_lo, 0, v69
	v_cndmask_b32_e32 v69, v69, v134, vcc_lo
	s_delay_alu instid0(VALU_DEP_3) | instskip(NEXT) | instid1(VALU_DEP_2)
	v_cndmask_b32_e32 v133, v133, v135, vcc_lo
	v_lshl_add_u32 v69, v69, 23, 0x37800000
	s_delay_alu instid0(VALU_DEP_2) | instskip(NEXT) | instid1(VALU_DEP_1)
	v_lshlrev_b32_e32 v133, 21, v133
	v_or3_b32 v69, v53, v69, v133
.LBB4_6892:                             ;   in Loop: Header=BB4_6830 Depth=3
	s_or_b32 exec_lo, exec_lo, s17
	s_delay_alu instid0(VALU_DEP_1) | instskip(SKIP_1) | instid1(VALU_DEP_1)
	v_dual_mul_f32 v53, v54, v69 :: v_dual_mov_b32 v164, 0x80
	s_mov_b32 s17, exec_lo
	v_and_b32_e32 v69, 0x7f800000, v53
	s_delay_alu instid0(VALU_DEP_1)
	v_cmpx_ne_u32_e32 0x7f800000, v69
	s_cbranch_execz .LBB4_6900
; %bb.6893:                             ;   in Loop: Header=BB4_6830 Depth=3
	v_mov_b32_e32 v164, 0
	s_mov_b32 s30, exec_lo
	v_cmpx_ne_u32_e32 0, v53
	s_cbranch_execz .LBB4_6899
; %bb.6894:                             ;   in Loop: Header=BB4_6830 Depth=3
	v_bfe_u32 v69, v53, 23, 8
	s_delay_alu instid0(VALU_DEP_1) | instskip(SKIP_1) | instid1(VALU_DEP_2)
	v_sub_nc_u32_e32 v134, 0x70, v69
	v_cmp_gt_u32_e32 vcc_lo, 0x71, v69
	v_dual_cndmask_b32 v134, 0, v134 :: v_dual_and_b32 v133, 0x7fffff, v53
	s_delay_alu instid0(VALU_DEP_1) | instskip(SKIP_2) | instid1(VALU_DEP_4)
	v_or_b32_e32 v135, 0x800000, v133
	v_cmp_eq_u32_e32 vcc_lo, 0, v69
	v_add_nc_u32_e32 v69, 0xffffff91, v69
	v_cndmask_b32_e64 v134, v134, 0x6f, vcc_lo
	s_delay_alu instid0(VALU_DEP_4) | instskip(NEXT) | instid1(VALU_DEP_3)
	v_cndmask_b32_e32 v133, v135, v133, vcc_lo
	v_cndmask_b32_e64 v69, v69, 0xffffff92, vcc_lo
	s_delay_alu instid0(VALU_DEP_3) | instskip(NEXT) | instid1(VALU_DEP_3)
	v_lshl_add_u32 v135, 0x200000, v134, -1
	v_lshrrev_b32_e32 v145, v134, v133
	v_lshlrev_b32_e64 v147, v134, 0x100000
	s_delay_alu instid0(VALU_DEP_4) | instskip(NEXT) | instid1(VALU_DEP_4)
	v_add_nc_u32_e32 v134, v134, v69
	v_and_b32_e32 v133, v135, v133
	s_delay_alu instid0(VALU_DEP_4) | instskip(NEXT) | instid1(VALU_DEP_2)
	v_bfe_u32 v146, v145, 21, 1
	v_cmp_eq_u32_e64 s13, v133, v147
	s_delay_alu instid0(VALU_DEP_2) | instskip(NEXT) | instid1(VALU_DEP_1)
	v_add_nc_u32_e32 v135, -1, v146
	v_cndmask_b32_e64 v133, 0, v135, s13
	v_lshrrev_b32_e32 v135, 23, v145
	s_mov_b32 s13, exec_lo
	s_delay_alu instid0(VALU_DEP_2) | instskip(NEXT) | instid1(VALU_DEP_2)
	v_add_nc_u32_e32 v133, v133, v145
	v_xor_b32_e32 v135, 1, v135
	s_delay_alu instid0(VALU_DEP_2) | instskip(NEXT) | instid1(VALU_DEP_1)
	v_and_b32_e32 v69, 0x1fffff, v133
	v_add_nc_u32_e32 v133, v69, v145
                                        ; implicit-def: $vgpr69
	s_delay_alu instid0(VALU_DEP_3)
	v_cmpx_ne_u32_e64 v134, v135
	s_xor_b32 s13, exec_lo, s13
; %bb.6895:                             ;   in Loop: Header=BB4_6830 Depth=3
	s_delay_alu instid0(VALU_DEP_2) | instskip(SKIP_2) | instid1(VALU_DEP_2)
	v_cmp_lt_u32_e32 vcc_lo, 0xffffff, v133
	v_sub_nc_u32_e32 v69, v134, v135
	v_cndmask_b32_e64 v134, 0, 1, vcc_lo
	v_add_co_ci_u32_e32 v69, vcc_lo, 0, v69, vcc_lo
	s_delay_alu instid0(VALU_DEP_2)
	v_lshrrev_b32_e32 v133, v134, v133
; %bb.6896:                             ;   in Loop: Header=BB4_6830 Depth=3
	s_and_not1_saveexec_b32 s13, s13
; %bb.6897:                             ;   in Loop: Header=BB4_6830 Depth=3
	s_delay_alu instid0(VALU_DEP_1)
	v_bfe_u32 v69, v133, 23, 1
; %bb.6898:                             ;   in Loop: Header=BB4_6830 Depth=3
	s_or_b32 exec_lo, exec_lo, s13
	v_lshrrev_b32_e32 v133, 21, v133
	s_delay_alu instid0(VALU_DEP_2) | instskip(SKIP_2) | instid1(VALU_DEP_4)
	v_cmp_gt_i32_e32 vcc_lo, 32, v69
	v_lshrrev_b32_e32 v53, 24, v53
	v_min_i32_e32 v134, 31, v69
	v_cndmask_b32_e32 v133, 3, v133, vcc_lo
	s_delay_alu instid0(VALU_DEP_3) | instskip(NEXT) | instid1(VALU_DEP_3)
	v_and_b32_e32 v53, 0x80, v53
	v_lshlrev_b32_e32 v134, 2, v134
	s_delay_alu instid0(VALU_DEP_3) | instskip(SKIP_1) | instid1(VALU_DEP_2)
	v_and_b32_e32 v135, 3, v133
	v_or_b32_e32 v69, v69, v133
	v_or3_b32 v53, v134, v53, v135
	s_delay_alu instid0(VALU_DEP_2) | instskip(NEXT) | instid1(VALU_DEP_2)
	v_cmp_ne_u32_e32 vcc_lo, 0, v69
	v_cndmask_b32_e32 v164, 0, v53, vcc_lo
.LBB4_6899:                             ;   in Loop: Header=BB4_6830 Depth=3
	s_or_b32 exec_lo, exec_lo, s30
.LBB4_6900:                             ;   in Loop: Header=BB4_6830 Depth=3
	s_delay_alu instid0(SALU_CYCLE_1)
	s_or_b32 exec_lo, exec_lo, s17
	flat_load_u8 v53, v[8:9] offset:160 slc dlc
	s_mov_b32 s13, 0
	s_mov_b32 s30, exec_lo
                                        ; implicit-def: $sgpr17
	s_waitcnt vmcnt(0) lgkmcnt(0)
	v_cmpx_lt_i16_e32 0x7f, v53
	s_xor_b32 s30, exec_lo, s30
	s_cbranch_execnz .LBB4_7309
; %bb.6901:                             ;   in Loop: Header=BB4_6830 Depth=3
	s_or_saveexec_b32 s30, s30
	v_mov_b32_e32 v69, s17
	s_xor_b32 exec_lo, exec_lo, s30
	s_cbranch_execnz .LBB4_7312
.LBB4_6902:                             ;   in Loop: Header=BB4_6830 Depth=3
	s_or_b32 exec_lo, exec_lo, s30
	s_and_saveexec_b32 s17, s13
	s_cbranch_execz .LBB4_6904
.LBB4_6903:                             ;   in Loop: Header=BB4_6830 Depth=3
	v_and_b32_e32 v69, 0xffff, v53
	v_lshlrev_b32_e32 v53, 24, v53
	s_delay_alu instid0(VALU_DEP_2) | instskip(NEXT) | instid1(VALU_DEP_2)
	v_and_b32_e32 v133, 3, v69
	v_and_b32_e32 v53, 0x80000000, v53
	s_delay_alu instid0(VALU_DEP_2) | instskip(NEXT) | instid1(VALU_DEP_1)
	v_clz_i32_u32_e32 v134, v133
	v_min_u32_e32 v134, 32, v134
	s_delay_alu instid0(VALU_DEP_1) | instskip(SKIP_1) | instid1(VALU_DEP_2)
	v_subrev_nc_u32_e32 v135, 29, v134
	v_sub_nc_u32_e32 v134, 30, v134
	v_lshlrev_b32_e32 v135, v135, v69
	v_bfe_u32 v69, v69, 2, 5
	s_delay_alu instid0(VALU_DEP_2) | instskip(NEXT) | instid1(VALU_DEP_2)
	v_and_b32_e32 v135, 3, v135
	v_cmp_eq_u32_e32 vcc_lo, 0, v69
	v_cndmask_b32_e32 v69, v69, v134, vcc_lo
	s_delay_alu instid0(VALU_DEP_3) | instskip(NEXT) | instid1(VALU_DEP_2)
	v_cndmask_b32_e32 v133, v133, v135, vcc_lo
	v_lshl_add_u32 v69, v69, 23, 0x37800000
	s_delay_alu instid0(VALU_DEP_2) | instskip(NEXT) | instid1(VALU_DEP_1)
	v_lshlrev_b32_e32 v133, 21, v133
	v_or3_b32 v69, v53, v69, v133
.LBB4_6904:                             ;   in Loop: Header=BB4_6830 Depth=3
	s_or_b32 exec_lo, exec_lo, s17
	s_delay_alu instid0(VALU_DEP_1) | instskip(SKIP_1) | instid1(VALU_DEP_1)
	v_dual_mul_f32 v53, v54, v69 :: v_dual_mov_b32 v162, 0x80
	s_mov_b32 s17, exec_lo
	v_and_b32_e32 v69, 0x7f800000, v53
	s_delay_alu instid0(VALU_DEP_1)
	v_cmpx_ne_u32_e32 0x7f800000, v69
	s_cbranch_execz .LBB4_6912
; %bb.6905:                             ;   in Loop: Header=BB4_6830 Depth=3
	v_mov_b32_e32 v162, 0
	s_mov_b32 s30, exec_lo
	v_cmpx_ne_u32_e32 0, v53
	s_cbranch_execz .LBB4_6911
; %bb.6906:                             ;   in Loop: Header=BB4_6830 Depth=3
	v_bfe_u32 v69, v53, 23, 8
	s_delay_alu instid0(VALU_DEP_1) | instskip(SKIP_1) | instid1(VALU_DEP_2)
	v_sub_nc_u32_e32 v134, 0x70, v69
	v_cmp_gt_u32_e32 vcc_lo, 0x71, v69
	v_dual_cndmask_b32 v134, 0, v134 :: v_dual_and_b32 v133, 0x7fffff, v53
	s_delay_alu instid0(VALU_DEP_1) | instskip(SKIP_2) | instid1(VALU_DEP_4)
	v_or_b32_e32 v135, 0x800000, v133
	v_cmp_eq_u32_e32 vcc_lo, 0, v69
	v_add_nc_u32_e32 v69, 0xffffff91, v69
	v_cndmask_b32_e64 v134, v134, 0x6f, vcc_lo
	s_delay_alu instid0(VALU_DEP_4) | instskip(NEXT) | instid1(VALU_DEP_3)
	v_cndmask_b32_e32 v133, v135, v133, vcc_lo
	v_cndmask_b32_e64 v69, v69, 0xffffff92, vcc_lo
	s_delay_alu instid0(VALU_DEP_3) | instskip(NEXT) | instid1(VALU_DEP_3)
	v_lshl_add_u32 v135, 0x200000, v134, -1
	v_lshrrev_b32_e32 v145, v134, v133
	v_lshlrev_b32_e64 v147, v134, 0x100000
	s_delay_alu instid0(VALU_DEP_4) | instskip(NEXT) | instid1(VALU_DEP_4)
	v_add_nc_u32_e32 v134, v134, v69
	v_and_b32_e32 v133, v135, v133
	s_delay_alu instid0(VALU_DEP_4) | instskip(NEXT) | instid1(VALU_DEP_2)
	v_bfe_u32 v146, v145, 21, 1
	v_cmp_eq_u32_e64 s13, v133, v147
	s_delay_alu instid0(VALU_DEP_2) | instskip(NEXT) | instid1(VALU_DEP_1)
	v_add_nc_u32_e32 v135, -1, v146
	v_cndmask_b32_e64 v133, 0, v135, s13
	v_lshrrev_b32_e32 v135, 23, v145
	s_mov_b32 s13, exec_lo
	s_delay_alu instid0(VALU_DEP_2) | instskip(NEXT) | instid1(VALU_DEP_2)
	v_add_nc_u32_e32 v133, v133, v145
	v_xor_b32_e32 v135, 1, v135
	s_delay_alu instid0(VALU_DEP_2) | instskip(NEXT) | instid1(VALU_DEP_1)
	v_and_b32_e32 v69, 0x1fffff, v133
	v_add_nc_u32_e32 v133, v69, v145
                                        ; implicit-def: $vgpr69
	s_delay_alu instid0(VALU_DEP_3)
	v_cmpx_ne_u32_e64 v134, v135
	s_xor_b32 s13, exec_lo, s13
; %bb.6907:                             ;   in Loop: Header=BB4_6830 Depth=3
	s_delay_alu instid0(VALU_DEP_2) | instskip(SKIP_2) | instid1(VALU_DEP_2)
	v_cmp_lt_u32_e32 vcc_lo, 0xffffff, v133
	v_sub_nc_u32_e32 v69, v134, v135
	v_cndmask_b32_e64 v134, 0, 1, vcc_lo
	v_add_co_ci_u32_e32 v69, vcc_lo, 0, v69, vcc_lo
	s_delay_alu instid0(VALU_DEP_2)
	v_lshrrev_b32_e32 v133, v134, v133
; %bb.6908:                             ;   in Loop: Header=BB4_6830 Depth=3
	s_and_not1_saveexec_b32 s13, s13
; %bb.6909:                             ;   in Loop: Header=BB4_6830 Depth=3
	s_delay_alu instid0(VALU_DEP_1)
	v_bfe_u32 v69, v133, 23, 1
; %bb.6910:                             ;   in Loop: Header=BB4_6830 Depth=3
	s_or_b32 exec_lo, exec_lo, s13
	v_lshrrev_b32_e32 v133, 21, v133
	s_delay_alu instid0(VALU_DEP_2) | instskip(SKIP_2) | instid1(VALU_DEP_4)
	v_cmp_gt_i32_e32 vcc_lo, 32, v69
	v_lshrrev_b32_e32 v53, 24, v53
	v_min_i32_e32 v134, 31, v69
	v_cndmask_b32_e32 v133, 3, v133, vcc_lo
	s_delay_alu instid0(VALU_DEP_3) | instskip(NEXT) | instid1(VALU_DEP_3)
	v_and_b32_e32 v53, 0x80, v53
	v_lshlrev_b32_e32 v134, 2, v134
	s_delay_alu instid0(VALU_DEP_3) | instskip(SKIP_1) | instid1(VALU_DEP_2)
	v_and_b32_e32 v135, 3, v133
	v_or_b32_e32 v69, v69, v133
	v_or3_b32 v53, v134, v53, v135
	s_delay_alu instid0(VALU_DEP_2) | instskip(NEXT) | instid1(VALU_DEP_2)
	v_cmp_ne_u32_e32 vcc_lo, 0, v69
	v_cndmask_b32_e32 v162, 0, v53, vcc_lo
.LBB4_6911:                             ;   in Loop: Header=BB4_6830 Depth=3
	s_or_b32 exec_lo, exec_lo, s30
.LBB4_6912:                             ;   in Loop: Header=BB4_6830 Depth=3
	s_delay_alu instid0(SALU_CYCLE_1)
	s_or_b32 exec_lo, exec_lo, s17
	flat_load_u8 v53, v[8:9] offset:192 slc dlc
	s_mov_b32 s13, 0
	s_mov_b32 s30, exec_lo
                                        ; implicit-def: $sgpr17
	s_waitcnt vmcnt(0) lgkmcnt(0)
	v_cmpx_lt_i16_e32 0x7f, v53
	s_xor_b32 s30, exec_lo, s30
	s_cbranch_execnz .LBB4_7313
; %bb.6913:                             ;   in Loop: Header=BB4_6830 Depth=3
	s_or_saveexec_b32 s30, s30
	v_mov_b32_e32 v69, s17
	s_xor_b32 exec_lo, exec_lo, s30
	s_cbranch_execnz .LBB4_7316
.LBB4_6914:                             ;   in Loop: Header=BB4_6830 Depth=3
	s_or_b32 exec_lo, exec_lo, s30
	s_and_saveexec_b32 s17, s13
	s_cbranch_execz .LBB4_6916
.LBB4_6915:                             ;   in Loop: Header=BB4_6830 Depth=3
	v_and_b32_e32 v69, 0xffff, v53
	v_lshlrev_b32_e32 v53, 24, v53
	s_delay_alu instid0(VALU_DEP_2) | instskip(NEXT) | instid1(VALU_DEP_2)
	v_and_b32_e32 v133, 3, v69
	v_and_b32_e32 v53, 0x80000000, v53
	s_delay_alu instid0(VALU_DEP_2) | instskip(NEXT) | instid1(VALU_DEP_1)
	v_clz_i32_u32_e32 v134, v133
	v_min_u32_e32 v134, 32, v134
	s_delay_alu instid0(VALU_DEP_1) | instskip(SKIP_1) | instid1(VALU_DEP_2)
	v_subrev_nc_u32_e32 v135, 29, v134
	v_sub_nc_u32_e32 v134, 30, v134
	v_lshlrev_b32_e32 v135, v135, v69
	v_bfe_u32 v69, v69, 2, 5
	s_delay_alu instid0(VALU_DEP_2) | instskip(NEXT) | instid1(VALU_DEP_2)
	v_and_b32_e32 v135, 3, v135
	v_cmp_eq_u32_e32 vcc_lo, 0, v69
	v_cndmask_b32_e32 v69, v69, v134, vcc_lo
	s_delay_alu instid0(VALU_DEP_3) | instskip(NEXT) | instid1(VALU_DEP_2)
	v_cndmask_b32_e32 v133, v133, v135, vcc_lo
	v_lshl_add_u32 v69, v69, 23, 0x37800000
	s_delay_alu instid0(VALU_DEP_2) | instskip(NEXT) | instid1(VALU_DEP_1)
	v_lshlrev_b32_e32 v133, 21, v133
	v_or3_b32 v69, v53, v69, v133
.LBB4_6916:                             ;   in Loop: Header=BB4_6830 Depth=3
	s_or_b32 exec_lo, exec_lo, s17
	s_delay_alu instid0(VALU_DEP_1) | instskip(SKIP_2) | instid1(VALU_DEP_2)
	v_mul_f32_e32 v53, v54, v69
	v_mov_b32_e32 v161, 0x80
	s_mov_b32 s17, exec_lo
	v_and_b32_e32 v69, 0x7f800000, v53
	s_delay_alu instid0(VALU_DEP_1)
	v_cmpx_ne_u32_e32 0x7f800000, v69
	s_cbranch_execz .LBB4_6924
; %bb.6917:                             ;   in Loop: Header=BB4_6830 Depth=3
	v_mov_b32_e32 v161, 0
	s_mov_b32 s30, exec_lo
	v_cmpx_ne_u32_e32 0, v53
	s_cbranch_execz .LBB4_6923
; %bb.6918:                             ;   in Loop: Header=BB4_6830 Depth=3
	v_bfe_u32 v69, v53, 23, 8
	s_delay_alu instid0(VALU_DEP_1) | instskip(SKIP_1) | instid1(VALU_DEP_2)
	v_sub_nc_u32_e32 v134, 0x70, v69
	v_cmp_gt_u32_e32 vcc_lo, 0x71, v69
	v_dual_cndmask_b32 v134, 0, v134 :: v_dual_and_b32 v133, 0x7fffff, v53
	s_delay_alu instid0(VALU_DEP_1) | instskip(SKIP_2) | instid1(VALU_DEP_4)
	v_or_b32_e32 v135, 0x800000, v133
	v_cmp_eq_u32_e32 vcc_lo, 0, v69
	v_add_nc_u32_e32 v69, 0xffffff91, v69
	v_cndmask_b32_e64 v134, v134, 0x6f, vcc_lo
	s_delay_alu instid0(VALU_DEP_4) | instskip(NEXT) | instid1(VALU_DEP_3)
	v_cndmask_b32_e32 v133, v135, v133, vcc_lo
	v_cndmask_b32_e64 v69, v69, 0xffffff92, vcc_lo
	s_delay_alu instid0(VALU_DEP_3) | instskip(NEXT) | instid1(VALU_DEP_3)
	v_lshl_add_u32 v135, 0x200000, v134, -1
	v_lshrrev_b32_e32 v145, v134, v133
	v_lshlrev_b32_e64 v147, v134, 0x100000
	s_delay_alu instid0(VALU_DEP_4) | instskip(NEXT) | instid1(VALU_DEP_4)
	v_add_nc_u32_e32 v134, v134, v69
	v_and_b32_e32 v133, v135, v133
	s_delay_alu instid0(VALU_DEP_4) | instskip(NEXT) | instid1(VALU_DEP_2)
	v_bfe_u32 v146, v145, 21, 1
	v_cmp_eq_u32_e64 s13, v133, v147
	s_delay_alu instid0(VALU_DEP_2) | instskip(NEXT) | instid1(VALU_DEP_1)
	v_add_nc_u32_e32 v135, -1, v146
	v_cndmask_b32_e64 v133, 0, v135, s13
	v_lshrrev_b32_e32 v135, 23, v145
	s_mov_b32 s13, exec_lo
	s_delay_alu instid0(VALU_DEP_2) | instskip(NEXT) | instid1(VALU_DEP_2)
	v_add_nc_u32_e32 v133, v133, v145
	v_xor_b32_e32 v135, 1, v135
	s_delay_alu instid0(VALU_DEP_2) | instskip(NEXT) | instid1(VALU_DEP_1)
	v_and_b32_e32 v69, 0x1fffff, v133
	v_add_nc_u32_e32 v133, v69, v145
                                        ; implicit-def: $vgpr69
	s_delay_alu instid0(VALU_DEP_3)
	v_cmpx_ne_u32_e64 v134, v135
	s_xor_b32 s13, exec_lo, s13
; %bb.6919:                             ;   in Loop: Header=BB4_6830 Depth=3
	s_delay_alu instid0(VALU_DEP_2) | instskip(SKIP_2) | instid1(VALU_DEP_2)
	v_cmp_lt_u32_e32 vcc_lo, 0xffffff, v133
	v_sub_nc_u32_e32 v69, v134, v135
	v_cndmask_b32_e64 v134, 0, 1, vcc_lo
	v_add_co_ci_u32_e32 v69, vcc_lo, 0, v69, vcc_lo
	s_delay_alu instid0(VALU_DEP_2)
	v_lshrrev_b32_e32 v133, v134, v133
; %bb.6920:                             ;   in Loop: Header=BB4_6830 Depth=3
	s_and_not1_saveexec_b32 s13, s13
; %bb.6921:                             ;   in Loop: Header=BB4_6830 Depth=3
	s_delay_alu instid0(VALU_DEP_1)
	v_bfe_u32 v69, v133, 23, 1
; %bb.6922:                             ;   in Loop: Header=BB4_6830 Depth=3
	s_or_b32 exec_lo, exec_lo, s13
	v_lshrrev_b32_e32 v133, 21, v133
	s_delay_alu instid0(VALU_DEP_2) | instskip(SKIP_2) | instid1(VALU_DEP_4)
	v_cmp_gt_i32_e32 vcc_lo, 32, v69
	v_lshrrev_b32_e32 v53, 24, v53
	v_min_i32_e32 v134, 31, v69
	v_cndmask_b32_e32 v133, 3, v133, vcc_lo
	s_delay_alu instid0(VALU_DEP_3) | instskip(NEXT) | instid1(VALU_DEP_3)
	v_and_b32_e32 v53, 0x80, v53
	v_lshlrev_b32_e32 v134, 2, v134
	s_delay_alu instid0(VALU_DEP_3) | instskip(SKIP_1) | instid1(VALU_DEP_2)
	v_and_b32_e32 v135, 3, v133
	v_or_b32_e32 v69, v69, v133
	v_or3_b32 v53, v134, v53, v135
	s_delay_alu instid0(VALU_DEP_2) | instskip(NEXT) | instid1(VALU_DEP_2)
	v_cmp_ne_u32_e32 vcc_lo, 0, v69
	v_cndmask_b32_e32 v161, 0, v53, vcc_lo
.LBB4_6923:                             ;   in Loop: Header=BB4_6830 Depth=3
	s_or_b32 exec_lo, exec_lo, s30
.LBB4_6924:                             ;   in Loop: Header=BB4_6830 Depth=3
	s_delay_alu instid0(SALU_CYCLE_1)
	s_or_b32 exec_lo, exec_lo, s17
	flat_load_u8 v53, v[8:9] offset:224 slc dlc
	s_mov_b32 s13, 0
	s_mov_b32 s30, exec_lo
                                        ; implicit-def: $sgpr17
	s_waitcnt vmcnt(0) lgkmcnt(0)
	v_cmpx_lt_i16_e32 0x7f, v53
	s_xor_b32 s30, exec_lo, s30
	s_cbranch_execnz .LBB4_7317
; %bb.6925:                             ;   in Loop: Header=BB4_6830 Depth=3
	s_or_saveexec_b32 s30, s30
	v_mov_b32_e32 v69, s17
	s_xor_b32 exec_lo, exec_lo, s30
	s_cbranch_execnz .LBB4_7320
.LBB4_6926:                             ;   in Loop: Header=BB4_6830 Depth=3
	s_or_b32 exec_lo, exec_lo, s30
	s_and_saveexec_b32 s17, s13
	s_cbranch_execz .LBB4_6928
.LBB4_6927:                             ;   in Loop: Header=BB4_6830 Depth=3
	v_and_b32_e32 v69, 0xffff, v53
	v_lshlrev_b32_e32 v53, 24, v53
	s_delay_alu instid0(VALU_DEP_2) | instskip(NEXT) | instid1(VALU_DEP_2)
	v_and_b32_e32 v133, 3, v69
	v_and_b32_e32 v53, 0x80000000, v53
	s_delay_alu instid0(VALU_DEP_2) | instskip(NEXT) | instid1(VALU_DEP_1)
	v_clz_i32_u32_e32 v134, v133
	v_min_u32_e32 v134, 32, v134
	s_delay_alu instid0(VALU_DEP_1) | instskip(SKIP_1) | instid1(VALU_DEP_2)
	v_subrev_nc_u32_e32 v135, 29, v134
	v_sub_nc_u32_e32 v134, 30, v134
	v_lshlrev_b32_e32 v135, v135, v69
	v_bfe_u32 v69, v69, 2, 5
	s_delay_alu instid0(VALU_DEP_2) | instskip(NEXT) | instid1(VALU_DEP_2)
	v_and_b32_e32 v135, 3, v135
	v_cmp_eq_u32_e32 vcc_lo, 0, v69
	v_cndmask_b32_e32 v69, v69, v134, vcc_lo
	s_delay_alu instid0(VALU_DEP_3) | instskip(NEXT) | instid1(VALU_DEP_2)
	v_cndmask_b32_e32 v133, v133, v135, vcc_lo
	v_lshl_add_u32 v69, v69, 23, 0x37800000
	s_delay_alu instid0(VALU_DEP_2) | instskip(NEXT) | instid1(VALU_DEP_1)
	v_lshlrev_b32_e32 v133, 21, v133
	v_or3_b32 v69, v53, v69, v133
.LBB4_6928:                             ;   in Loop: Header=BB4_6830 Depth=3
	s_or_b32 exec_lo, exec_lo, s17
	s_delay_alu instid0(VALU_DEP_1) | instskip(SKIP_2) | instid1(VALU_DEP_2)
	v_mul_f32_e32 v53, v54, v69
	v_mov_b32_e32 v151, 0x80
	s_mov_b32 s17, exec_lo
	v_and_b32_e32 v69, 0x7f800000, v53
	s_delay_alu instid0(VALU_DEP_1)
	v_cmpx_ne_u32_e32 0x7f800000, v69
	s_cbranch_execz .LBB4_6936
; %bb.6929:                             ;   in Loop: Header=BB4_6830 Depth=3
	v_mov_b32_e32 v151, 0
	s_mov_b32 s30, exec_lo
	v_cmpx_ne_u32_e32 0, v53
	s_cbranch_execz .LBB4_6935
; %bb.6930:                             ;   in Loop: Header=BB4_6830 Depth=3
	v_bfe_u32 v69, v53, 23, 8
	s_delay_alu instid0(VALU_DEP_1) | instskip(SKIP_1) | instid1(VALU_DEP_2)
	v_sub_nc_u32_e32 v134, 0x70, v69
	v_cmp_gt_u32_e32 vcc_lo, 0x71, v69
	v_dual_cndmask_b32 v134, 0, v134 :: v_dual_and_b32 v133, 0x7fffff, v53
	s_delay_alu instid0(VALU_DEP_1) | instskip(SKIP_2) | instid1(VALU_DEP_4)
	v_or_b32_e32 v135, 0x800000, v133
	v_cmp_eq_u32_e32 vcc_lo, 0, v69
	v_add_nc_u32_e32 v69, 0xffffff91, v69
	v_cndmask_b32_e64 v134, v134, 0x6f, vcc_lo
	s_delay_alu instid0(VALU_DEP_4) | instskip(NEXT) | instid1(VALU_DEP_3)
	v_cndmask_b32_e32 v133, v135, v133, vcc_lo
	v_cndmask_b32_e64 v69, v69, 0xffffff92, vcc_lo
	s_delay_alu instid0(VALU_DEP_3) | instskip(NEXT) | instid1(VALU_DEP_3)
	v_lshl_add_u32 v135, 0x200000, v134, -1
	v_lshrrev_b32_e32 v145, v134, v133
	v_lshlrev_b32_e64 v147, v134, 0x100000
	s_delay_alu instid0(VALU_DEP_4) | instskip(NEXT) | instid1(VALU_DEP_4)
	v_add_nc_u32_e32 v134, v134, v69
	v_and_b32_e32 v133, v135, v133
	s_delay_alu instid0(VALU_DEP_4) | instskip(NEXT) | instid1(VALU_DEP_2)
	v_bfe_u32 v146, v145, 21, 1
	v_cmp_eq_u32_e64 s13, v133, v147
	s_delay_alu instid0(VALU_DEP_2) | instskip(NEXT) | instid1(VALU_DEP_1)
	v_add_nc_u32_e32 v135, -1, v146
	v_cndmask_b32_e64 v133, 0, v135, s13
	v_lshrrev_b32_e32 v135, 23, v145
	s_mov_b32 s13, exec_lo
	s_delay_alu instid0(VALU_DEP_2) | instskip(NEXT) | instid1(VALU_DEP_2)
	v_add_nc_u32_e32 v133, v133, v145
	v_xor_b32_e32 v135, 1, v135
	s_delay_alu instid0(VALU_DEP_2) | instskip(NEXT) | instid1(VALU_DEP_1)
	v_and_b32_e32 v69, 0x1fffff, v133
	v_add_nc_u32_e32 v133, v69, v145
                                        ; implicit-def: $vgpr69
	s_delay_alu instid0(VALU_DEP_3)
	v_cmpx_ne_u32_e64 v134, v135
	s_xor_b32 s13, exec_lo, s13
; %bb.6931:                             ;   in Loop: Header=BB4_6830 Depth=3
	s_delay_alu instid0(VALU_DEP_2) | instskip(SKIP_2) | instid1(VALU_DEP_2)
	v_cmp_lt_u32_e32 vcc_lo, 0xffffff, v133
	v_sub_nc_u32_e32 v69, v134, v135
	v_cndmask_b32_e64 v134, 0, 1, vcc_lo
	v_add_co_ci_u32_e32 v69, vcc_lo, 0, v69, vcc_lo
	s_delay_alu instid0(VALU_DEP_2)
	v_lshrrev_b32_e32 v133, v134, v133
; %bb.6932:                             ;   in Loop: Header=BB4_6830 Depth=3
	s_and_not1_saveexec_b32 s13, s13
; %bb.6933:                             ;   in Loop: Header=BB4_6830 Depth=3
	s_delay_alu instid0(VALU_DEP_1)
	v_bfe_u32 v69, v133, 23, 1
; %bb.6934:                             ;   in Loop: Header=BB4_6830 Depth=3
	s_or_b32 exec_lo, exec_lo, s13
	v_lshrrev_b32_e32 v133, 21, v133
	s_delay_alu instid0(VALU_DEP_2) | instskip(SKIP_2) | instid1(VALU_DEP_4)
	v_cmp_gt_i32_e32 vcc_lo, 32, v69
	v_lshrrev_b32_e32 v53, 24, v53
	v_min_i32_e32 v134, 31, v69
	v_cndmask_b32_e32 v133, 3, v133, vcc_lo
	s_delay_alu instid0(VALU_DEP_3) | instskip(NEXT) | instid1(VALU_DEP_3)
	v_and_b32_e32 v53, 0x80, v53
	v_lshlrev_b32_e32 v134, 2, v134
	s_delay_alu instid0(VALU_DEP_3) | instskip(SKIP_1) | instid1(VALU_DEP_2)
	v_and_b32_e32 v135, 3, v133
	v_or_b32_e32 v69, v69, v133
	v_or3_b32 v53, v134, v53, v135
	s_delay_alu instid0(VALU_DEP_2) | instskip(NEXT) | instid1(VALU_DEP_2)
	v_cmp_ne_u32_e32 vcc_lo, 0, v69
	v_cndmask_b32_e32 v151, 0, v53, vcc_lo
.LBB4_6935:                             ;   in Loop: Header=BB4_6830 Depth=3
	s_or_b32 exec_lo, exec_lo, s30
.LBB4_6936:                             ;   in Loop: Header=BB4_6830 Depth=3
	s_delay_alu instid0(SALU_CYCLE_1)
	s_or_b32 exec_lo, exec_lo, s17
	flat_load_u8 v53, v[8:9] offset:256 slc dlc
	s_mov_b32 s13, 0
	s_mov_b32 s30, exec_lo
                                        ; implicit-def: $sgpr17
	s_waitcnt vmcnt(0) lgkmcnt(0)
	v_cmpx_lt_i16_e32 0x7f, v53
	s_xor_b32 s30, exec_lo, s30
	s_cbranch_execnz .LBB4_7321
; %bb.6937:                             ;   in Loop: Header=BB4_6830 Depth=3
	s_or_saveexec_b32 s30, s30
	v_mov_b32_e32 v69, s17
	s_xor_b32 exec_lo, exec_lo, s30
	s_cbranch_execnz .LBB4_7324
.LBB4_6938:                             ;   in Loop: Header=BB4_6830 Depth=3
	s_or_b32 exec_lo, exec_lo, s30
	s_and_saveexec_b32 s17, s13
	s_cbranch_execz .LBB4_6940
.LBB4_6939:                             ;   in Loop: Header=BB4_6830 Depth=3
	v_and_b32_e32 v69, 0xffff, v53
	v_lshlrev_b32_e32 v53, 24, v53
	s_delay_alu instid0(VALU_DEP_2) | instskip(NEXT) | instid1(VALU_DEP_2)
	v_and_b32_e32 v133, 3, v69
	v_and_b32_e32 v53, 0x80000000, v53
	s_delay_alu instid0(VALU_DEP_2) | instskip(NEXT) | instid1(VALU_DEP_1)
	v_clz_i32_u32_e32 v134, v133
	v_min_u32_e32 v134, 32, v134
	s_delay_alu instid0(VALU_DEP_1) | instskip(SKIP_1) | instid1(VALU_DEP_2)
	v_subrev_nc_u32_e32 v135, 29, v134
	v_sub_nc_u32_e32 v134, 30, v134
	v_lshlrev_b32_e32 v135, v135, v69
	v_bfe_u32 v69, v69, 2, 5
	s_delay_alu instid0(VALU_DEP_2) | instskip(NEXT) | instid1(VALU_DEP_2)
	v_and_b32_e32 v135, 3, v135
	v_cmp_eq_u32_e32 vcc_lo, 0, v69
	v_cndmask_b32_e32 v69, v69, v134, vcc_lo
	s_delay_alu instid0(VALU_DEP_3) | instskip(NEXT) | instid1(VALU_DEP_2)
	v_cndmask_b32_e32 v133, v133, v135, vcc_lo
	v_lshl_add_u32 v69, v69, 23, 0x37800000
	s_delay_alu instid0(VALU_DEP_2) | instskip(NEXT) | instid1(VALU_DEP_1)
	v_lshlrev_b32_e32 v133, 21, v133
	v_or3_b32 v69, v53, v69, v133
.LBB4_6940:                             ;   in Loop: Header=BB4_6830 Depth=3
	s_or_b32 exec_lo, exec_lo, s17
	s_delay_alu instid0(VALU_DEP_1) | instskip(SKIP_2) | instid1(VALU_DEP_2)
	v_mul_f32_e32 v53, v54, v69
	v_mov_b32_e32 v149, 0x80
	s_mov_b32 s17, exec_lo
	v_and_b32_e32 v69, 0x7f800000, v53
	s_delay_alu instid0(VALU_DEP_1)
	v_cmpx_ne_u32_e32 0x7f800000, v69
	s_cbranch_execz .LBB4_6948
; %bb.6941:                             ;   in Loop: Header=BB4_6830 Depth=3
	v_mov_b32_e32 v149, 0
	s_mov_b32 s30, exec_lo
	v_cmpx_ne_u32_e32 0, v53
	s_cbranch_execz .LBB4_6947
; %bb.6942:                             ;   in Loop: Header=BB4_6830 Depth=3
	v_bfe_u32 v69, v53, 23, 8
	s_delay_alu instid0(VALU_DEP_1) | instskip(SKIP_1) | instid1(VALU_DEP_2)
	v_sub_nc_u32_e32 v134, 0x70, v69
	v_cmp_gt_u32_e32 vcc_lo, 0x71, v69
	v_dual_cndmask_b32 v134, 0, v134 :: v_dual_and_b32 v133, 0x7fffff, v53
	s_delay_alu instid0(VALU_DEP_1) | instskip(SKIP_2) | instid1(VALU_DEP_4)
	v_or_b32_e32 v135, 0x800000, v133
	v_cmp_eq_u32_e32 vcc_lo, 0, v69
	v_add_nc_u32_e32 v69, 0xffffff91, v69
	v_cndmask_b32_e64 v134, v134, 0x6f, vcc_lo
	s_delay_alu instid0(VALU_DEP_4) | instskip(NEXT) | instid1(VALU_DEP_3)
	v_cndmask_b32_e32 v133, v135, v133, vcc_lo
	v_cndmask_b32_e64 v69, v69, 0xffffff92, vcc_lo
	s_delay_alu instid0(VALU_DEP_3) | instskip(NEXT) | instid1(VALU_DEP_3)
	v_lshl_add_u32 v135, 0x200000, v134, -1
	v_lshrrev_b32_e32 v145, v134, v133
	v_lshlrev_b32_e64 v147, v134, 0x100000
	s_delay_alu instid0(VALU_DEP_4) | instskip(NEXT) | instid1(VALU_DEP_4)
	v_add_nc_u32_e32 v134, v134, v69
	v_and_b32_e32 v133, v135, v133
	s_delay_alu instid0(VALU_DEP_4) | instskip(NEXT) | instid1(VALU_DEP_2)
	v_bfe_u32 v146, v145, 21, 1
	v_cmp_eq_u32_e64 s13, v133, v147
	s_delay_alu instid0(VALU_DEP_2) | instskip(NEXT) | instid1(VALU_DEP_1)
	v_add_nc_u32_e32 v135, -1, v146
	v_cndmask_b32_e64 v133, 0, v135, s13
	v_lshrrev_b32_e32 v135, 23, v145
	s_mov_b32 s13, exec_lo
	s_delay_alu instid0(VALU_DEP_2) | instskip(NEXT) | instid1(VALU_DEP_2)
	v_add_nc_u32_e32 v133, v133, v145
	v_xor_b32_e32 v135, 1, v135
	s_delay_alu instid0(VALU_DEP_2) | instskip(NEXT) | instid1(VALU_DEP_1)
	v_and_b32_e32 v69, 0x1fffff, v133
	v_add_nc_u32_e32 v133, v69, v145
                                        ; implicit-def: $vgpr69
	s_delay_alu instid0(VALU_DEP_3)
	v_cmpx_ne_u32_e64 v134, v135
	s_xor_b32 s13, exec_lo, s13
; %bb.6943:                             ;   in Loop: Header=BB4_6830 Depth=3
	s_delay_alu instid0(VALU_DEP_2) | instskip(SKIP_2) | instid1(VALU_DEP_2)
	v_cmp_lt_u32_e32 vcc_lo, 0xffffff, v133
	v_sub_nc_u32_e32 v69, v134, v135
	v_cndmask_b32_e64 v134, 0, 1, vcc_lo
	v_add_co_ci_u32_e32 v69, vcc_lo, 0, v69, vcc_lo
	s_delay_alu instid0(VALU_DEP_2)
	v_lshrrev_b32_e32 v133, v134, v133
; %bb.6944:                             ;   in Loop: Header=BB4_6830 Depth=3
	s_and_not1_saveexec_b32 s13, s13
; %bb.6945:                             ;   in Loop: Header=BB4_6830 Depth=3
	s_delay_alu instid0(VALU_DEP_1)
	v_bfe_u32 v69, v133, 23, 1
; %bb.6946:                             ;   in Loop: Header=BB4_6830 Depth=3
	s_or_b32 exec_lo, exec_lo, s13
	v_lshrrev_b32_e32 v133, 21, v133
	s_delay_alu instid0(VALU_DEP_2) | instskip(SKIP_2) | instid1(VALU_DEP_4)
	v_cmp_gt_i32_e32 vcc_lo, 32, v69
	v_lshrrev_b32_e32 v53, 24, v53
	v_min_i32_e32 v134, 31, v69
	v_cndmask_b32_e32 v133, 3, v133, vcc_lo
	s_delay_alu instid0(VALU_DEP_3) | instskip(NEXT) | instid1(VALU_DEP_3)
	v_and_b32_e32 v53, 0x80, v53
	v_lshlrev_b32_e32 v134, 2, v134
	s_delay_alu instid0(VALU_DEP_3) | instskip(SKIP_1) | instid1(VALU_DEP_2)
	v_and_b32_e32 v135, 3, v133
	v_or_b32_e32 v69, v69, v133
	v_or3_b32 v53, v134, v53, v135
	s_delay_alu instid0(VALU_DEP_2) | instskip(NEXT) | instid1(VALU_DEP_2)
	v_cmp_ne_u32_e32 vcc_lo, 0, v69
	v_cndmask_b32_e32 v149, 0, v53, vcc_lo
.LBB4_6947:                             ;   in Loop: Header=BB4_6830 Depth=3
	s_or_b32 exec_lo, exec_lo, s30
.LBB4_6948:                             ;   in Loop: Header=BB4_6830 Depth=3
	s_delay_alu instid0(SALU_CYCLE_1)
	s_or_b32 exec_lo, exec_lo, s17
	flat_load_u8 v53, v[8:9] offset:288 slc dlc
	s_mov_b32 s13, 0
	s_mov_b32 s30, exec_lo
                                        ; implicit-def: $sgpr17
	s_waitcnt vmcnt(0) lgkmcnt(0)
	v_cmpx_lt_i16_e32 0x7f, v53
	s_xor_b32 s30, exec_lo, s30
	s_cbranch_execnz .LBB4_7325
; %bb.6949:                             ;   in Loop: Header=BB4_6830 Depth=3
	s_or_saveexec_b32 s30, s30
	v_mov_b32_e32 v69, s17
	s_xor_b32 exec_lo, exec_lo, s30
	s_cbranch_execnz .LBB4_7328
.LBB4_6950:                             ;   in Loop: Header=BB4_6830 Depth=3
	s_or_b32 exec_lo, exec_lo, s30
	s_and_saveexec_b32 s17, s13
	s_cbranch_execz .LBB4_6952
.LBB4_6951:                             ;   in Loop: Header=BB4_6830 Depth=3
	v_and_b32_e32 v69, 0xffff, v53
	v_lshlrev_b32_e32 v53, 24, v53
	s_delay_alu instid0(VALU_DEP_2) | instskip(NEXT) | instid1(VALU_DEP_2)
	v_and_b32_e32 v133, 3, v69
	v_and_b32_e32 v53, 0x80000000, v53
	s_delay_alu instid0(VALU_DEP_2) | instskip(NEXT) | instid1(VALU_DEP_1)
	v_clz_i32_u32_e32 v134, v133
	v_min_u32_e32 v134, 32, v134
	s_delay_alu instid0(VALU_DEP_1) | instskip(SKIP_1) | instid1(VALU_DEP_2)
	v_subrev_nc_u32_e32 v135, 29, v134
	v_sub_nc_u32_e32 v134, 30, v134
	v_lshlrev_b32_e32 v135, v135, v69
	v_bfe_u32 v69, v69, 2, 5
	s_delay_alu instid0(VALU_DEP_2) | instskip(NEXT) | instid1(VALU_DEP_2)
	v_and_b32_e32 v135, 3, v135
	v_cmp_eq_u32_e32 vcc_lo, 0, v69
	v_cndmask_b32_e32 v69, v69, v134, vcc_lo
	s_delay_alu instid0(VALU_DEP_3) | instskip(NEXT) | instid1(VALU_DEP_2)
	v_cndmask_b32_e32 v133, v133, v135, vcc_lo
	v_lshl_add_u32 v69, v69, 23, 0x37800000
	s_delay_alu instid0(VALU_DEP_2) | instskip(NEXT) | instid1(VALU_DEP_1)
	v_lshlrev_b32_e32 v133, 21, v133
	v_or3_b32 v69, v53, v69, v133
.LBB4_6952:                             ;   in Loop: Header=BB4_6830 Depth=3
	s_or_b32 exec_lo, exec_lo, s17
	s_delay_alu instid0(VALU_DEP_1) | instskip(SKIP_1) | instid1(VALU_DEP_1)
	v_dual_mul_f32 v53, v54, v69 :: v_dual_mov_b32 v148, 0x80
	s_mov_b32 s17, exec_lo
	v_and_b32_e32 v69, 0x7f800000, v53
	s_delay_alu instid0(VALU_DEP_1)
	v_cmpx_ne_u32_e32 0x7f800000, v69
	s_cbranch_execz .LBB4_6960
; %bb.6953:                             ;   in Loop: Header=BB4_6830 Depth=3
	v_mov_b32_e32 v148, 0
	s_mov_b32 s30, exec_lo
	v_cmpx_ne_u32_e32 0, v53
	s_cbranch_execz .LBB4_6959
; %bb.6954:                             ;   in Loop: Header=BB4_6830 Depth=3
	v_bfe_u32 v69, v53, 23, 8
	s_delay_alu instid0(VALU_DEP_1) | instskip(SKIP_1) | instid1(VALU_DEP_2)
	v_sub_nc_u32_e32 v134, 0x70, v69
	v_cmp_gt_u32_e32 vcc_lo, 0x71, v69
	v_dual_cndmask_b32 v134, 0, v134 :: v_dual_and_b32 v133, 0x7fffff, v53
	s_delay_alu instid0(VALU_DEP_1) | instskip(SKIP_2) | instid1(VALU_DEP_4)
	v_or_b32_e32 v135, 0x800000, v133
	v_cmp_eq_u32_e32 vcc_lo, 0, v69
	v_add_nc_u32_e32 v69, 0xffffff91, v69
	v_cndmask_b32_e64 v134, v134, 0x6f, vcc_lo
	s_delay_alu instid0(VALU_DEP_4) | instskip(NEXT) | instid1(VALU_DEP_3)
	v_cndmask_b32_e32 v133, v135, v133, vcc_lo
	v_cndmask_b32_e64 v69, v69, 0xffffff92, vcc_lo
	s_delay_alu instid0(VALU_DEP_3) | instskip(NEXT) | instid1(VALU_DEP_3)
	v_lshl_add_u32 v135, 0x200000, v134, -1
	v_lshrrev_b32_e32 v145, v134, v133
	v_lshlrev_b32_e64 v147, v134, 0x100000
	s_delay_alu instid0(VALU_DEP_4) | instskip(NEXT) | instid1(VALU_DEP_4)
	v_add_nc_u32_e32 v134, v134, v69
	v_and_b32_e32 v133, v135, v133
	s_delay_alu instid0(VALU_DEP_4) | instskip(NEXT) | instid1(VALU_DEP_2)
	v_bfe_u32 v146, v145, 21, 1
	v_cmp_eq_u32_e64 s13, v133, v147
	s_delay_alu instid0(VALU_DEP_2) | instskip(NEXT) | instid1(VALU_DEP_1)
	v_add_nc_u32_e32 v135, -1, v146
	v_cndmask_b32_e64 v133, 0, v135, s13
	v_lshrrev_b32_e32 v135, 23, v145
	s_mov_b32 s13, exec_lo
	s_delay_alu instid0(VALU_DEP_2) | instskip(NEXT) | instid1(VALU_DEP_2)
	v_add_nc_u32_e32 v133, v133, v145
	v_xor_b32_e32 v135, 1, v135
	s_delay_alu instid0(VALU_DEP_2) | instskip(NEXT) | instid1(VALU_DEP_1)
	v_and_b32_e32 v69, 0x1fffff, v133
	v_add_nc_u32_e32 v133, v69, v145
                                        ; implicit-def: $vgpr69
	s_delay_alu instid0(VALU_DEP_3)
	v_cmpx_ne_u32_e64 v134, v135
	s_xor_b32 s13, exec_lo, s13
; %bb.6955:                             ;   in Loop: Header=BB4_6830 Depth=3
	s_delay_alu instid0(VALU_DEP_2) | instskip(SKIP_2) | instid1(VALU_DEP_2)
	v_cmp_lt_u32_e32 vcc_lo, 0xffffff, v133
	v_sub_nc_u32_e32 v69, v134, v135
	v_cndmask_b32_e64 v134, 0, 1, vcc_lo
	v_add_co_ci_u32_e32 v69, vcc_lo, 0, v69, vcc_lo
	s_delay_alu instid0(VALU_DEP_2)
	v_lshrrev_b32_e32 v133, v134, v133
; %bb.6956:                             ;   in Loop: Header=BB4_6830 Depth=3
	s_and_not1_saveexec_b32 s13, s13
; %bb.6957:                             ;   in Loop: Header=BB4_6830 Depth=3
	s_delay_alu instid0(VALU_DEP_1)
	v_bfe_u32 v69, v133, 23, 1
; %bb.6958:                             ;   in Loop: Header=BB4_6830 Depth=3
	s_or_b32 exec_lo, exec_lo, s13
	v_lshrrev_b32_e32 v133, 21, v133
	s_delay_alu instid0(VALU_DEP_2) | instskip(SKIP_2) | instid1(VALU_DEP_4)
	v_cmp_gt_i32_e32 vcc_lo, 32, v69
	v_lshrrev_b32_e32 v53, 24, v53
	v_min_i32_e32 v134, 31, v69
	v_cndmask_b32_e32 v133, 3, v133, vcc_lo
	s_delay_alu instid0(VALU_DEP_3) | instskip(NEXT) | instid1(VALU_DEP_3)
	v_and_b32_e32 v53, 0x80, v53
	v_lshlrev_b32_e32 v134, 2, v134
	s_delay_alu instid0(VALU_DEP_3) | instskip(SKIP_1) | instid1(VALU_DEP_2)
	v_and_b32_e32 v135, 3, v133
	v_or_b32_e32 v69, v69, v133
	v_or3_b32 v53, v134, v53, v135
	s_delay_alu instid0(VALU_DEP_2) | instskip(NEXT) | instid1(VALU_DEP_2)
	v_cmp_ne_u32_e32 vcc_lo, 0, v69
	v_cndmask_b32_e32 v148, 0, v53, vcc_lo
.LBB4_6959:                             ;   in Loop: Header=BB4_6830 Depth=3
	s_or_b32 exec_lo, exec_lo, s30
.LBB4_6960:                             ;   in Loop: Header=BB4_6830 Depth=3
	s_delay_alu instid0(SALU_CYCLE_1)
	s_or_b32 exec_lo, exec_lo, s17
	flat_load_u8 v53, v[8:9] offset:320 slc dlc
	s_mov_b32 s13, 0
	s_mov_b32 s30, exec_lo
                                        ; implicit-def: $sgpr17
	s_waitcnt vmcnt(0) lgkmcnt(0)
	v_cmpx_lt_i16_e32 0x7f, v53
	s_xor_b32 s30, exec_lo, s30
	s_cbranch_execnz .LBB4_7329
; %bb.6961:                             ;   in Loop: Header=BB4_6830 Depth=3
	s_or_saveexec_b32 s30, s30
	v_mov_b32_e32 v69, s17
	s_xor_b32 exec_lo, exec_lo, s30
	s_cbranch_execnz .LBB4_7332
.LBB4_6962:                             ;   in Loop: Header=BB4_6830 Depth=3
	s_or_b32 exec_lo, exec_lo, s30
	s_and_saveexec_b32 s17, s13
	s_cbranch_execz .LBB4_6964
.LBB4_6963:                             ;   in Loop: Header=BB4_6830 Depth=3
	v_and_b32_e32 v69, 0xffff, v53
	v_lshlrev_b32_e32 v53, 24, v53
	s_delay_alu instid0(VALU_DEP_2) | instskip(NEXT) | instid1(VALU_DEP_2)
	v_and_b32_e32 v133, 3, v69
	v_and_b32_e32 v53, 0x80000000, v53
	s_delay_alu instid0(VALU_DEP_2) | instskip(NEXT) | instid1(VALU_DEP_1)
	v_clz_i32_u32_e32 v134, v133
	v_min_u32_e32 v134, 32, v134
	s_delay_alu instid0(VALU_DEP_1) | instskip(SKIP_1) | instid1(VALU_DEP_2)
	v_subrev_nc_u32_e32 v135, 29, v134
	v_sub_nc_u32_e32 v134, 30, v134
	v_lshlrev_b32_e32 v135, v135, v69
	v_bfe_u32 v69, v69, 2, 5
	s_delay_alu instid0(VALU_DEP_2) | instskip(NEXT) | instid1(VALU_DEP_2)
	v_and_b32_e32 v135, 3, v135
	v_cmp_eq_u32_e32 vcc_lo, 0, v69
	v_cndmask_b32_e32 v69, v69, v134, vcc_lo
	s_delay_alu instid0(VALU_DEP_3) | instskip(NEXT) | instid1(VALU_DEP_2)
	v_cndmask_b32_e32 v133, v133, v135, vcc_lo
	v_lshl_add_u32 v69, v69, 23, 0x37800000
	s_delay_alu instid0(VALU_DEP_2) | instskip(NEXT) | instid1(VALU_DEP_1)
	v_lshlrev_b32_e32 v133, 21, v133
	v_or3_b32 v69, v53, v69, v133
.LBB4_6964:                             ;   in Loop: Header=BB4_6830 Depth=3
	s_or_b32 exec_lo, exec_lo, s17
	s_delay_alu instid0(VALU_DEP_1) | instskip(SKIP_1) | instid1(VALU_DEP_1)
	v_dual_mul_f32 v53, v54, v69 :: v_dual_mov_b32 v146, 0x80
	s_mov_b32 s17, exec_lo
	v_and_b32_e32 v69, 0x7f800000, v53
	s_delay_alu instid0(VALU_DEP_1)
	v_cmpx_ne_u32_e32 0x7f800000, v69
	s_cbranch_execz .LBB4_6972
; %bb.6965:                             ;   in Loop: Header=BB4_6830 Depth=3
	v_mov_b32_e32 v146, 0
	s_mov_b32 s30, exec_lo
	v_cmpx_ne_u32_e32 0, v53
	s_cbranch_execz .LBB4_6971
; %bb.6966:                             ;   in Loop: Header=BB4_6830 Depth=3
	v_bfe_u32 v69, v53, 23, 8
	s_delay_alu instid0(VALU_DEP_1) | instskip(SKIP_1) | instid1(VALU_DEP_2)
	v_sub_nc_u32_e32 v134, 0x70, v69
	v_cmp_gt_u32_e32 vcc_lo, 0x71, v69
	v_dual_cndmask_b32 v134, 0, v134 :: v_dual_and_b32 v133, 0x7fffff, v53
	s_delay_alu instid0(VALU_DEP_1) | instskip(SKIP_2) | instid1(VALU_DEP_4)
	v_or_b32_e32 v135, 0x800000, v133
	v_cmp_eq_u32_e32 vcc_lo, 0, v69
	v_add_nc_u32_e32 v69, 0xffffff91, v69
	v_cndmask_b32_e64 v134, v134, 0x6f, vcc_lo
	s_delay_alu instid0(VALU_DEP_4) | instskip(NEXT) | instid1(VALU_DEP_3)
	v_cndmask_b32_e32 v133, v135, v133, vcc_lo
	v_cndmask_b32_e64 v69, v69, 0xffffff92, vcc_lo
	s_delay_alu instid0(VALU_DEP_3) | instskip(NEXT) | instid1(VALU_DEP_3)
	v_lshl_add_u32 v135, 0x200000, v134, -1
	v_lshrrev_b32_e32 v145, v134, v133
	v_lshlrev_b32_e64 v147, v134, 0x100000
	s_delay_alu instid0(VALU_DEP_4) | instskip(NEXT) | instid1(VALU_DEP_4)
	v_add_nc_u32_e32 v134, v134, v69
	v_and_b32_e32 v133, v135, v133
	s_delay_alu instid0(VALU_DEP_4) | instskip(NEXT) | instid1(VALU_DEP_2)
	v_bfe_u32 v146, v145, 21, 1
	v_cmp_eq_u32_e64 s13, v133, v147
	s_delay_alu instid0(VALU_DEP_2) | instskip(NEXT) | instid1(VALU_DEP_1)
	v_add_nc_u32_e32 v135, -1, v146
	v_cndmask_b32_e64 v133, 0, v135, s13
	v_lshrrev_b32_e32 v135, 23, v145
	s_mov_b32 s13, exec_lo
	s_delay_alu instid0(VALU_DEP_2) | instskip(NEXT) | instid1(VALU_DEP_2)
	v_add_nc_u32_e32 v133, v133, v145
	v_xor_b32_e32 v135, 1, v135
	s_delay_alu instid0(VALU_DEP_2) | instskip(NEXT) | instid1(VALU_DEP_1)
	v_and_b32_e32 v69, 0x1fffff, v133
	v_add_nc_u32_e32 v133, v69, v145
                                        ; implicit-def: $vgpr69
	s_delay_alu instid0(VALU_DEP_3)
	v_cmpx_ne_u32_e64 v134, v135
	s_xor_b32 s13, exec_lo, s13
; %bb.6967:                             ;   in Loop: Header=BB4_6830 Depth=3
	s_delay_alu instid0(VALU_DEP_2) | instskip(SKIP_2) | instid1(VALU_DEP_2)
	v_cmp_lt_u32_e32 vcc_lo, 0xffffff, v133
	v_sub_nc_u32_e32 v69, v134, v135
	v_cndmask_b32_e64 v134, 0, 1, vcc_lo
	v_add_co_ci_u32_e32 v69, vcc_lo, 0, v69, vcc_lo
	s_delay_alu instid0(VALU_DEP_2)
	v_lshrrev_b32_e32 v133, v134, v133
; %bb.6968:                             ;   in Loop: Header=BB4_6830 Depth=3
	s_and_not1_saveexec_b32 s13, s13
; %bb.6969:                             ;   in Loop: Header=BB4_6830 Depth=3
	s_delay_alu instid0(VALU_DEP_1)
	v_bfe_u32 v69, v133, 23, 1
; %bb.6970:                             ;   in Loop: Header=BB4_6830 Depth=3
	s_or_b32 exec_lo, exec_lo, s13
	v_lshrrev_b32_e32 v133, 21, v133
	s_delay_alu instid0(VALU_DEP_2) | instskip(SKIP_2) | instid1(VALU_DEP_4)
	v_cmp_gt_i32_e32 vcc_lo, 32, v69
	v_lshrrev_b32_e32 v53, 24, v53
	v_min_i32_e32 v134, 31, v69
	v_cndmask_b32_e32 v133, 3, v133, vcc_lo
	s_delay_alu instid0(VALU_DEP_3) | instskip(NEXT) | instid1(VALU_DEP_3)
	v_and_b32_e32 v53, 0x80, v53
	v_lshlrev_b32_e32 v134, 2, v134
	s_delay_alu instid0(VALU_DEP_3) | instskip(SKIP_1) | instid1(VALU_DEP_2)
	v_and_b32_e32 v135, 3, v133
	v_or_b32_e32 v69, v69, v133
	v_or3_b32 v53, v134, v53, v135
	s_delay_alu instid0(VALU_DEP_2) | instskip(NEXT) | instid1(VALU_DEP_2)
	v_cmp_ne_u32_e32 vcc_lo, 0, v69
	v_cndmask_b32_e32 v146, 0, v53, vcc_lo
.LBB4_6971:                             ;   in Loop: Header=BB4_6830 Depth=3
	s_or_b32 exec_lo, exec_lo, s30
.LBB4_6972:                             ;   in Loop: Header=BB4_6830 Depth=3
	s_delay_alu instid0(SALU_CYCLE_1)
	s_or_b32 exec_lo, exec_lo, s17
	flat_load_u8 v53, v[8:9] offset:352 slc dlc
	s_mov_b32 s13, 0
	s_mov_b32 s30, exec_lo
                                        ; implicit-def: $sgpr17
	s_waitcnt vmcnt(0) lgkmcnt(0)
	v_cmpx_lt_i16_e32 0x7f, v53
	s_xor_b32 s30, exec_lo, s30
	s_cbranch_execnz .LBB4_7333
; %bb.6973:                             ;   in Loop: Header=BB4_6830 Depth=3
	s_or_saveexec_b32 s30, s30
	v_mov_b32_e32 v69, s17
	s_xor_b32 exec_lo, exec_lo, s30
	s_cbranch_execnz .LBB4_7336
.LBB4_6974:                             ;   in Loop: Header=BB4_6830 Depth=3
	s_or_b32 exec_lo, exec_lo, s30
	s_and_saveexec_b32 s17, s13
	s_cbranch_execz .LBB4_6976
.LBB4_6975:                             ;   in Loop: Header=BB4_6830 Depth=3
	v_and_b32_e32 v69, 0xffff, v53
	v_lshlrev_b32_e32 v53, 24, v53
	s_delay_alu instid0(VALU_DEP_2) | instskip(NEXT) | instid1(VALU_DEP_2)
	v_and_b32_e32 v133, 3, v69
	v_and_b32_e32 v53, 0x80000000, v53
	s_delay_alu instid0(VALU_DEP_2) | instskip(NEXT) | instid1(VALU_DEP_1)
	v_clz_i32_u32_e32 v134, v133
	v_min_u32_e32 v134, 32, v134
	s_delay_alu instid0(VALU_DEP_1) | instskip(SKIP_1) | instid1(VALU_DEP_2)
	v_subrev_nc_u32_e32 v135, 29, v134
	v_sub_nc_u32_e32 v134, 30, v134
	v_lshlrev_b32_e32 v135, v135, v69
	v_bfe_u32 v69, v69, 2, 5
	s_delay_alu instid0(VALU_DEP_2) | instskip(NEXT) | instid1(VALU_DEP_2)
	v_and_b32_e32 v135, 3, v135
	v_cmp_eq_u32_e32 vcc_lo, 0, v69
	v_cndmask_b32_e32 v69, v69, v134, vcc_lo
	s_delay_alu instid0(VALU_DEP_3) | instskip(NEXT) | instid1(VALU_DEP_2)
	v_cndmask_b32_e32 v133, v133, v135, vcc_lo
	v_lshl_add_u32 v69, v69, 23, 0x37800000
	s_delay_alu instid0(VALU_DEP_2) | instskip(NEXT) | instid1(VALU_DEP_1)
	v_lshlrev_b32_e32 v133, 21, v133
	v_or3_b32 v69, v53, v69, v133
.LBB4_6976:                             ;   in Loop: Header=BB4_6830 Depth=3
	s_or_b32 exec_lo, exec_lo, s17
	s_delay_alu instid0(VALU_DEP_1) | instskip(SKIP_2) | instid1(VALU_DEP_2)
	v_mul_f32_e32 v53, v54, v69
	v_mov_b32_e32 v145, 0x80
	s_mov_b32 s17, exec_lo
	v_and_b32_e32 v69, 0x7f800000, v53
	s_delay_alu instid0(VALU_DEP_1)
	v_cmpx_ne_u32_e32 0x7f800000, v69
	s_cbranch_execz .LBB4_6984
; %bb.6977:                             ;   in Loop: Header=BB4_6830 Depth=3
	v_mov_b32_e32 v145, 0
	s_mov_b32 s30, exec_lo
	v_cmpx_ne_u32_e32 0, v53
	s_cbranch_execz .LBB4_6983
; %bb.6978:                             ;   in Loop: Header=BB4_6830 Depth=3
	v_bfe_u32 v69, v53, 23, 8
	s_delay_alu instid0(VALU_DEP_1) | instskip(SKIP_1) | instid1(VALU_DEP_2)
	v_sub_nc_u32_e32 v134, 0x70, v69
	v_cmp_gt_u32_e32 vcc_lo, 0x71, v69
	v_dual_cndmask_b32 v134, 0, v134 :: v_dual_and_b32 v133, 0x7fffff, v53
	s_delay_alu instid0(VALU_DEP_1) | instskip(SKIP_2) | instid1(VALU_DEP_4)
	v_or_b32_e32 v135, 0x800000, v133
	v_cmp_eq_u32_e32 vcc_lo, 0, v69
	v_add_nc_u32_e32 v69, 0xffffff91, v69
	v_cndmask_b32_e64 v134, v134, 0x6f, vcc_lo
	s_delay_alu instid0(VALU_DEP_4) | instskip(NEXT) | instid1(VALU_DEP_3)
	v_cndmask_b32_e32 v133, v135, v133, vcc_lo
	v_cndmask_b32_e64 v69, v69, 0xffffff92, vcc_lo
	s_delay_alu instid0(VALU_DEP_3) | instskip(NEXT) | instid1(VALU_DEP_3)
	v_lshl_add_u32 v135, 0x200000, v134, -1
	v_lshrrev_b32_e32 v145, v134, v133
	v_lshlrev_b32_e64 v160, v134, 0x100000
	s_delay_alu instid0(VALU_DEP_4) | instskip(NEXT) | instid1(VALU_DEP_4)
	v_add_nc_u32_e32 v134, v134, v69
	v_and_b32_e32 v133, v135, v133
	s_delay_alu instid0(VALU_DEP_4) | instskip(NEXT) | instid1(VALU_DEP_2)
	v_bfe_u32 v147, v145, 21, 1
	v_cmp_eq_u32_e64 s13, v133, v160
	s_delay_alu instid0(VALU_DEP_2) | instskip(NEXT) | instid1(VALU_DEP_1)
	v_add_nc_u32_e32 v135, -1, v147
	v_cndmask_b32_e64 v133, 0, v135, s13
	v_lshrrev_b32_e32 v135, 23, v145
	s_mov_b32 s13, exec_lo
	s_delay_alu instid0(VALU_DEP_2) | instskip(NEXT) | instid1(VALU_DEP_2)
	v_add_nc_u32_e32 v133, v133, v145
	v_xor_b32_e32 v135, 1, v135
	s_delay_alu instid0(VALU_DEP_2) | instskip(NEXT) | instid1(VALU_DEP_1)
	v_and_b32_e32 v69, 0x1fffff, v133
	v_add_nc_u32_e32 v133, v69, v145
                                        ; implicit-def: $vgpr69
	s_delay_alu instid0(VALU_DEP_3)
	v_cmpx_ne_u32_e64 v134, v135
	s_xor_b32 s13, exec_lo, s13
; %bb.6979:                             ;   in Loop: Header=BB4_6830 Depth=3
	s_delay_alu instid0(VALU_DEP_2) | instskip(SKIP_2) | instid1(VALU_DEP_2)
	v_cmp_lt_u32_e32 vcc_lo, 0xffffff, v133
	v_sub_nc_u32_e32 v69, v134, v135
	v_cndmask_b32_e64 v134, 0, 1, vcc_lo
	v_add_co_ci_u32_e32 v69, vcc_lo, 0, v69, vcc_lo
	s_delay_alu instid0(VALU_DEP_2)
	v_lshrrev_b32_e32 v133, v134, v133
; %bb.6980:                             ;   in Loop: Header=BB4_6830 Depth=3
	s_and_not1_saveexec_b32 s13, s13
; %bb.6981:                             ;   in Loop: Header=BB4_6830 Depth=3
	s_delay_alu instid0(VALU_DEP_1)
	v_bfe_u32 v69, v133, 23, 1
; %bb.6982:                             ;   in Loop: Header=BB4_6830 Depth=3
	s_or_b32 exec_lo, exec_lo, s13
	v_lshrrev_b32_e32 v133, 21, v133
	s_delay_alu instid0(VALU_DEP_2) | instskip(SKIP_2) | instid1(VALU_DEP_4)
	v_cmp_gt_i32_e32 vcc_lo, 32, v69
	v_lshrrev_b32_e32 v53, 24, v53
	v_min_i32_e32 v134, 31, v69
	v_cndmask_b32_e32 v133, 3, v133, vcc_lo
	s_delay_alu instid0(VALU_DEP_3) | instskip(NEXT) | instid1(VALU_DEP_3)
	v_and_b32_e32 v53, 0x80, v53
	v_lshlrev_b32_e32 v134, 2, v134
	s_delay_alu instid0(VALU_DEP_3) | instskip(SKIP_1) | instid1(VALU_DEP_2)
	v_and_b32_e32 v135, 3, v133
	v_or_b32_e32 v69, v69, v133
	v_or3_b32 v53, v134, v53, v135
	s_delay_alu instid0(VALU_DEP_2) | instskip(NEXT) | instid1(VALU_DEP_2)
	v_cmp_ne_u32_e32 vcc_lo, 0, v69
	v_cndmask_b32_e32 v145, 0, v53, vcc_lo
.LBB4_6983:                             ;   in Loop: Header=BB4_6830 Depth=3
	s_or_b32 exec_lo, exec_lo, s30
.LBB4_6984:                             ;   in Loop: Header=BB4_6830 Depth=3
	s_delay_alu instid0(SALU_CYCLE_1)
	s_or_b32 exec_lo, exec_lo, s17
	flat_load_u8 v53, v[8:9] offset:384 slc dlc
	s_mov_b32 s13, 0
	s_mov_b32 s30, exec_lo
                                        ; implicit-def: $sgpr17
	s_waitcnt vmcnt(0) lgkmcnt(0)
	v_cmpx_lt_i16_e32 0x7f, v53
	s_xor_b32 s30, exec_lo, s30
	s_cbranch_execnz .LBB4_7337
; %bb.6985:                             ;   in Loop: Header=BB4_6830 Depth=3
	s_or_saveexec_b32 s30, s30
	v_mov_b32_e32 v69, s17
	s_xor_b32 exec_lo, exec_lo, s30
	s_cbranch_execnz .LBB4_7340
.LBB4_6986:                             ;   in Loop: Header=BB4_6830 Depth=3
	s_or_b32 exec_lo, exec_lo, s30
	s_and_saveexec_b32 s17, s13
	s_cbranch_execz .LBB4_6988
.LBB4_6987:                             ;   in Loop: Header=BB4_6830 Depth=3
	v_and_b32_e32 v69, 0xffff, v53
	v_lshlrev_b32_e32 v53, 24, v53
	s_delay_alu instid0(VALU_DEP_2) | instskip(NEXT) | instid1(VALU_DEP_2)
	v_and_b32_e32 v133, 3, v69
	v_and_b32_e32 v53, 0x80000000, v53
	s_delay_alu instid0(VALU_DEP_2) | instskip(NEXT) | instid1(VALU_DEP_1)
	v_clz_i32_u32_e32 v134, v133
	v_min_u32_e32 v134, 32, v134
	s_delay_alu instid0(VALU_DEP_1) | instskip(SKIP_1) | instid1(VALU_DEP_2)
	v_subrev_nc_u32_e32 v135, 29, v134
	v_sub_nc_u32_e32 v134, 30, v134
	v_lshlrev_b32_e32 v135, v135, v69
	v_bfe_u32 v69, v69, 2, 5
	s_delay_alu instid0(VALU_DEP_2) | instskip(NEXT) | instid1(VALU_DEP_2)
	v_and_b32_e32 v135, 3, v135
	v_cmp_eq_u32_e32 vcc_lo, 0, v69
	v_cndmask_b32_e32 v69, v69, v134, vcc_lo
	s_delay_alu instid0(VALU_DEP_3) | instskip(NEXT) | instid1(VALU_DEP_2)
	v_cndmask_b32_e32 v133, v133, v135, vcc_lo
	v_lshl_add_u32 v69, v69, 23, 0x37800000
	s_delay_alu instid0(VALU_DEP_2) | instskip(NEXT) | instid1(VALU_DEP_1)
	v_lshlrev_b32_e32 v133, 21, v133
	v_or3_b32 v69, v53, v69, v133
.LBB4_6988:                             ;   in Loop: Header=BB4_6830 Depth=3
	s_or_b32 exec_lo, exec_lo, s17
	s_delay_alu instid0(VALU_DEP_1) | instskip(SKIP_2) | instid1(VALU_DEP_2)
	v_mul_f32_e32 v53, v54, v69
	v_mov_b32_e32 v135, 0x80
	s_mov_b32 s17, exec_lo
	v_and_b32_e32 v69, 0x7f800000, v53
	s_delay_alu instid0(VALU_DEP_1)
	v_cmpx_ne_u32_e32 0x7f800000, v69
	s_cbranch_execz .LBB4_6996
; %bb.6989:                             ;   in Loop: Header=BB4_6830 Depth=3
	v_mov_b32_e32 v135, 0
	s_mov_b32 s30, exec_lo
	v_cmpx_ne_u32_e32 0, v53
	s_cbranch_execz .LBB4_6995
; %bb.6990:                             ;   in Loop: Header=BB4_6830 Depth=3
	v_bfe_u32 v69, v53, 23, 8
	s_delay_alu instid0(VALU_DEP_1) | instskip(SKIP_1) | instid1(VALU_DEP_2)
	v_sub_nc_u32_e32 v134, 0x70, v69
	v_cmp_gt_u32_e32 vcc_lo, 0x71, v69
	v_dual_cndmask_b32 v134, 0, v134 :: v_dual_and_b32 v133, 0x7fffff, v53
	s_delay_alu instid0(VALU_DEP_1) | instskip(SKIP_2) | instid1(VALU_DEP_4)
	v_or_b32_e32 v135, 0x800000, v133
	v_cmp_eq_u32_e32 vcc_lo, 0, v69
	v_add_nc_u32_e32 v69, 0xffffff91, v69
	v_cndmask_b32_e64 v134, v134, 0x6f, vcc_lo
	s_delay_alu instid0(VALU_DEP_4) | instskip(NEXT) | instid1(VALU_DEP_3)
	v_cndmask_b32_e32 v133, v135, v133, vcc_lo
	v_cndmask_b32_e64 v69, v69, 0xffffff92, vcc_lo
	s_delay_alu instid0(VALU_DEP_3) | instskip(NEXT) | instid1(VALU_DEP_3)
	v_lshl_add_u32 v135, 0x200000, v134, -1
	v_lshrrev_b32_e32 v147, v134, v133
	v_lshlrev_b32_e64 v165, v134, 0x100000
	s_delay_alu instid0(VALU_DEP_4) | instskip(NEXT) | instid1(VALU_DEP_4)
	v_add_nc_u32_e32 v134, v134, v69
	v_and_b32_e32 v133, v135, v133
	s_delay_alu instid0(VALU_DEP_4) | instskip(NEXT) | instid1(VALU_DEP_2)
	v_bfe_u32 v160, v147, 21, 1
	v_cmp_eq_u32_e64 s13, v133, v165
	s_delay_alu instid0(VALU_DEP_2) | instskip(NEXT) | instid1(VALU_DEP_1)
	v_add_nc_u32_e32 v135, -1, v160
	v_cndmask_b32_e64 v133, 0, v135, s13
	v_lshrrev_b32_e32 v135, 23, v147
	s_mov_b32 s13, exec_lo
	s_delay_alu instid0(VALU_DEP_2) | instskip(NEXT) | instid1(VALU_DEP_2)
	v_add_nc_u32_e32 v133, v133, v147
	v_xor_b32_e32 v135, 1, v135
	s_delay_alu instid0(VALU_DEP_2) | instskip(NEXT) | instid1(VALU_DEP_1)
	v_and_b32_e32 v69, 0x1fffff, v133
	v_add_nc_u32_e32 v133, v69, v147
                                        ; implicit-def: $vgpr69
	s_delay_alu instid0(VALU_DEP_3)
	v_cmpx_ne_u32_e64 v134, v135
	s_xor_b32 s13, exec_lo, s13
; %bb.6991:                             ;   in Loop: Header=BB4_6830 Depth=3
	s_delay_alu instid0(VALU_DEP_2) | instskip(SKIP_2) | instid1(VALU_DEP_2)
	v_cmp_lt_u32_e32 vcc_lo, 0xffffff, v133
	v_sub_nc_u32_e32 v69, v134, v135
	v_cndmask_b32_e64 v134, 0, 1, vcc_lo
	v_add_co_ci_u32_e32 v69, vcc_lo, 0, v69, vcc_lo
	s_delay_alu instid0(VALU_DEP_2)
	v_lshrrev_b32_e32 v133, v134, v133
; %bb.6992:                             ;   in Loop: Header=BB4_6830 Depth=3
	s_and_not1_saveexec_b32 s13, s13
; %bb.6993:                             ;   in Loop: Header=BB4_6830 Depth=3
	s_delay_alu instid0(VALU_DEP_1)
	v_bfe_u32 v69, v133, 23, 1
; %bb.6994:                             ;   in Loop: Header=BB4_6830 Depth=3
	s_or_b32 exec_lo, exec_lo, s13
	v_lshrrev_b32_e32 v133, 21, v133
	s_delay_alu instid0(VALU_DEP_2) | instskip(SKIP_2) | instid1(VALU_DEP_4)
	v_cmp_gt_i32_e32 vcc_lo, 32, v69
	v_lshrrev_b32_e32 v53, 24, v53
	v_min_i32_e32 v134, 31, v69
	v_cndmask_b32_e32 v133, 3, v133, vcc_lo
	s_delay_alu instid0(VALU_DEP_3) | instskip(NEXT) | instid1(VALU_DEP_3)
	v_and_b32_e32 v53, 0x80, v53
	v_lshlrev_b32_e32 v134, 2, v134
	s_delay_alu instid0(VALU_DEP_3) | instskip(SKIP_1) | instid1(VALU_DEP_2)
	v_and_b32_e32 v135, 3, v133
	v_or_b32_e32 v69, v69, v133
	v_or3_b32 v53, v134, v53, v135
	s_delay_alu instid0(VALU_DEP_2) | instskip(NEXT) | instid1(VALU_DEP_2)
	v_cmp_ne_u32_e32 vcc_lo, 0, v69
	v_cndmask_b32_e32 v135, 0, v53, vcc_lo
.LBB4_6995:                             ;   in Loop: Header=BB4_6830 Depth=3
	s_or_b32 exec_lo, exec_lo, s30
.LBB4_6996:                             ;   in Loop: Header=BB4_6830 Depth=3
	s_delay_alu instid0(SALU_CYCLE_1)
	s_or_b32 exec_lo, exec_lo, s17
	flat_load_u8 v53, v[8:9] offset:416 slc dlc
	s_mov_b32 s13, 0
	s_mov_b32 s30, exec_lo
                                        ; implicit-def: $sgpr17
	s_waitcnt vmcnt(0) lgkmcnt(0)
	v_cmpx_lt_i16_e32 0x7f, v53
	s_xor_b32 s30, exec_lo, s30
	s_cbranch_execnz .LBB4_7341
; %bb.6997:                             ;   in Loop: Header=BB4_6830 Depth=3
	s_or_saveexec_b32 s30, s30
	v_mov_b32_e32 v69, s17
	s_xor_b32 exec_lo, exec_lo, s30
	s_cbranch_execnz .LBB4_7344
.LBB4_6998:                             ;   in Loop: Header=BB4_6830 Depth=3
	s_or_b32 exec_lo, exec_lo, s30
	s_and_saveexec_b32 s17, s13
	s_cbranch_execz .LBB4_7000
.LBB4_6999:                             ;   in Loop: Header=BB4_6830 Depth=3
	v_and_b32_e32 v69, 0xffff, v53
	v_lshlrev_b32_e32 v53, 24, v53
	s_delay_alu instid0(VALU_DEP_2) | instskip(NEXT) | instid1(VALU_DEP_2)
	v_and_b32_e32 v133, 3, v69
	v_and_b32_e32 v53, 0x80000000, v53
	s_delay_alu instid0(VALU_DEP_2) | instskip(NEXT) | instid1(VALU_DEP_1)
	v_clz_i32_u32_e32 v134, v133
	v_min_u32_e32 v134, 32, v134
	s_delay_alu instid0(VALU_DEP_1) | instskip(SKIP_1) | instid1(VALU_DEP_2)
	v_subrev_nc_u32_e32 v147, 29, v134
	v_sub_nc_u32_e32 v134, 30, v134
	v_lshlrev_b32_e32 v147, v147, v69
	v_bfe_u32 v69, v69, 2, 5
	s_delay_alu instid0(VALU_DEP_2) | instskip(NEXT) | instid1(VALU_DEP_2)
	v_and_b32_e32 v147, 3, v147
	v_cmp_eq_u32_e32 vcc_lo, 0, v69
	v_cndmask_b32_e32 v69, v69, v134, vcc_lo
	s_delay_alu instid0(VALU_DEP_3) | instskip(NEXT) | instid1(VALU_DEP_2)
	v_cndmask_b32_e32 v133, v133, v147, vcc_lo
	v_lshl_add_u32 v69, v69, 23, 0x37800000
	s_delay_alu instid0(VALU_DEP_2) | instskip(NEXT) | instid1(VALU_DEP_1)
	v_lshlrev_b32_e32 v133, 21, v133
	v_or3_b32 v69, v53, v69, v133
.LBB4_7000:                             ;   in Loop: Header=BB4_6830 Depth=3
	s_or_b32 exec_lo, exec_lo, s17
	s_delay_alu instid0(VALU_DEP_1) | instskip(SKIP_2) | instid1(VALU_DEP_2)
	v_mul_f32_e32 v53, v54, v69
	v_mov_b32_e32 v133, 0x80
	s_mov_b32 s17, exec_lo
	v_and_b32_e32 v69, 0x7f800000, v53
	s_delay_alu instid0(VALU_DEP_1)
	v_cmpx_ne_u32_e32 0x7f800000, v69
	s_cbranch_execz .LBB4_7008
; %bb.7001:                             ;   in Loop: Header=BB4_6830 Depth=3
	v_mov_b32_e32 v133, 0
	s_mov_b32 s30, exec_lo
	v_cmpx_ne_u32_e32 0, v53
	s_cbranch_execz .LBB4_7007
; %bb.7002:                             ;   in Loop: Header=BB4_6830 Depth=3
	v_bfe_u32 v69, v53, 23, 8
	s_delay_alu instid0(VALU_DEP_1) | instskip(SKIP_1) | instid1(VALU_DEP_2)
	v_sub_nc_u32_e32 v134, 0x70, v69
	v_cmp_gt_u32_e32 vcc_lo, 0x71, v69
	v_dual_cndmask_b32 v134, 0, v134 :: v_dual_and_b32 v133, 0x7fffff, v53
	s_delay_alu instid0(VALU_DEP_1) | instskip(SKIP_2) | instid1(VALU_DEP_4)
	v_or_b32_e32 v147, 0x800000, v133
	v_cmp_eq_u32_e32 vcc_lo, 0, v69
	v_add_nc_u32_e32 v69, 0xffffff91, v69
	v_cndmask_b32_e64 v134, v134, 0x6f, vcc_lo
	s_delay_alu instid0(VALU_DEP_4) | instskip(NEXT) | instid1(VALU_DEP_3)
	v_cndmask_b32_e32 v133, v147, v133, vcc_lo
	v_cndmask_b32_e64 v69, v69, 0xffffff92, vcc_lo
	s_delay_alu instid0(VALU_DEP_3) | instskip(NEXT) | instid1(VALU_DEP_3)
	v_lshl_add_u32 v147, 0x200000, v134, -1
	v_lshrrev_b32_e32 v160, v134, v133
	v_lshlrev_b32_e64 v166, v134, 0x100000
	s_delay_alu instid0(VALU_DEP_4) | instskip(NEXT) | instid1(VALU_DEP_4)
	v_add_nc_u32_e32 v134, v134, v69
	v_and_b32_e32 v133, v147, v133
	s_delay_alu instid0(VALU_DEP_4) | instskip(NEXT) | instid1(VALU_DEP_2)
	v_bfe_u32 v165, v160, 21, 1
	v_cmp_eq_u32_e64 s13, v133, v166
	s_delay_alu instid0(VALU_DEP_2) | instskip(NEXT) | instid1(VALU_DEP_1)
	v_add_nc_u32_e32 v147, -1, v165
	v_cndmask_b32_e64 v133, 0, v147, s13
	v_lshrrev_b32_e32 v147, 23, v160
	s_mov_b32 s13, exec_lo
	s_delay_alu instid0(VALU_DEP_2) | instskip(NEXT) | instid1(VALU_DEP_2)
	v_add_nc_u32_e32 v133, v133, v160
	v_xor_b32_e32 v147, 1, v147
	s_delay_alu instid0(VALU_DEP_2) | instskip(NEXT) | instid1(VALU_DEP_1)
	v_and_b32_e32 v69, 0x1fffff, v133
	v_add_nc_u32_e32 v133, v69, v160
                                        ; implicit-def: $vgpr69
	s_delay_alu instid0(VALU_DEP_3)
	v_cmpx_ne_u32_e64 v134, v147
	s_xor_b32 s13, exec_lo, s13
; %bb.7003:                             ;   in Loop: Header=BB4_6830 Depth=3
	s_delay_alu instid0(VALU_DEP_2) | instskip(SKIP_2) | instid1(VALU_DEP_2)
	v_cmp_lt_u32_e32 vcc_lo, 0xffffff, v133
	v_sub_nc_u32_e32 v69, v134, v147
	v_cndmask_b32_e64 v134, 0, 1, vcc_lo
	v_add_co_ci_u32_e32 v69, vcc_lo, 0, v69, vcc_lo
	s_delay_alu instid0(VALU_DEP_2)
	v_lshrrev_b32_e32 v133, v134, v133
; %bb.7004:                             ;   in Loop: Header=BB4_6830 Depth=3
	s_and_not1_saveexec_b32 s13, s13
; %bb.7005:                             ;   in Loop: Header=BB4_6830 Depth=3
	s_delay_alu instid0(VALU_DEP_1)
	v_bfe_u32 v69, v133, 23, 1
; %bb.7006:                             ;   in Loop: Header=BB4_6830 Depth=3
	s_or_b32 exec_lo, exec_lo, s13
	v_lshrrev_b32_e32 v133, 21, v133
	s_delay_alu instid0(VALU_DEP_2) | instskip(SKIP_2) | instid1(VALU_DEP_4)
	v_cmp_gt_i32_e32 vcc_lo, 32, v69
	v_lshrrev_b32_e32 v53, 24, v53
	v_min_i32_e32 v134, 31, v69
	v_cndmask_b32_e32 v133, 3, v133, vcc_lo
	s_delay_alu instid0(VALU_DEP_3) | instskip(NEXT) | instid1(VALU_DEP_3)
	v_and_b32_e32 v53, 0x80, v53
	v_lshlrev_b32_e32 v134, 2, v134
	s_delay_alu instid0(VALU_DEP_3) | instskip(SKIP_1) | instid1(VALU_DEP_2)
	v_and_b32_e32 v147, 3, v133
	v_or_b32_e32 v69, v69, v133
	v_or3_b32 v53, v134, v53, v147
	s_delay_alu instid0(VALU_DEP_2) | instskip(NEXT) | instid1(VALU_DEP_2)
	v_cmp_ne_u32_e32 vcc_lo, 0, v69
	v_cndmask_b32_e32 v133, 0, v53, vcc_lo
.LBB4_7007:                             ;   in Loop: Header=BB4_6830 Depth=3
	s_or_b32 exec_lo, exec_lo, s30
.LBB4_7008:                             ;   in Loop: Header=BB4_6830 Depth=3
	s_delay_alu instid0(SALU_CYCLE_1)
	s_or_b32 exec_lo, exec_lo, s17
	flat_load_u8 v53, v[8:9] offset:448 slc dlc
	s_mov_b32 s13, 0
	s_mov_b32 s30, exec_lo
                                        ; implicit-def: $sgpr17
	s_waitcnt vmcnt(0) lgkmcnt(0)
	v_cmpx_lt_i16_e32 0x7f, v53
	s_xor_b32 s30, exec_lo, s30
	s_cbranch_execnz .LBB4_7345
; %bb.7009:                             ;   in Loop: Header=BB4_6830 Depth=3
	s_or_saveexec_b32 s30, s30
	v_mov_b32_e32 v69, s17
	s_xor_b32 exec_lo, exec_lo, s30
	s_cbranch_execnz .LBB4_7348
.LBB4_7010:                             ;   in Loop: Header=BB4_6830 Depth=3
	s_or_b32 exec_lo, exec_lo, s30
	s_and_saveexec_b32 s17, s13
	s_cbranch_execz .LBB4_7012
.LBB4_7011:                             ;   in Loop: Header=BB4_6830 Depth=3
	v_and_b32_e32 v69, 0xffff, v53
	v_lshlrev_b32_e32 v53, 24, v53
	s_delay_alu instid0(VALU_DEP_2) | instskip(NEXT) | instid1(VALU_DEP_2)
	v_and_b32_e32 v134, 3, v69
	v_and_b32_e32 v53, 0x80000000, v53
	s_delay_alu instid0(VALU_DEP_2) | instskip(NEXT) | instid1(VALU_DEP_1)
	v_clz_i32_u32_e32 v147, v134
	v_min_u32_e32 v147, 32, v147
	s_delay_alu instid0(VALU_DEP_1) | instskip(SKIP_1) | instid1(VALU_DEP_2)
	v_subrev_nc_u32_e32 v160, 29, v147
	v_sub_nc_u32_e32 v147, 30, v147
	v_lshlrev_b32_e32 v160, v160, v69
	v_bfe_u32 v69, v69, 2, 5
	s_delay_alu instid0(VALU_DEP_2) | instskip(NEXT) | instid1(VALU_DEP_2)
	v_and_b32_e32 v160, 3, v160
	v_cmp_eq_u32_e32 vcc_lo, 0, v69
	s_delay_alu instid0(VALU_DEP_2) | instskip(NEXT) | instid1(VALU_DEP_1)
	v_dual_cndmask_b32 v69, v69, v147 :: v_dual_cndmask_b32 v134, v134, v160
	v_lshl_add_u32 v69, v69, 23, 0x37800000
	s_delay_alu instid0(VALU_DEP_2) | instskip(NEXT) | instid1(VALU_DEP_1)
	v_lshlrev_b32_e32 v134, 21, v134
	v_or3_b32 v69, v53, v69, v134
.LBB4_7012:                             ;   in Loop: Header=BB4_6830 Depth=3
	s_or_b32 exec_lo, exec_lo, s17
	s_delay_alu instid0(VALU_DEP_1) | instskip(NEXT) | instid1(VALU_DEP_1)
	v_mul_f32_e32 v53, v54, v69
	v_and_b32_e32 v69, 0x7f800000, v53
	s_delay_alu instid0(VALU_DEP_1)
	v_cmp_ne_u32_e32 vcc_lo, 0x7f800000, v69
	v_mov_b32_e32 v69, 0x80
	s_and_saveexec_b32 s17, vcc_lo
	s_cbranch_execz .LBB4_7020
; %bb.7013:                             ;   in Loop: Header=BB4_6830 Depth=3
	v_mov_b32_e32 v69, 0
	s_mov_b32 s30, exec_lo
	v_cmpx_ne_u32_e32 0, v53
	s_cbranch_execz .LBB4_7019
; %bb.7014:                             ;   in Loop: Header=BB4_6830 Depth=3
	v_bfe_u32 v69, v53, 23, 8
	s_delay_alu instid0(VALU_DEP_1) | instskip(SKIP_1) | instid1(VALU_DEP_2)
	v_sub_nc_u32_e32 v147, 0x70, v69
	v_cmp_gt_u32_e32 vcc_lo, 0x71, v69
	v_dual_cndmask_b32 v147, 0, v147 :: v_dual_and_b32 v134, 0x7fffff, v53
	s_delay_alu instid0(VALU_DEP_1) | instskip(SKIP_2) | instid1(VALU_DEP_4)
	v_or_b32_e32 v160, 0x800000, v134
	v_cmp_eq_u32_e32 vcc_lo, 0, v69
	v_add_nc_u32_e32 v69, 0xffffff91, v69
	v_cndmask_b32_e64 v147, v147, 0x6f, vcc_lo
	s_delay_alu instid0(VALU_DEP_4) | instskip(NEXT) | instid1(VALU_DEP_3)
	v_cndmask_b32_e32 v134, v160, v134, vcc_lo
	v_cndmask_b32_e64 v69, v69, 0xffffff92, vcc_lo
	s_delay_alu instid0(VALU_DEP_3) | instskip(NEXT) | instid1(VALU_DEP_3)
	v_lshl_add_u32 v160, 0x200000, v147, -1
	v_lshrrev_b32_e32 v165, v147, v134
	v_lshlrev_b32_e64 v167, v147, 0x100000
	s_delay_alu instid0(VALU_DEP_4) | instskip(NEXT) | instid1(VALU_DEP_4)
	v_add_nc_u32_e32 v147, v147, v69
	v_and_b32_e32 v134, v160, v134
	s_delay_alu instid0(VALU_DEP_4) | instskip(NEXT) | instid1(VALU_DEP_2)
	v_bfe_u32 v166, v165, 21, 1
	v_cmp_eq_u32_e64 s13, v134, v167
	s_delay_alu instid0(VALU_DEP_2) | instskip(NEXT) | instid1(VALU_DEP_1)
	v_add_nc_u32_e32 v160, -1, v166
	v_cndmask_b32_e64 v134, 0, v160, s13
	v_lshrrev_b32_e32 v160, 23, v165
	s_mov_b32 s13, exec_lo
	s_delay_alu instid0(VALU_DEP_2) | instskip(NEXT) | instid1(VALU_DEP_2)
	v_add_nc_u32_e32 v134, v134, v165
	v_xor_b32_e32 v160, 1, v160
	s_delay_alu instid0(VALU_DEP_2) | instskip(NEXT) | instid1(VALU_DEP_1)
	v_and_b32_e32 v69, 0x1fffff, v134
	v_add_nc_u32_e32 v134, v69, v165
                                        ; implicit-def: $vgpr69
	s_delay_alu instid0(VALU_DEP_3)
	v_cmpx_ne_u32_e64 v147, v160
	s_xor_b32 s13, exec_lo, s13
; %bb.7015:                             ;   in Loop: Header=BB4_6830 Depth=3
	s_delay_alu instid0(VALU_DEP_2) | instskip(SKIP_2) | instid1(VALU_DEP_2)
	v_cmp_lt_u32_e32 vcc_lo, 0xffffff, v134
	v_sub_nc_u32_e32 v69, v147, v160
	v_cndmask_b32_e64 v147, 0, 1, vcc_lo
	v_add_co_ci_u32_e32 v69, vcc_lo, 0, v69, vcc_lo
	s_delay_alu instid0(VALU_DEP_2)
	v_lshrrev_b32_e32 v134, v147, v134
; %bb.7016:                             ;   in Loop: Header=BB4_6830 Depth=3
	s_and_not1_saveexec_b32 s13, s13
; %bb.7017:                             ;   in Loop: Header=BB4_6830 Depth=3
	s_delay_alu instid0(VALU_DEP_1)
	v_bfe_u32 v69, v134, 23, 1
; %bb.7018:                             ;   in Loop: Header=BB4_6830 Depth=3
	s_or_b32 exec_lo, exec_lo, s13
	v_lshrrev_b32_e32 v134, 21, v134
	s_delay_alu instid0(VALU_DEP_2) | instskip(SKIP_2) | instid1(VALU_DEP_2)
	v_cmp_gt_i32_e32 vcc_lo, 32, v69
	v_lshrrev_b32_e32 v53, 24, v53
	v_min_i32_e32 v147, 31, v69
	v_dual_cndmask_b32 v134, 3, v134 :: v_dual_and_b32 v53, 0x80, v53
	s_delay_alu instid0(VALU_DEP_2) | instskip(NEXT) | instid1(VALU_DEP_2)
	v_lshlrev_b32_e32 v147, 2, v147
	v_or_b32_e32 v69, v69, v134
	s_delay_alu instid0(VALU_DEP_1) | instskip(SKIP_1) | instid1(VALU_DEP_1)
	v_cmp_ne_u32_e32 vcc_lo, 0, v69
	v_and_b32_e32 v160, 3, v134
	v_or3_b32 v53, v147, v53, v160
	s_delay_alu instid0(VALU_DEP_1)
	v_cndmask_b32_e32 v69, 0, v53, vcc_lo
.LBB4_7019:                             ;   in Loop: Header=BB4_6830 Depth=3
	s_or_b32 exec_lo, exec_lo, s30
.LBB4_7020:                             ;   in Loop: Header=BB4_6830 Depth=3
	s_delay_alu instid0(SALU_CYCLE_1)
	s_or_b32 exec_lo, exec_lo, s17
	flat_load_u8 v53, v[8:9] offset:480 slc dlc
	s_mov_b32 s13, 0
	s_mov_b32 s30, exec_lo
                                        ; implicit-def: $sgpr17
	s_waitcnt vmcnt(0) lgkmcnt(0)
	v_cmpx_lt_i16_e32 0x7f, v53
	s_xor_b32 s30, exec_lo, s30
	s_cbranch_execnz .LBB4_7349
; %bb.7021:                             ;   in Loop: Header=BB4_6830 Depth=3
	s_or_saveexec_b32 s30, s30
	v_mov_b32_e32 v134, s17
	s_xor_b32 exec_lo, exec_lo, s30
	s_cbranch_execnz .LBB4_7352
.LBB4_7022:                             ;   in Loop: Header=BB4_6830 Depth=3
	s_or_b32 exec_lo, exec_lo, s30
	s_and_saveexec_b32 s17, s13
	s_cbranch_execz .LBB4_7024
.LBB4_7023:                             ;   in Loop: Header=BB4_6830 Depth=3
	v_and_b32_e32 v134, 0xffff, v53
	v_lshlrev_b32_e32 v53, 24, v53
	s_delay_alu instid0(VALU_DEP_2) | instskip(NEXT) | instid1(VALU_DEP_2)
	v_and_b32_e32 v147, 3, v134
	v_and_b32_e32 v53, 0x80000000, v53
	s_delay_alu instid0(VALU_DEP_2) | instskip(NEXT) | instid1(VALU_DEP_1)
	v_clz_i32_u32_e32 v160, v147
	v_min_u32_e32 v160, 32, v160
	s_delay_alu instid0(VALU_DEP_1) | instskip(SKIP_1) | instid1(VALU_DEP_2)
	v_subrev_nc_u32_e32 v165, 29, v160
	v_sub_nc_u32_e32 v160, 30, v160
	v_lshlrev_b32_e32 v165, v165, v134
	v_bfe_u32 v134, v134, 2, 5
	s_delay_alu instid0(VALU_DEP_2) | instskip(NEXT) | instid1(VALU_DEP_2)
	v_and_b32_e32 v165, 3, v165
	v_cmp_eq_u32_e32 vcc_lo, 0, v134
	s_delay_alu instid0(VALU_DEP_2) | instskip(NEXT) | instid1(VALU_DEP_1)
	v_dual_cndmask_b32 v134, v134, v160 :: v_dual_cndmask_b32 v147, v147, v165
	v_lshl_add_u32 v134, v134, 23, 0x37800000
	s_delay_alu instid0(VALU_DEP_2) | instskip(NEXT) | instid1(VALU_DEP_1)
	v_lshlrev_b32_e32 v147, 21, v147
	v_or3_b32 v134, v53, v134, v147
.LBB4_7024:                             ;   in Loop: Header=BB4_6830 Depth=3
	s_or_b32 exec_lo, exec_lo, s17
	s_delay_alu instid0(VALU_DEP_1) | instskip(NEXT) | instid1(VALU_DEP_1)
	v_mul_f32_e32 v53, v54, v134
	v_and_b32_e32 v54, 0x7f800000, v53
	s_delay_alu instid0(VALU_DEP_1)
	v_cmp_ne_u32_e32 vcc_lo, 0x7f800000, v54
	v_mov_b32_e32 v54, 0x80
	s_and_saveexec_b32 s17, vcc_lo
	s_cbranch_execz .LBB4_7032
; %bb.7025:                             ;   in Loop: Header=BB4_6830 Depth=3
	v_mov_b32_e32 v54, 0
	s_mov_b32 s30, exec_lo
	v_cmpx_ne_u32_e32 0, v53
	s_cbranch_execz .LBB4_7031
; %bb.7026:                             ;   in Loop: Header=BB4_6830 Depth=3
	v_bfe_u32 v54, v53, 23, 8
	s_delay_alu instid0(VALU_DEP_1) | instskip(SKIP_1) | instid1(VALU_DEP_2)
	v_sub_nc_u32_e32 v147, 0x70, v54
	v_cmp_gt_u32_e32 vcc_lo, 0x71, v54
	v_dual_cndmask_b32 v147, 0, v147 :: v_dual_and_b32 v134, 0x7fffff, v53
	s_delay_alu instid0(VALU_DEP_1) | instskip(SKIP_2) | instid1(VALU_DEP_4)
	v_or_b32_e32 v160, 0x800000, v134
	v_cmp_eq_u32_e32 vcc_lo, 0, v54
	v_add_nc_u32_e32 v54, 0xffffff91, v54
	v_cndmask_b32_e64 v147, v147, 0x6f, vcc_lo
	s_delay_alu instid0(VALU_DEP_4) | instskip(NEXT) | instid1(VALU_DEP_3)
	v_cndmask_b32_e32 v134, v160, v134, vcc_lo
	v_cndmask_b32_e64 v54, v54, 0xffffff92, vcc_lo
	s_delay_alu instid0(VALU_DEP_3) | instskip(NEXT) | instid1(VALU_DEP_3)
	v_lshl_add_u32 v160, 0x200000, v147, -1
	v_lshrrev_b32_e32 v165, v147, v134
	v_lshlrev_b32_e64 v167, v147, 0x100000
	s_delay_alu instid0(VALU_DEP_4) | instskip(NEXT) | instid1(VALU_DEP_4)
	v_add_nc_u32_e32 v147, v147, v54
	v_and_b32_e32 v134, v160, v134
	s_delay_alu instid0(VALU_DEP_4) | instskip(NEXT) | instid1(VALU_DEP_2)
	v_bfe_u32 v166, v165, 21, 1
	v_cmp_eq_u32_e64 s13, v134, v167
	s_delay_alu instid0(VALU_DEP_2) | instskip(NEXT) | instid1(VALU_DEP_1)
	v_add_nc_u32_e32 v160, -1, v166
	v_cndmask_b32_e64 v134, 0, v160, s13
	v_lshrrev_b32_e32 v160, 23, v165
	s_mov_b32 s13, exec_lo
	s_delay_alu instid0(VALU_DEP_2) | instskip(NEXT) | instid1(VALU_DEP_2)
	v_add_nc_u32_e32 v134, v134, v165
	v_xor_b32_e32 v160, 1, v160
	s_delay_alu instid0(VALU_DEP_2) | instskip(NEXT) | instid1(VALU_DEP_1)
	v_and_b32_e32 v54, 0x1fffff, v134
	v_add_nc_u32_e32 v134, v54, v165
                                        ; implicit-def: $vgpr54
	s_delay_alu instid0(VALU_DEP_3)
	v_cmpx_ne_u32_e64 v147, v160
	s_xor_b32 s13, exec_lo, s13
; %bb.7027:                             ;   in Loop: Header=BB4_6830 Depth=3
	s_delay_alu instid0(VALU_DEP_2) | instskip(SKIP_2) | instid1(VALU_DEP_2)
	v_cmp_lt_u32_e32 vcc_lo, 0xffffff, v134
	v_sub_nc_u32_e32 v54, v147, v160
	v_cndmask_b32_e64 v147, 0, 1, vcc_lo
	v_add_co_ci_u32_e32 v54, vcc_lo, 0, v54, vcc_lo
	s_delay_alu instid0(VALU_DEP_2)
	v_lshrrev_b32_e32 v134, v147, v134
; %bb.7028:                             ;   in Loop: Header=BB4_6830 Depth=3
	s_and_not1_saveexec_b32 s13, s13
; %bb.7029:                             ;   in Loop: Header=BB4_6830 Depth=3
	s_delay_alu instid0(VALU_DEP_1)
	v_bfe_u32 v54, v134, 23, 1
; %bb.7030:                             ;   in Loop: Header=BB4_6830 Depth=3
	s_or_b32 exec_lo, exec_lo, s13
	v_lshrrev_b32_e32 v134, 21, v134
	s_delay_alu instid0(VALU_DEP_2) | instskip(SKIP_2) | instid1(VALU_DEP_2)
	v_cmp_gt_i32_e32 vcc_lo, 32, v54
	v_lshrrev_b32_e32 v53, 24, v53
	v_min_i32_e32 v147, 31, v54
	v_dual_cndmask_b32 v134, 3, v134 :: v_dual_and_b32 v53, 0x80, v53
	s_delay_alu instid0(VALU_DEP_1) | instskip(SKIP_1) | instid1(VALU_DEP_2)
	v_or_b32_e32 v54, v54, v134
	v_and_b32_e32 v160, 3, v134
	v_cmp_ne_u32_e32 vcc_lo, 0, v54
	v_lshlrev_b32_e32 v147, 2, v147
	s_delay_alu instid0(VALU_DEP_1) | instskip(NEXT) | instid1(VALU_DEP_1)
	v_or3_b32 v53, v147, v53, v160
	v_cndmask_b32_e32 v54, 0, v53, vcc_lo
.LBB4_7031:                             ;   in Loop: Header=BB4_6830 Depth=3
	s_or_b32 exec_lo, exec_lo, s30
.LBB4_7032:                             ;   in Loop: Header=BB4_6830 Depth=3
	s_delay_alu instid0(SALU_CYCLE_1)
	s_or_b32 exec_lo, exec_lo, s17
	s_clause 0xf
	flat_load_u8 v40, v[10:11] slc dlc
	flat_load_u8 v183, v[10:11] offset:32 slc dlc
	flat_load_u8 v182, v[10:11] offset:64 slc dlc
	;; [unrolled: 1-line block ×15, first 2 shown]
	v_and_b32_e32 v42, 0xff, v68
	s_mov_b32 s13, 0
	s_mov_b32 s30, exec_lo
                                        ; implicit-def: $sgpr17
	s_delay_alu instid0(VALU_DEP_1)
	v_cmpx_lt_i16_e32 0x7f, v42
	s_xor_b32 s30, exec_lo, s30
	s_cbranch_execnz .LBB4_7353
; %bb.7033:                             ;   in Loop: Header=BB4_6830 Depth=3
	s_or_saveexec_b32 s30, s30
	v_mov_b32_e32 v41, s17
	s_xor_b32 exec_lo, exec_lo, s30
	s_cbranch_execnz .LBB4_7356
.LBB4_7034:                             ;   in Loop: Header=BB4_6830 Depth=3
	s_or_b32 exec_lo, exec_lo, s30
	s_and_saveexec_b32 s17, s13
	s_cbranch_execz .LBB4_7036
.LBB4_7035:                             ;   in Loop: Header=BB4_6830 Depth=3
	v_lshrrev_b16 v44, 2, v68
	s_delay_alu instid0(VALU_DEP_1) | instskip(NEXT) | instid1(VALU_DEP_1)
	v_and_b32_e32 v44, 31, v44
	v_cmp_eq_u32_e32 vcc_lo, 0, v44
	v_and_b32_e32 v41, 3, v68
	s_delay_alu instid0(VALU_DEP_1) | instskip(NEXT) | instid1(VALU_DEP_1)
	v_clz_i32_u32_e32 v42, v41
	v_min_u32_e32 v42, 32, v42
	s_delay_alu instid0(VALU_DEP_1) | instskip(SKIP_1) | instid1(VALU_DEP_1)
	v_subrev_nc_u32_e32 v43, 29, v42
	v_sub_nc_u32_e32 v42, 30, v42
	v_dual_cndmask_b32 v42, v44, v42 :: v_dual_lshlrev_b32 v43, v43, v68
	v_lshlrev_b32_e32 v68, 24, v68
	s_delay_alu instid0(VALU_DEP_2) | instskip(NEXT) | instid1(VALU_DEP_3)
	v_and_b32_e32 v43, 3, v43
	v_lshl_add_u32 v42, v42, 23, 0x37800000
	s_delay_alu instid0(VALU_DEP_2) | instskip(NEXT) | instid1(VALU_DEP_1)
	v_dual_cndmask_b32 v41, v41, v43 :: v_dual_and_b32 v68, 0x80000000, v68
	v_lshlrev_b32_e32 v41, 21, v41
	s_delay_alu instid0(VALU_DEP_1)
	v_or3_b32 v41, v68, v42, v41
.LBB4_7036:                             ;   in Loop: Header=BB4_6830 Depth=3
	s_or_b32 exec_lo, exec_lo, s17
	s_waitcnt vmcnt(15) lgkmcnt(15)
	v_and_b32_e32 v42, 0xff, v40
	s_mov_b32 s13, 0
	s_mov_b32 s30, exec_lo
                                        ; implicit-def: $sgpr17
	s_delay_alu instid0(VALU_DEP_1)
	v_cmpx_lt_i16_e32 0x7f, v42
	s_xor_b32 s30, exec_lo, s30
	s_cbranch_execnz .LBB4_7357
; %bb.7037:                             ;   in Loop: Header=BB4_6830 Depth=3
	s_or_saveexec_b32 s30, s30
	v_mov_b32_e32 v68, s17
	s_xor_b32 exec_lo, exec_lo, s30
	s_cbranch_execnz .LBB4_7360
.LBB4_7038:                             ;   in Loop: Header=BB4_6830 Depth=3
	s_or_b32 exec_lo, exec_lo, s30
	s_and_saveexec_b32 s17, s13
	s_cbranch_execz .LBB4_7040
.LBB4_7039:                             ;   in Loop: Header=BB4_6830 Depth=3
	v_and_b32_e32 v68, 3, v40
	v_lshrrev_b16 v44, 2, v40
	s_delay_alu instid0(VALU_DEP_2) | instskip(NEXT) | instid1(VALU_DEP_2)
	v_clz_i32_u32_e32 v42, v68
	v_and_b32_e32 v44, 31, v44
	s_delay_alu instid0(VALU_DEP_2) | instskip(NEXT) | instid1(VALU_DEP_2)
	v_min_u32_e32 v42, 32, v42
	v_cmp_eq_u32_e32 vcc_lo, 0, v44
	s_delay_alu instid0(VALU_DEP_2) | instskip(SKIP_1) | instid1(VALU_DEP_1)
	v_subrev_nc_u32_e32 v43, 29, v42
	v_sub_nc_u32_e32 v42, 30, v42
	v_dual_cndmask_b32 v42, v44, v42 :: v_dual_lshlrev_b32 v43, v43, v40
	v_lshlrev_b32_e32 v40, 24, v40
	s_delay_alu instid0(VALU_DEP_2) | instskip(NEXT) | instid1(VALU_DEP_3)
	v_and_b32_e32 v43, 3, v43
	v_lshl_add_u32 v42, v42, 23, 0x37800000
	s_delay_alu instid0(VALU_DEP_3) | instskip(NEXT) | instid1(VALU_DEP_3)
	v_and_b32_e32 v40, 0x80000000, v40
	v_cndmask_b32_e32 v68, v68, v43, vcc_lo
	s_delay_alu instid0(VALU_DEP_1) | instskip(NEXT) | instid1(VALU_DEP_1)
	v_lshlrev_b32_e32 v68, 21, v68
	v_or3_b32 v68, v40, v42, v68
.LBB4_7040:                             ;   in Loop: Header=BB4_6830 Depth=3
	s_or_b32 exec_lo, exec_lo, s17
	s_delay_alu instid0(VALU_DEP_1) | instskip(NEXT) | instid1(VALU_DEP_1)
	v_add_f32_e32 v40, v41, v68
	v_and_b32_e32 v68, 0x7f800000, v40
	s_delay_alu instid0(VALU_DEP_1)
	v_cmp_ne_u32_e32 vcc_lo, 0x7f800000, v68
	v_mov_b32_e32 v68, 0x80
	s_and_saveexec_b32 s17, vcc_lo
	s_cbranch_execz .LBB4_7048
; %bb.7041:                             ;   in Loop: Header=BB4_6830 Depth=3
	v_mov_b32_e32 v68, 0
	s_mov_b32 s30, exec_lo
	v_cmpx_ne_u32_e32 0, v40
	s_cbranch_execz .LBB4_7047
; %bb.7042:                             ;   in Loop: Header=BB4_6830 Depth=3
	v_bfe_u32 v68, v40, 23, 8
	s_delay_alu instid0(VALU_DEP_1) | instskip(SKIP_1) | instid1(VALU_DEP_2)
	v_sub_nc_u32_e32 v42, 0x70, v68
	v_cmp_gt_u32_e32 vcc_lo, 0x71, v68
	v_dual_cndmask_b32 v42, 0, v42 :: v_dual_and_b32 v41, 0x7fffff, v40
	s_delay_alu instid0(VALU_DEP_1) | instskip(SKIP_2) | instid1(VALU_DEP_4)
	v_or_b32_e32 v43, 0x800000, v41
	v_cmp_eq_u32_e32 vcc_lo, 0, v68
	v_add_nc_u32_e32 v68, 0xffffff91, v68
	v_cndmask_b32_e64 v42, v42, 0x6f, vcc_lo
	s_delay_alu instid0(VALU_DEP_4) | instskip(NEXT) | instid1(VALU_DEP_3)
	v_cndmask_b32_e32 v41, v43, v41, vcc_lo
	v_cndmask_b32_e64 v68, v68, 0xffffff92, vcc_lo
	s_delay_alu instid0(VALU_DEP_3) | instskip(NEXT) | instid1(VALU_DEP_3)
	v_lshl_add_u32 v43, 0x200000, v42, -1
	v_lshrrev_b32_e32 v44, v42, v41
	v_lshlrev_b32_e64 v46, v42, 0x100000
	s_delay_alu instid0(VALU_DEP_4) | instskip(NEXT) | instid1(VALU_DEP_4)
	v_add_nc_u32_e32 v42, v42, v68
	v_and_b32_e32 v41, v43, v41
	s_delay_alu instid0(VALU_DEP_4) | instskip(NEXT) | instid1(VALU_DEP_2)
	v_bfe_u32 v45, v44, 21, 1
	v_cmp_eq_u32_e64 s13, v41, v46
	s_delay_alu instid0(VALU_DEP_2) | instskip(NEXT) | instid1(VALU_DEP_1)
	v_add_nc_u32_e32 v43, -1, v45
	v_cndmask_b32_e64 v41, 0, v43, s13
	v_lshrrev_b32_e32 v43, 23, v44
	s_mov_b32 s13, exec_lo
	s_delay_alu instid0(VALU_DEP_2) | instskip(NEXT) | instid1(VALU_DEP_2)
	v_add_nc_u32_e32 v41, v41, v44
	v_xor_b32_e32 v43, 1, v43
	s_delay_alu instid0(VALU_DEP_2) | instskip(NEXT) | instid1(VALU_DEP_1)
	v_and_b32_e32 v68, 0x1fffff, v41
	v_add_nc_u32_e32 v41, v68, v44
                                        ; implicit-def: $vgpr68
	s_delay_alu instid0(VALU_DEP_3)
	v_cmpx_ne_u32_e64 v42, v43
	s_xor_b32 s13, exec_lo, s13
; %bb.7043:                             ;   in Loop: Header=BB4_6830 Depth=3
	s_delay_alu instid0(VALU_DEP_2) | instskip(SKIP_2) | instid1(VALU_DEP_2)
	v_cmp_lt_u32_e32 vcc_lo, 0xffffff, v41
	v_sub_nc_u32_e32 v68, v42, v43
	v_cndmask_b32_e64 v42, 0, 1, vcc_lo
	v_add_co_ci_u32_e32 v68, vcc_lo, 0, v68, vcc_lo
	s_delay_alu instid0(VALU_DEP_2)
	v_lshrrev_b32_e32 v41, v42, v41
; %bb.7044:                             ;   in Loop: Header=BB4_6830 Depth=3
	s_and_not1_saveexec_b32 s13, s13
; %bb.7045:                             ;   in Loop: Header=BB4_6830 Depth=3
	s_delay_alu instid0(VALU_DEP_1)
	v_bfe_u32 v68, v41, 23, 1
; %bb.7046:                             ;   in Loop: Header=BB4_6830 Depth=3
	s_or_b32 exec_lo, exec_lo, s13
	v_lshrrev_b32_e32 v41, 21, v41
	s_delay_alu instid0(VALU_DEP_2) | instskip(SKIP_2) | instid1(VALU_DEP_2)
	v_cmp_gt_i32_e32 vcc_lo, 32, v68
	v_lshrrev_b32_e32 v40, 24, v40
	v_min_i32_e32 v42, 31, v68
	v_dual_cndmask_b32 v41, 3, v41 :: v_dual_and_b32 v40, 0x80, v40
	s_delay_alu instid0(VALU_DEP_2) | instskip(NEXT) | instid1(VALU_DEP_2)
	v_lshlrev_b32_e32 v42, 2, v42
	v_or_b32_e32 v68, v68, v41
	s_delay_alu instid0(VALU_DEP_1) | instskip(SKIP_1) | instid1(VALU_DEP_1)
	v_cmp_ne_u32_e32 vcc_lo, 0, v68
	v_and_b32_e32 v43, 3, v41
	v_or3_b32 v40, v42, v40, v43
	s_delay_alu instid0(VALU_DEP_1)
	v_cndmask_b32_e32 v68, 0, v40, vcc_lo
.LBB4_7047:                             ;   in Loop: Header=BB4_6830 Depth=3
	s_or_b32 exec_lo, exec_lo, s30
.LBB4_7048:                             ;   in Loop: Header=BB4_6830 Depth=3
	s_delay_alu instid0(SALU_CYCLE_1) | instskip(SKIP_3) | instid1(VALU_DEP_1)
	s_or_b32 exec_lo, exec_lo, s17
	v_and_b32_e32 v41, 0xff, v144
	s_mov_b32 s13, 0
	s_mov_b32 s30, exec_lo
                                        ; implicit-def: $sgpr17
	v_cmpx_lt_i16_e32 0x7f, v41
	s_xor_b32 s30, exec_lo, s30
	s_cbranch_execnz .LBB4_7361
; %bb.7049:                             ;   in Loop: Header=BB4_6830 Depth=3
	s_or_saveexec_b32 s30, s30
	v_mov_b32_e32 v40, s17
	s_xor_b32 exec_lo, exec_lo, s30
	s_cbranch_execnz .LBB4_7364
.LBB4_7050:                             ;   in Loop: Header=BB4_6830 Depth=3
	s_or_b32 exec_lo, exec_lo, s30
	s_and_saveexec_b32 s17, s13
	s_cbranch_execz .LBB4_7052
.LBB4_7051:                             ;   in Loop: Header=BB4_6830 Depth=3
	v_lshrrev_b16 v43, 2, v144
	s_delay_alu instid0(VALU_DEP_1) | instskip(NEXT) | instid1(VALU_DEP_1)
	v_and_b32_e32 v43, 31, v43
	v_cmp_eq_u32_e32 vcc_lo, 0, v43
	v_and_b32_e32 v40, 3, v144
	s_delay_alu instid0(VALU_DEP_1) | instskip(NEXT) | instid1(VALU_DEP_1)
	v_clz_i32_u32_e32 v41, v40
	v_min_u32_e32 v41, 32, v41
	s_delay_alu instid0(VALU_DEP_1) | instskip(SKIP_1) | instid1(VALU_DEP_1)
	v_subrev_nc_u32_e32 v42, 29, v41
	v_sub_nc_u32_e32 v41, 30, v41
	v_dual_cndmask_b32 v41, v43, v41 :: v_dual_lshlrev_b32 v42, v42, v144
	v_lshlrev_b32_e32 v144, 24, v144
	s_delay_alu instid0(VALU_DEP_2) | instskip(NEXT) | instid1(VALU_DEP_3)
	v_and_b32_e32 v42, 3, v42
	v_lshl_add_u32 v41, v41, 23, 0x37800000
	s_delay_alu instid0(VALU_DEP_3) | instskip(NEXT) | instid1(VALU_DEP_3)
	v_and_b32_e32 v144, 0x80000000, v144
	v_cndmask_b32_e32 v40, v40, v42, vcc_lo
	s_delay_alu instid0(VALU_DEP_1) | instskip(NEXT) | instid1(VALU_DEP_1)
	v_lshlrev_b32_e32 v40, 21, v40
	v_or3_b32 v40, v144, v41, v40
.LBB4_7052:                             ;   in Loop: Header=BB4_6830 Depth=3
	s_or_b32 exec_lo, exec_lo, s17
	s_waitcnt vmcnt(14) lgkmcnt(14)
	v_and_b32_e32 v41, 0xff, v183
	s_mov_b32 s13, 0
	s_mov_b32 s30, exec_lo
                                        ; implicit-def: $sgpr17
	s_delay_alu instid0(VALU_DEP_1)
	v_cmpx_lt_i16_e32 0x7f, v41
	s_xor_b32 s30, exec_lo, s30
	s_cbranch_execnz .LBB4_7365
; %bb.7053:                             ;   in Loop: Header=BB4_6830 Depth=3
	s_or_saveexec_b32 s30, s30
	v_mov_b32_e32 v144, s17
	s_xor_b32 exec_lo, exec_lo, s30
	s_cbranch_execnz .LBB4_7368
.LBB4_7054:                             ;   in Loop: Header=BB4_6830 Depth=3
	s_or_b32 exec_lo, exec_lo, s30
	s_and_saveexec_b32 s17, s13
	s_cbranch_execz .LBB4_7056
.LBB4_7055:                             ;   in Loop: Header=BB4_6830 Depth=3
	v_lshrrev_b16 v43, 2, v183
	s_delay_alu instid0(VALU_DEP_1) | instskip(NEXT) | instid1(VALU_DEP_1)
	v_and_b32_e32 v43, 31, v43
	v_cmp_eq_u32_e32 vcc_lo, 0, v43
	v_and_b32_e32 v144, 3, v183
	s_delay_alu instid0(VALU_DEP_1) | instskip(NEXT) | instid1(VALU_DEP_1)
	v_clz_i32_u32_e32 v41, v144
	v_min_u32_e32 v41, 32, v41
	s_delay_alu instid0(VALU_DEP_1) | instskip(SKIP_1) | instid1(VALU_DEP_1)
	v_subrev_nc_u32_e32 v42, 29, v41
	v_sub_nc_u32_e32 v41, 30, v41
	v_dual_cndmask_b32 v41, v43, v41 :: v_dual_lshlrev_b32 v42, v42, v183
	v_lshlrev_b32_e32 v183, 24, v183
	s_delay_alu instid0(VALU_DEP_2) | instskip(NEXT) | instid1(VALU_DEP_3)
	v_and_b32_e32 v42, 3, v42
	v_lshl_add_u32 v41, v41, 23, 0x37800000
	s_delay_alu instid0(VALU_DEP_2) | instskip(NEXT) | instid1(VALU_DEP_1)
	v_dual_cndmask_b32 v144, v144, v42 :: v_dual_and_b32 v183, 0x80000000, v183
	v_lshlrev_b32_e32 v144, 21, v144
	s_delay_alu instid0(VALU_DEP_1)
	v_or3_b32 v144, v183, v41, v144
.LBB4_7056:                             ;   in Loop: Header=BB4_6830 Depth=3
	s_or_b32 exec_lo, exec_lo, s17
	s_delay_alu instid0(VALU_DEP_1) | instskip(NEXT) | instid1(VALU_DEP_1)
	v_add_f32_e32 v183, v40, v144
	v_and_b32_e32 v144, 0x7f800000, v183
	s_delay_alu instid0(VALU_DEP_1)
	v_cmp_ne_u32_e32 vcc_lo, 0x7f800000, v144
	v_mov_b32_e32 v144, 0x80
	s_and_saveexec_b32 s17, vcc_lo
	s_cbranch_execz .LBB4_7064
; %bb.7057:                             ;   in Loop: Header=BB4_6830 Depth=3
	v_mov_b32_e32 v144, 0
	s_mov_b32 s30, exec_lo
	v_cmpx_ne_u32_e32 0, v183
	s_cbranch_execz .LBB4_7063
; %bb.7058:                             ;   in Loop: Header=BB4_6830 Depth=3
	v_bfe_u32 v144, v183, 23, 8
	s_delay_alu instid0(VALU_DEP_1) | instskip(SKIP_1) | instid1(VALU_DEP_2)
	v_sub_nc_u32_e32 v41, 0x70, v144
	v_cmp_gt_u32_e32 vcc_lo, 0x71, v144
	v_dual_cndmask_b32 v41, 0, v41 :: v_dual_and_b32 v40, 0x7fffff, v183
	s_delay_alu instid0(VALU_DEP_1) | instskip(SKIP_2) | instid1(VALU_DEP_4)
	v_or_b32_e32 v42, 0x800000, v40
	v_cmp_eq_u32_e32 vcc_lo, 0, v144
	v_add_nc_u32_e32 v144, 0xffffff91, v144
	v_cndmask_b32_e64 v41, v41, 0x6f, vcc_lo
	s_delay_alu instid0(VALU_DEP_4) | instskip(NEXT) | instid1(VALU_DEP_3)
	v_cndmask_b32_e32 v40, v42, v40, vcc_lo
	v_cndmask_b32_e64 v144, v144, 0xffffff92, vcc_lo
	s_delay_alu instid0(VALU_DEP_3) | instskip(NEXT) | instid1(VALU_DEP_3)
	v_lshl_add_u32 v42, 0x200000, v41, -1
	v_lshrrev_b32_e32 v43, v41, v40
	v_lshlrev_b32_e64 v45, v41, 0x100000
	s_delay_alu instid0(VALU_DEP_4) | instskip(NEXT) | instid1(VALU_DEP_4)
	v_add_nc_u32_e32 v41, v41, v144
	v_and_b32_e32 v40, v42, v40
	s_delay_alu instid0(VALU_DEP_4) | instskip(NEXT) | instid1(VALU_DEP_2)
	v_bfe_u32 v44, v43, 21, 1
	v_cmp_eq_u32_e64 s13, v40, v45
	s_delay_alu instid0(VALU_DEP_2) | instskip(NEXT) | instid1(VALU_DEP_1)
	v_add_nc_u32_e32 v42, -1, v44
	v_cndmask_b32_e64 v40, 0, v42, s13
	v_lshrrev_b32_e32 v42, 23, v43
	s_mov_b32 s13, exec_lo
	s_delay_alu instid0(VALU_DEP_2) | instskip(NEXT) | instid1(VALU_DEP_2)
	v_add_nc_u32_e32 v40, v40, v43
	v_xor_b32_e32 v42, 1, v42
	s_delay_alu instid0(VALU_DEP_2) | instskip(NEXT) | instid1(VALU_DEP_1)
	v_and_b32_e32 v144, 0x1fffff, v40
	v_add_nc_u32_e32 v40, v144, v43
                                        ; implicit-def: $vgpr144
	s_delay_alu instid0(VALU_DEP_3)
	v_cmpx_ne_u32_e64 v41, v42
	s_xor_b32 s13, exec_lo, s13
; %bb.7059:                             ;   in Loop: Header=BB4_6830 Depth=3
	s_delay_alu instid0(VALU_DEP_2) | instskip(SKIP_2) | instid1(VALU_DEP_2)
	v_cmp_lt_u32_e32 vcc_lo, 0xffffff, v40
	v_sub_nc_u32_e32 v144, v41, v42
	v_cndmask_b32_e64 v41, 0, 1, vcc_lo
	v_add_co_ci_u32_e32 v144, vcc_lo, 0, v144, vcc_lo
	s_delay_alu instid0(VALU_DEP_2)
	v_lshrrev_b32_e32 v40, v41, v40
; %bb.7060:                             ;   in Loop: Header=BB4_6830 Depth=3
	s_and_not1_saveexec_b32 s13, s13
; %bb.7061:                             ;   in Loop: Header=BB4_6830 Depth=3
	s_delay_alu instid0(VALU_DEP_1)
	v_bfe_u32 v144, v40, 23, 1
; %bb.7062:                             ;   in Loop: Header=BB4_6830 Depth=3
	s_or_b32 exec_lo, exec_lo, s13
	v_lshrrev_b32_e32 v40, 21, v40
	s_delay_alu instid0(VALU_DEP_2) | instskip(SKIP_2) | instid1(VALU_DEP_2)
	v_cmp_gt_i32_e32 vcc_lo, 32, v144
	v_lshrrev_b32_e32 v183, 24, v183
	v_min_i32_e32 v41, 31, v144
	v_dual_cndmask_b32 v40, 3, v40 :: v_dual_and_b32 v183, 0x80, v183
	s_delay_alu instid0(VALU_DEP_1) | instskip(SKIP_1) | instid1(VALU_DEP_2)
	v_or_b32_e32 v144, v144, v40
	v_and_b32_e32 v42, 3, v40
	v_cmp_ne_u32_e32 vcc_lo, 0, v144
	v_lshlrev_b32_e32 v41, 2, v41
	s_delay_alu instid0(VALU_DEP_1) | instskip(NEXT) | instid1(VALU_DEP_1)
	v_or3_b32 v183, v41, v183, v42
	v_cndmask_b32_e32 v144, 0, v183, vcc_lo
.LBB4_7063:                             ;   in Loop: Header=BB4_6830 Depth=3
	s_or_b32 exec_lo, exec_lo, s30
.LBB4_7064:                             ;   in Loop: Header=BB4_6830 Depth=3
	s_delay_alu instid0(SALU_CYCLE_1) | instskip(SKIP_3) | instid1(VALU_DEP_1)
	s_or_b32 exec_lo, exec_lo, s17
	v_and_b32_e32 v40, 0xff, v150
	s_mov_b32 s13, 0
	s_mov_b32 s30, exec_lo
                                        ; implicit-def: $sgpr17
	v_cmpx_lt_i16_e32 0x7f, v40
	s_xor_b32 s30, exec_lo, s30
	s_cbranch_execnz .LBB4_7369
; %bb.7065:                             ;   in Loop: Header=BB4_6830 Depth=3
	s_or_saveexec_b32 s30, s30
	v_mov_b32_e32 v183, s17
	s_xor_b32 exec_lo, exec_lo, s30
	s_cbranch_execnz .LBB4_7372
.LBB4_7066:                             ;   in Loop: Header=BB4_6830 Depth=3
	s_or_b32 exec_lo, exec_lo, s30
	s_and_saveexec_b32 s17, s13
	s_cbranch_execz .LBB4_7068
.LBB4_7067:                             ;   in Loop: Header=BB4_6830 Depth=3
	v_lshrrev_b16 v42, 2, v150
	s_delay_alu instid0(VALU_DEP_1) | instskip(NEXT) | instid1(VALU_DEP_1)
	v_and_b32_e32 v42, 31, v42
	v_cmp_eq_u32_e32 vcc_lo, 0, v42
	v_and_b32_e32 v183, 3, v150
	s_delay_alu instid0(VALU_DEP_1) | instskip(NEXT) | instid1(VALU_DEP_1)
	v_clz_i32_u32_e32 v40, v183
	v_min_u32_e32 v40, 32, v40
	s_delay_alu instid0(VALU_DEP_1) | instskip(SKIP_1) | instid1(VALU_DEP_1)
	v_subrev_nc_u32_e32 v41, 29, v40
	v_sub_nc_u32_e32 v40, 30, v40
	v_dual_cndmask_b32 v40, v42, v40 :: v_dual_lshlrev_b32 v41, v41, v150
	v_lshlrev_b32_e32 v150, 24, v150
	s_delay_alu instid0(VALU_DEP_2) | instskip(NEXT) | instid1(VALU_DEP_3)
	v_and_b32_e32 v41, 3, v41
	v_lshl_add_u32 v40, v40, 23, 0x37800000
	s_delay_alu instid0(VALU_DEP_2) | instskip(NEXT) | instid1(VALU_DEP_1)
	v_dual_cndmask_b32 v183, v183, v41 :: v_dual_and_b32 v150, 0x80000000, v150
	v_lshlrev_b32_e32 v183, 21, v183
	s_delay_alu instid0(VALU_DEP_1)
	v_or3_b32 v183, v150, v40, v183
.LBB4_7068:                             ;   in Loop: Header=BB4_6830 Depth=3
	s_or_b32 exec_lo, exec_lo, s17
	s_waitcnt vmcnt(13) lgkmcnt(13)
	v_and_b32_e32 v40, 0xff, v182
	s_mov_b32 s13, 0
	s_mov_b32 s30, exec_lo
                                        ; implicit-def: $sgpr17
	s_delay_alu instid0(VALU_DEP_1)
	v_cmpx_lt_i16_e32 0x7f, v40
	s_xor_b32 s30, exec_lo, s30
	s_cbranch_execnz .LBB4_7373
; %bb.7069:                             ;   in Loop: Header=BB4_6830 Depth=3
	s_or_saveexec_b32 s30, s30
	v_mov_b32_e32 v150, s17
	s_xor_b32 exec_lo, exec_lo, s30
	s_cbranch_execnz .LBB4_7376
.LBB4_7070:                             ;   in Loop: Header=BB4_6830 Depth=3
	s_or_b32 exec_lo, exec_lo, s30
	s_and_saveexec_b32 s17, s13
	s_cbranch_execz .LBB4_7072
.LBB4_7071:                             ;   in Loop: Header=BB4_6830 Depth=3
	v_and_b32_e32 v150, 3, v182
	v_lshrrev_b16 v42, 2, v182
	s_delay_alu instid0(VALU_DEP_2) | instskip(NEXT) | instid1(VALU_DEP_2)
	v_clz_i32_u32_e32 v40, v150
	v_and_b32_e32 v42, 31, v42
	s_delay_alu instid0(VALU_DEP_2) | instskip(NEXT) | instid1(VALU_DEP_2)
	v_min_u32_e32 v40, 32, v40
	v_cmp_eq_u32_e32 vcc_lo, 0, v42
	s_delay_alu instid0(VALU_DEP_2) | instskip(SKIP_1) | instid1(VALU_DEP_1)
	v_subrev_nc_u32_e32 v41, 29, v40
	v_sub_nc_u32_e32 v40, 30, v40
	v_dual_cndmask_b32 v40, v42, v40 :: v_dual_lshlrev_b32 v41, v41, v182
	v_lshlrev_b32_e32 v182, 24, v182
	s_delay_alu instid0(VALU_DEP_2) | instskip(NEXT) | instid1(VALU_DEP_3)
	v_and_b32_e32 v41, 3, v41
	v_lshl_add_u32 v40, v40, 23, 0x37800000
	s_delay_alu instid0(VALU_DEP_3) | instskip(NEXT) | instid1(VALU_DEP_3)
	v_and_b32_e32 v182, 0x80000000, v182
	v_cndmask_b32_e32 v150, v150, v41, vcc_lo
	s_delay_alu instid0(VALU_DEP_1) | instskip(NEXT) | instid1(VALU_DEP_1)
	v_lshlrev_b32_e32 v150, 21, v150
	v_or3_b32 v150, v182, v40, v150
.LBB4_7072:                             ;   in Loop: Header=BB4_6830 Depth=3
	s_or_b32 exec_lo, exec_lo, s17
	s_delay_alu instid0(VALU_DEP_1) | instskip(NEXT) | instid1(VALU_DEP_1)
	v_add_f32_e32 v182, v183, v150
	v_and_b32_e32 v150, 0x7f800000, v182
	s_delay_alu instid0(VALU_DEP_1)
	v_cmp_ne_u32_e32 vcc_lo, 0x7f800000, v150
	v_mov_b32_e32 v150, 0x80
	s_and_saveexec_b32 s17, vcc_lo
	s_cbranch_execz .LBB4_7080
; %bb.7073:                             ;   in Loop: Header=BB4_6830 Depth=3
	v_mov_b32_e32 v150, 0
	s_mov_b32 s30, exec_lo
	v_cmpx_ne_u32_e32 0, v182
	s_cbranch_execz .LBB4_7079
; %bb.7074:                             ;   in Loop: Header=BB4_6830 Depth=3
	v_bfe_u32 v150, v182, 23, 8
	s_delay_alu instid0(VALU_DEP_1) | instskip(SKIP_1) | instid1(VALU_DEP_2)
	v_sub_nc_u32_e32 v40, 0x70, v150
	v_cmp_gt_u32_e32 vcc_lo, 0x71, v150
	v_dual_cndmask_b32 v40, 0, v40 :: v_dual_and_b32 v183, 0x7fffff, v182
	s_delay_alu instid0(VALU_DEP_1) | instskip(SKIP_2) | instid1(VALU_DEP_4)
	v_or_b32_e32 v41, 0x800000, v183
	v_cmp_eq_u32_e32 vcc_lo, 0, v150
	v_add_nc_u32_e32 v150, 0xffffff91, v150
	v_cndmask_b32_e64 v40, v40, 0x6f, vcc_lo
	s_delay_alu instid0(VALU_DEP_4) | instskip(NEXT) | instid1(VALU_DEP_3)
	v_cndmask_b32_e32 v183, v41, v183, vcc_lo
	v_cndmask_b32_e64 v150, v150, 0xffffff92, vcc_lo
	s_delay_alu instid0(VALU_DEP_3) | instskip(NEXT) | instid1(VALU_DEP_3)
	v_lshl_add_u32 v41, 0x200000, v40, -1
	v_lshrrev_b32_e32 v42, v40, v183
	v_lshlrev_b32_e64 v44, v40, 0x100000
	s_delay_alu instid0(VALU_DEP_4) | instskip(NEXT) | instid1(VALU_DEP_4)
	v_add_nc_u32_e32 v40, v40, v150
	v_and_b32_e32 v183, v41, v183
	s_delay_alu instid0(VALU_DEP_4) | instskip(NEXT) | instid1(VALU_DEP_2)
	v_bfe_u32 v43, v42, 21, 1
	v_cmp_eq_u32_e64 s13, v183, v44
	s_delay_alu instid0(VALU_DEP_2) | instskip(NEXT) | instid1(VALU_DEP_1)
	v_add_nc_u32_e32 v41, -1, v43
	v_cndmask_b32_e64 v183, 0, v41, s13
	v_lshrrev_b32_e32 v41, 23, v42
	s_mov_b32 s13, exec_lo
	s_delay_alu instid0(VALU_DEP_2) | instskip(NEXT) | instid1(VALU_DEP_2)
	v_add_nc_u32_e32 v183, v183, v42
	v_xor_b32_e32 v41, 1, v41
	s_delay_alu instid0(VALU_DEP_2) | instskip(NEXT) | instid1(VALU_DEP_1)
	v_and_b32_e32 v150, 0x1fffff, v183
	v_add_nc_u32_e32 v183, v150, v42
                                        ; implicit-def: $vgpr150
	s_delay_alu instid0(VALU_DEP_3)
	v_cmpx_ne_u32_e64 v40, v41
	s_xor_b32 s13, exec_lo, s13
; %bb.7075:                             ;   in Loop: Header=BB4_6830 Depth=3
	s_delay_alu instid0(VALU_DEP_2) | instskip(SKIP_2) | instid1(VALU_DEP_2)
	v_cmp_lt_u32_e32 vcc_lo, 0xffffff, v183
	v_sub_nc_u32_e32 v150, v40, v41
	v_cndmask_b32_e64 v40, 0, 1, vcc_lo
	v_add_co_ci_u32_e32 v150, vcc_lo, 0, v150, vcc_lo
	s_delay_alu instid0(VALU_DEP_2)
	v_lshrrev_b32_e32 v183, v40, v183
; %bb.7076:                             ;   in Loop: Header=BB4_6830 Depth=3
	s_and_not1_saveexec_b32 s13, s13
; %bb.7077:                             ;   in Loop: Header=BB4_6830 Depth=3
	s_delay_alu instid0(VALU_DEP_1)
	v_bfe_u32 v150, v183, 23, 1
; %bb.7078:                             ;   in Loop: Header=BB4_6830 Depth=3
	s_or_b32 exec_lo, exec_lo, s13
	v_lshrrev_b32_e32 v183, 21, v183
	s_delay_alu instid0(VALU_DEP_2) | instskip(SKIP_2) | instid1(VALU_DEP_2)
	v_cmp_gt_i32_e32 vcc_lo, 32, v150
	v_lshrrev_b32_e32 v182, 24, v182
	v_min_i32_e32 v40, 31, v150
	v_dual_cndmask_b32 v183, 3, v183 :: v_dual_and_b32 v182, 0x80, v182
	s_delay_alu instid0(VALU_DEP_2) | instskip(NEXT) | instid1(VALU_DEP_2)
	v_lshlrev_b32_e32 v40, 2, v40
	v_or_b32_e32 v150, v150, v183
	s_delay_alu instid0(VALU_DEP_1) | instskip(SKIP_1) | instid1(VALU_DEP_1)
	v_cmp_ne_u32_e32 vcc_lo, 0, v150
	v_and_b32_e32 v41, 3, v183
	v_or3_b32 v182, v40, v182, v41
	s_delay_alu instid0(VALU_DEP_1)
	v_cndmask_b32_e32 v150, 0, v182, vcc_lo
.LBB4_7079:                             ;   in Loop: Header=BB4_6830 Depth=3
	s_or_b32 exec_lo, exec_lo, s30
.LBB4_7080:                             ;   in Loop: Header=BB4_6830 Depth=3
	s_delay_alu instid0(SALU_CYCLE_1) | instskip(SKIP_3) | instid1(VALU_DEP_1)
	s_or_b32 exec_lo, exec_lo, s17
	v_and_b32_e32 v183, 0xff, v163
	s_mov_b32 s13, 0
	s_mov_b32 s30, exec_lo
                                        ; implicit-def: $sgpr17
	v_cmpx_lt_i16_e64 0x7f, v183
	s_xor_b32 s30, exec_lo, s30
	s_cbranch_execnz .LBB4_7377
; %bb.7081:                             ;   in Loop: Header=BB4_6830 Depth=3
	s_or_saveexec_b32 s30, s30
	v_mov_b32_e32 v182, s17
	s_xor_b32 exec_lo, exec_lo, s30
	s_cbranch_execnz .LBB4_7380
.LBB4_7082:                             ;   in Loop: Header=BB4_6830 Depth=3
	s_or_b32 exec_lo, exec_lo, s30
	s_and_saveexec_b32 s17, s13
	s_cbranch_execz .LBB4_7084
.LBB4_7083:                             ;   in Loop: Header=BB4_6830 Depth=3
	v_and_b32_e32 v182, 3, v163
	v_lshrrev_b16 v41, 2, v163
	s_delay_alu instid0(VALU_DEP_2) | instskip(NEXT) | instid1(VALU_DEP_1)
	v_clz_i32_u32_e32 v183, v182
	v_min_u32_e32 v183, 32, v183
	s_delay_alu instid0(VALU_DEP_1) | instskip(SKIP_1) | instid1(VALU_DEP_2)
	v_subrev_nc_u32_e32 v40, 29, v183
	v_sub_nc_u32_e32 v183, 30, v183
	v_lshlrev_b32_e32 v40, v40, v163
	v_lshlrev_b32_e32 v163, 24, v163
	s_delay_alu instid0(VALU_DEP_2) | instskip(SKIP_1) | instid1(VALU_DEP_3)
	v_and_b32_e32 v40, 3, v40
	v_and_b32_e32 v41, 31, v41
	;; [unrolled: 1-line block ×3, first 2 shown]
	s_delay_alu instid0(VALU_DEP_2) | instskip(NEXT) | instid1(VALU_DEP_4)
	v_cmp_eq_u32_e32 vcc_lo, 0, v41
	v_dual_cndmask_b32 v182, v182, v40 :: v_dual_cndmask_b32 v183, v41, v183
	s_delay_alu instid0(VALU_DEP_1) | instskip(NEXT) | instid1(VALU_DEP_2)
	v_lshlrev_b32_e32 v182, 21, v182
	v_lshl_add_u32 v183, v183, 23, 0x37800000
	s_delay_alu instid0(VALU_DEP_1)
	v_or3_b32 v182, v163, v183, v182
.LBB4_7084:                             ;   in Loop: Header=BB4_6830 Depth=3
	s_or_b32 exec_lo, exec_lo, s17
	s_waitcnt vmcnt(12) lgkmcnt(12)
	v_and_b32_e32 v183, 0xff, v181
	s_mov_b32 s13, 0
	s_mov_b32 s30, exec_lo
                                        ; implicit-def: $sgpr17
	s_delay_alu instid0(VALU_DEP_1)
	v_cmpx_lt_i16_e64 0x7f, v183
	s_xor_b32 s30, exec_lo, s30
	s_cbranch_execnz .LBB4_7381
; %bb.7085:                             ;   in Loop: Header=BB4_6830 Depth=3
	s_or_saveexec_b32 s30, s30
	v_mov_b32_e32 v163, s17
	s_xor_b32 exec_lo, exec_lo, s30
	s_cbranch_execnz .LBB4_7384
.LBB4_7086:                             ;   in Loop: Header=BB4_6830 Depth=3
	s_or_b32 exec_lo, exec_lo, s30
	s_and_saveexec_b32 s17, s13
	s_cbranch_execz .LBB4_7088
.LBB4_7087:                             ;   in Loop: Header=BB4_6830 Depth=3
	v_and_b32_e32 v163, 3, v181
	v_lshrrev_b16 v41, 2, v181
	s_delay_alu instid0(VALU_DEP_2) | instskip(NEXT) | instid1(VALU_DEP_2)
	v_clz_i32_u32_e32 v183, v163
	v_and_b32_e32 v41, 31, v41
	s_delay_alu instid0(VALU_DEP_2) | instskip(NEXT) | instid1(VALU_DEP_2)
	v_min_u32_e32 v183, 32, v183
	v_cmp_eq_u32_e32 vcc_lo, 0, v41
	s_delay_alu instid0(VALU_DEP_2) | instskip(SKIP_1) | instid1(VALU_DEP_1)
	v_subrev_nc_u32_e32 v40, 29, v183
	v_sub_nc_u32_e32 v183, 30, v183
	v_dual_cndmask_b32 v183, v41, v183 :: v_dual_lshlrev_b32 v40, v40, v181
	v_lshlrev_b32_e32 v181, 24, v181
	s_delay_alu instid0(VALU_DEP_2) | instskip(NEXT) | instid1(VALU_DEP_3)
	v_and_b32_e32 v40, 3, v40
	v_lshl_add_u32 v183, v183, 23, 0x37800000
	s_delay_alu instid0(VALU_DEP_3) | instskip(NEXT) | instid1(VALU_DEP_3)
	v_and_b32_e32 v181, 0x80000000, v181
	v_cndmask_b32_e32 v163, v163, v40, vcc_lo
	s_delay_alu instid0(VALU_DEP_1) | instskip(NEXT) | instid1(VALU_DEP_1)
	v_lshlrev_b32_e32 v163, 21, v163
	v_or3_b32 v163, v181, v183, v163
.LBB4_7088:                             ;   in Loop: Header=BB4_6830 Depth=3
	s_or_b32 exec_lo, exec_lo, s17
	s_delay_alu instid0(VALU_DEP_1) | instskip(NEXT) | instid1(VALU_DEP_1)
	v_add_f32_e32 v181, v182, v163
	v_and_b32_e32 v163, 0x7f800000, v181
	s_delay_alu instid0(VALU_DEP_1)
	v_cmp_ne_u32_e32 vcc_lo, 0x7f800000, v163
	v_mov_b32_e32 v163, 0x80
	s_and_saveexec_b32 s17, vcc_lo
	s_cbranch_execz .LBB4_7096
; %bb.7089:                             ;   in Loop: Header=BB4_6830 Depth=3
	v_mov_b32_e32 v163, 0
	s_mov_b32 s30, exec_lo
	v_cmpx_ne_u32_e32 0, v181
	s_cbranch_execz .LBB4_7095
; %bb.7090:                             ;   in Loop: Header=BB4_6830 Depth=3
	v_bfe_u32 v163, v181, 23, 8
	s_delay_alu instid0(VALU_DEP_1) | instskip(SKIP_1) | instid1(VALU_DEP_2)
	v_sub_nc_u32_e32 v183, 0x70, v163
	v_cmp_gt_u32_e32 vcc_lo, 0x71, v163
	v_dual_cndmask_b32 v183, 0, v183 :: v_dual_and_b32 v182, 0x7fffff, v181
	s_delay_alu instid0(VALU_DEP_1) | instskip(SKIP_2) | instid1(VALU_DEP_4)
	v_or_b32_e32 v40, 0x800000, v182
	v_cmp_eq_u32_e32 vcc_lo, 0, v163
	v_add_nc_u32_e32 v163, 0xffffff91, v163
	v_cndmask_b32_e64 v183, v183, 0x6f, vcc_lo
	s_delay_alu instid0(VALU_DEP_4) | instskip(NEXT) | instid1(VALU_DEP_3)
	v_cndmask_b32_e32 v182, v40, v182, vcc_lo
	v_cndmask_b32_e64 v163, v163, 0xffffff92, vcc_lo
	s_delay_alu instid0(VALU_DEP_3) | instskip(NEXT) | instid1(VALU_DEP_3)
	v_lshl_add_u32 v40, 0x200000, v183, -1
	v_lshrrev_b32_e32 v41, v183, v182
	v_lshlrev_b32_e64 v43, v183, 0x100000
	s_delay_alu instid0(VALU_DEP_4) | instskip(NEXT) | instid1(VALU_DEP_4)
	v_add_nc_u32_e32 v183, v183, v163
	v_and_b32_e32 v182, v40, v182
	s_delay_alu instid0(VALU_DEP_4) | instskip(NEXT) | instid1(VALU_DEP_2)
	v_bfe_u32 v42, v41, 21, 1
	v_cmp_eq_u32_e64 s13, v182, v43
	s_delay_alu instid0(VALU_DEP_2) | instskip(NEXT) | instid1(VALU_DEP_1)
	v_add_nc_u32_e32 v40, -1, v42
	v_cndmask_b32_e64 v182, 0, v40, s13
	v_lshrrev_b32_e32 v40, 23, v41
	s_mov_b32 s13, exec_lo
	s_delay_alu instid0(VALU_DEP_2) | instskip(NEXT) | instid1(VALU_DEP_2)
	v_add_nc_u32_e32 v182, v182, v41
	v_xor_b32_e32 v40, 1, v40
	s_delay_alu instid0(VALU_DEP_2) | instskip(NEXT) | instid1(VALU_DEP_1)
	v_and_b32_e32 v163, 0x1fffff, v182
	v_add_nc_u32_e32 v182, v163, v41
                                        ; implicit-def: $vgpr163
	s_delay_alu instid0(VALU_DEP_3)
	v_cmpx_ne_u32_e64 v183, v40
	s_xor_b32 s13, exec_lo, s13
; %bb.7091:                             ;   in Loop: Header=BB4_6830 Depth=3
	s_delay_alu instid0(VALU_DEP_2) | instskip(SKIP_2) | instid1(VALU_DEP_2)
	v_cmp_lt_u32_e32 vcc_lo, 0xffffff, v182
	v_sub_nc_u32_e32 v163, v183, v40
	v_cndmask_b32_e64 v183, 0, 1, vcc_lo
	v_add_co_ci_u32_e32 v163, vcc_lo, 0, v163, vcc_lo
	s_delay_alu instid0(VALU_DEP_2)
	v_lshrrev_b32_e32 v182, v183, v182
; %bb.7092:                             ;   in Loop: Header=BB4_6830 Depth=3
	s_and_not1_saveexec_b32 s13, s13
; %bb.7093:                             ;   in Loop: Header=BB4_6830 Depth=3
	s_delay_alu instid0(VALU_DEP_1)
	v_bfe_u32 v163, v182, 23, 1
; %bb.7094:                             ;   in Loop: Header=BB4_6830 Depth=3
	s_or_b32 exec_lo, exec_lo, s13
	v_lshrrev_b32_e32 v182, 21, v182
	s_delay_alu instid0(VALU_DEP_2) | instskip(SKIP_2) | instid1(VALU_DEP_2)
	v_cmp_gt_i32_e32 vcc_lo, 32, v163
	v_lshrrev_b32_e32 v181, 24, v181
	v_min_i32_e32 v183, 31, v163
	v_dual_cndmask_b32 v182, 3, v182 :: v_dual_and_b32 v181, 0x80, v181
	s_delay_alu instid0(VALU_DEP_2) | instskip(NEXT) | instid1(VALU_DEP_2)
	v_lshlrev_b32_e32 v183, 2, v183
	v_or_b32_e32 v163, v163, v182
	s_delay_alu instid0(VALU_DEP_1) | instskip(SKIP_1) | instid1(VALU_DEP_1)
	v_cmp_ne_u32_e32 vcc_lo, 0, v163
	v_and_b32_e32 v40, 3, v182
	v_or3_b32 v181, v183, v181, v40
	s_delay_alu instid0(VALU_DEP_1)
	v_cndmask_b32_e32 v163, 0, v181, vcc_lo
.LBB4_7095:                             ;   in Loop: Header=BB4_6830 Depth=3
	s_or_b32 exec_lo, exec_lo, s30
.LBB4_7096:                             ;   in Loop: Header=BB4_6830 Depth=3
	s_delay_alu instid0(SALU_CYCLE_1) | instskip(SKIP_3) | instid1(VALU_DEP_1)
	s_or_b32 exec_lo, exec_lo, s17
	v_and_b32_e32 v182, 0xff, v164
	s_mov_b32 s13, 0
	s_mov_b32 s30, exec_lo
                                        ; implicit-def: $sgpr17
	v_cmpx_lt_i16_e64 0x7f, v182
	s_xor_b32 s30, exec_lo, s30
	s_cbranch_execnz .LBB4_7385
; %bb.7097:                             ;   in Loop: Header=BB4_6830 Depth=3
	s_or_saveexec_b32 s30, s30
	v_mov_b32_e32 v181, s17
	s_xor_b32 exec_lo, exec_lo, s30
	s_cbranch_execnz .LBB4_7388
.LBB4_7098:                             ;   in Loop: Header=BB4_6830 Depth=3
	s_or_b32 exec_lo, exec_lo, s30
	s_and_saveexec_b32 s17, s13
	s_cbranch_execz .LBB4_7100
.LBB4_7099:                             ;   in Loop: Header=BB4_6830 Depth=3
	v_lshrrev_b16 v40, 2, v164
	s_delay_alu instid0(VALU_DEP_1) | instskip(NEXT) | instid1(VALU_DEP_1)
	v_and_b32_e32 v40, 31, v40
	v_cmp_eq_u32_e32 vcc_lo, 0, v40
	v_and_b32_e32 v181, 3, v164
	s_delay_alu instid0(VALU_DEP_1) | instskip(NEXT) | instid1(VALU_DEP_1)
	v_clz_i32_u32_e32 v182, v181
	v_min_u32_e32 v182, 32, v182
	s_delay_alu instid0(VALU_DEP_1) | instskip(SKIP_1) | instid1(VALU_DEP_1)
	v_subrev_nc_u32_e32 v183, 29, v182
	v_sub_nc_u32_e32 v182, 30, v182
	v_dual_cndmask_b32 v182, v40, v182 :: v_dual_lshlrev_b32 v183, v183, v164
	v_lshlrev_b32_e32 v164, 24, v164
	s_delay_alu instid0(VALU_DEP_2) | instskip(NEXT) | instid1(VALU_DEP_3)
	v_and_b32_e32 v183, 3, v183
	v_lshl_add_u32 v182, v182, 23, 0x37800000
	s_delay_alu instid0(VALU_DEP_2) | instskip(NEXT) | instid1(VALU_DEP_1)
	v_dual_cndmask_b32 v181, v181, v183 :: v_dual_and_b32 v164, 0x80000000, v164
	v_lshlrev_b32_e32 v181, 21, v181
	s_delay_alu instid0(VALU_DEP_1)
	v_or3_b32 v181, v164, v182, v181
.LBB4_7100:                             ;   in Loop: Header=BB4_6830 Depth=3
	s_or_b32 exec_lo, exec_lo, s17
	s_waitcnt vmcnt(11) lgkmcnt(11)
	v_and_b32_e32 v182, 0xff, v180
	s_mov_b32 s13, 0
	s_mov_b32 s30, exec_lo
                                        ; implicit-def: $sgpr17
	s_delay_alu instid0(VALU_DEP_1)
	v_cmpx_lt_i16_e64 0x7f, v182
	s_xor_b32 s30, exec_lo, s30
	s_cbranch_execnz .LBB4_7389
; %bb.7101:                             ;   in Loop: Header=BB4_6830 Depth=3
	s_or_saveexec_b32 s30, s30
	v_mov_b32_e32 v164, s17
	s_xor_b32 exec_lo, exec_lo, s30
	s_cbranch_execnz .LBB4_7392
.LBB4_7102:                             ;   in Loop: Header=BB4_6830 Depth=3
	s_or_b32 exec_lo, exec_lo, s30
	s_and_saveexec_b32 s17, s13
	s_cbranch_execz .LBB4_7104
.LBB4_7103:                             ;   in Loop: Header=BB4_6830 Depth=3
	v_and_b32_e32 v164, 3, v180
	v_lshrrev_b16 v40, 2, v180
	s_delay_alu instid0(VALU_DEP_2) | instskip(NEXT) | instid1(VALU_DEP_2)
	v_clz_i32_u32_e32 v182, v164
	v_and_b32_e32 v40, 31, v40
	s_delay_alu instid0(VALU_DEP_2) | instskip(NEXT) | instid1(VALU_DEP_2)
	v_min_u32_e32 v182, 32, v182
	v_cmp_eq_u32_e32 vcc_lo, 0, v40
	s_delay_alu instid0(VALU_DEP_2) | instskip(SKIP_1) | instid1(VALU_DEP_1)
	v_subrev_nc_u32_e32 v183, 29, v182
	v_sub_nc_u32_e32 v182, 30, v182
	v_dual_cndmask_b32 v182, v40, v182 :: v_dual_lshlrev_b32 v183, v183, v180
	v_lshlrev_b32_e32 v180, 24, v180
	s_delay_alu instid0(VALU_DEP_2) | instskip(NEXT) | instid1(VALU_DEP_3)
	v_and_b32_e32 v183, 3, v183
	v_lshl_add_u32 v182, v182, 23, 0x37800000
	s_delay_alu instid0(VALU_DEP_3) | instskip(NEXT) | instid1(VALU_DEP_3)
	v_and_b32_e32 v180, 0x80000000, v180
	v_cndmask_b32_e32 v164, v164, v183, vcc_lo
	s_delay_alu instid0(VALU_DEP_1) | instskip(NEXT) | instid1(VALU_DEP_1)
	v_lshlrev_b32_e32 v164, 21, v164
	v_or3_b32 v164, v180, v182, v164
.LBB4_7104:                             ;   in Loop: Header=BB4_6830 Depth=3
	s_or_b32 exec_lo, exec_lo, s17
	s_delay_alu instid0(VALU_DEP_1) | instskip(NEXT) | instid1(VALU_DEP_1)
	v_add_f32_e32 v180, v181, v164
	v_and_b32_e32 v164, 0x7f800000, v180
	s_delay_alu instid0(VALU_DEP_1)
	v_cmp_ne_u32_e32 vcc_lo, 0x7f800000, v164
	v_mov_b32_e32 v164, 0x80
	s_and_saveexec_b32 s17, vcc_lo
	s_cbranch_execz .LBB4_7112
; %bb.7105:                             ;   in Loop: Header=BB4_6830 Depth=3
	v_mov_b32_e32 v164, 0
	s_mov_b32 s30, exec_lo
	v_cmpx_ne_u32_e32 0, v180
	s_cbranch_execz .LBB4_7111
; %bb.7106:                             ;   in Loop: Header=BB4_6830 Depth=3
	v_bfe_u32 v164, v180, 23, 8
	s_delay_alu instid0(VALU_DEP_1) | instskip(SKIP_1) | instid1(VALU_DEP_2)
	v_sub_nc_u32_e32 v182, 0x70, v164
	v_cmp_gt_u32_e32 vcc_lo, 0x71, v164
	v_dual_cndmask_b32 v182, 0, v182 :: v_dual_and_b32 v181, 0x7fffff, v180
	s_delay_alu instid0(VALU_DEP_1) | instskip(SKIP_2) | instid1(VALU_DEP_4)
	v_or_b32_e32 v183, 0x800000, v181
	v_cmp_eq_u32_e32 vcc_lo, 0, v164
	v_add_nc_u32_e32 v164, 0xffffff91, v164
	v_cndmask_b32_e64 v182, v182, 0x6f, vcc_lo
	s_delay_alu instid0(VALU_DEP_4) | instskip(NEXT) | instid1(VALU_DEP_3)
	v_cndmask_b32_e32 v181, v183, v181, vcc_lo
	v_cndmask_b32_e64 v164, v164, 0xffffff92, vcc_lo
	s_delay_alu instid0(VALU_DEP_3) | instskip(NEXT) | instid1(VALU_DEP_3)
	v_lshl_add_u32 v183, 0x200000, v182, -1
	v_lshrrev_b32_e32 v40, v182, v181
	v_lshlrev_b32_e64 v42, v182, 0x100000
	s_delay_alu instid0(VALU_DEP_4) | instskip(NEXT) | instid1(VALU_DEP_4)
	v_add_nc_u32_e32 v182, v182, v164
	v_and_b32_e32 v181, v183, v181
	s_delay_alu instid0(VALU_DEP_4) | instskip(NEXT) | instid1(VALU_DEP_2)
	v_bfe_u32 v41, v40, 21, 1
	v_cmp_eq_u32_e64 s13, v181, v42
	s_delay_alu instid0(VALU_DEP_2) | instskip(NEXT) | instid1(VALU_DEP_1)
	v_add_nc_u32_e32 v183, -1, v41
	v_cndmask_b32_e64 v181, 0, v183, s13
	v_lshrrev_b32_e32 v183, 23, v40
	s_mov_b32 s13, exec_lo
	s_delay_alu instid0(VALU_DEP_2) | instskip(NEXT) | instid1(VALU_DEP_2)
	v_add_nc_u32_e32 v181, v181, v40
	v_xor_b32_e32 v183, 1, v183
	s_delay_alu instid0(VALU_DEP_2) | instskip(NEXT) | instid1(VALU_DEP_1)
	v_and_b32_e32 v164, 0x1fffff, v181
	v_add_nc_u32_e32 v181, v164, v40
                                        ; implicit-def: $vgpr164
	s_delay_alu instid0(VALU_DEP_3)
	v_cmpx_ne_u32_e64 v182, v183
	s_xor_b32 s13, exec_lo, s13
; %bb.7107:                             ;   in Loop: Header=BB4_6830 Depth=3
	s_delay_alu instid0(VALU_DEP_2) | instskip(SKIP_2) | instid1(VALU_DEP_2)
	v_cmp_lt_u32_e32 vcc_lo, 0xffffff, v181
	v_sub_nc_u32_e32 v164, v182, v183
	v_cndmask_b32_e64 v182, 0, 1, vcc_lo
	v_add_co_ci_u32_e32 v164, vcc_lo, 0, v164, vcc_lo
	s_delay_alu instid0(VALU_DEP_2)
	v_lshrrev_b32_e32 v181, v182, v181
; %bb.7108:                             ;   in Loop: Header=BB4_6830 Depth=3
	s_and_not1_saveexec_b32 s13, s13
; %bb.7109:                             ;   in Loop: Header=BB4_6830 Depth=3
	s_delay_alu instid0(VALU_DEP_1)
	v_bfe_u32 v164, v181, 23, 1
; %bb.7110:                             ;   in Loop: Header=BB4_6830 Depth=3
	s_or_b32 exec_lo, exec_lo, s13
	v_lshrrev_b32_e32 v181, 21, v181
	s_delay_alu instid0(VALU_DEP_2) | instskip(SKIP_2) | instid1(VALU_DEP_2)
	v_cmp_gt_i32_e32 vcc_lo, 32, v164
	v_lshrrev_b32_e32 v180, 24, v180
	v_min_i32_e32 v182, 31, v164
	v_dual_cndmask_b32 v181, 3, v181 :: v_dual_and_b32 v180, 0x80, v180
	s_delay_alu instid0(VALU_DEP_2) | instskip(NEXT) | instid1(VALU_DEP_2)
	v_lshlrev_b32_e32 v182, 2, v182
	v_or_b32_e32 v164, v164, v181
	s_delay_alu instid0(VALU_DEP_1) | instskip(SKIP_1) | instid1(VALU_DEP_1)
	v_cmp_ne_u32_e32 vcc_lo, 0, v164
	v_and_b32_e32 v183, 3, v181
	v_or3_b32 v180, v182, v180, v183
	s_delay_alu instid0(VALU_DEP_1)
	v_cndmask_b32_e32 v164, 0, v180, vcc_lo
.LBB4_7111:                             ;   in Loop: Header=BB4_6830 Depth=3
	s_or_b32 exec_lo, exec_lo, s30
.LBB4_7112:                             ;   in Loop: Header=BB4_6830 Depth=3
	s_delay_alu instid0(SALU_CYCLE_1) | instskip(SKIP_3) | instid1(VALU_DEP_1)
	s_or_b32 exec_lo, exec_lo, s17
	v_and_b32_e32 v181, 0xff, v162
	s_mov_b32 s13, 0
	s_mov_b32 s30, exec_lo
                                        ; implicit-def: $sgpr17
	v_cmpx_lt_i16_e64 0x7f, v181
	s_xor_b32 s30, exec_lo, s30
	s_cbranch_execnz .LBB4_7393
; %bb.7113:                             ;   in Loop: Header=BB4_6830 Depth=3
	s_or_saveexec_b32 s30, s30
	v_mov_b32_e32 v180, s17
	s_xor_b32 exec_lo, exec_lo, s30
	s_cbranch_execnz .LBB4_7396
.LBB4_7114:                             ;   in Loop: Header=BB4_6830 Depth=3
	s_or_b32 exec_lo, exec_lo, s30
	s_and_saveexec_b32 s17, s13
	s_cbranch_execz .LBB4_7116
.LBB4_7115:                             ;   in Loop: Header=BB4_6830 Depth=3
	v_lshrrev_b16 v183, 2, v162
	s_delay_alu instid0(VALU_DEP_1) | instskip(NEXT) | instid1(VALU_DEP_1)
	v_and_b32_e32 v183, 31, v183
	v_cmp_eq_u32_e32 vcc_lo, 0, v183
	v_and_b32_e32 v180, 3, v162
	s_delay_alu instid0(VALU_DEP_1) | instskip(NEXT) | instid1(VALU_DEP_1)
	v_clz_i32_u32_e32 v181, v180
	v_min_u32_e32 v181, 32, v181
	s_delay_alu instid0(VALU_DEP_1) | instskip(SKIP_1) | instid1(VALU_DEP_1)
	v_subrev_nc_u32_e32 v182, 29, v181
	v_sub_nc_u32_e32 v181, 30, v181
	v_dual_cndmask_b32 v181, v183, v181 :: v_dual_lshlrev_b32 v182, v182, v162
	v_lshlrev_b32_e32 v162, 24, v162
	s_delay_alu instid0(VALU_DEP_2) | instskip(NEXT) | instid1(VALU_DEP_3)
	v_and_b32_e32 v182, 3, v182
	v_lshl_add_u32 v181, v181, 23, 0x37800000
	s_delay_alu instid0(VALU_DEP_3) | instskip(NEXT) | instid1(VALU_DEP_3)
	v_and_b32_e32 v162, 0x80000000, v162
	v_cndmask_b32_e32 v180, v180, v182, vcc_lo
	s_delay_alu instid0(VALU_DEP_1) | instskip(NEXT) | instid1(VALU_DEP_1)
	v_lshlrev_b32_e32 v180, 21, v180
	v_or3_b32 v180, v162, v181, v180
.LBB4_7116:                             ;   in Loop: Header=BB4_6830 Depth=3
	s_or_b32 exec_lo, exec_lo, s17
	s_waitcnt vmcnt(10) lgkmcnt(10)
	v_and_b32_e32 v181, 0xff, v179
	s_mov_b32 s13, 0
	s_mov_b32 s30, exec_lo
                                        ; implicit-def: $sgpr17
	s_delay_alu instid0(VALU_DEP_1)
	v_cmpx_lt_i16_e64 0x7f, v181
	s_xor_b32 s30, exec_lo, s30
	s_cbranch_execnz .LBB4_7397
; %bb.7117:                             ;   in Loop: Header=BB4_6830 Depth=3
	s_or_saveexec_b32 s30, s30
	v_mov_b32_e32 v162, s17
	s_xor_b32 exec_lo, exec_lo, s30
	s_cbranch_execnz .LBB4_7400
.LBB4_7118:                             ;   in Loop: Header=BB4_6830 Depth=3
	s_or_b32 exec_lo, exec_lo, s30
	s_and_saveexec_b32 s17, s13
	s_cbranch_execz .LBB4_7120
.LBB4_7119:                             ;   in Loop: Header=BB4_6830 Depth=3
	v_lshrrev_b16 v183, 2, v179
	s_delay_alu instid0(VALU_DEP_1) | instskip(NEXT) | instid1(VALU_DEP_1)
	v_and_b32_e32 v183, 31, v183
	v_cmp_eq_u32_e32 vcc_lo, 0, v183
	v_and_b32_e32 v162, 3, v179
	s_delay_alu instid0(VALU_DEP_1) | instskip(NEXT) | instid1(VALU_DEP_1)
	v_clz_i32_u32_e32 v181, v162
	v_min_u32_e32 v181, 32, v181
	s_delay_alu instid0(VALU_DEP_1) | instskip(SKIP_1) | instid1(VALU_DEP_1)
	v_subrev_nc_u32_e32 v182, 29, v181
	v_sub_nc_u32_e32 v181, 30, v181
	v_dual_cndmask_b32 v181, v183, v181 :: v_dual_lshlrev_b32 v182, v182, v179
	v_lshlrev_b32_e32 v179, 24, v179
	s_delay_alu instid0(VALU_DEP_2) | instskip(NEXT) | instid1(VALU_DEP_3)
	v_and_b32_e32 v182, 3, v182
	v_lshl_add_u32 v181, v181, 23, 0x37800000
	s_delay_alu instid0(VALU_DEP_2) | instskip(NEXT) | instid1(VALU_DEP_1)
	v_dual_cndmask_b32 v162, v162, v182 :: v_dual_and_b32 v179, 0x80000000, v179
	v_lshlrev_b32_e32 v162, 21, v162
	s_delay_alu instid0(VALU_DEP_1)
	v_or3_b32 v162, v179, v181, v162
.LBB4_7120:                             ;   in Loop: Header=BB4_6830 Depth=3
	s_or_b32 exec_lo, exec_lo, s17
	s_delay_alu instid0(VALU_DEP_1) | instskip(NEXT) | instid1(VALU_DEP_1)
	v_add_f32_e32 v179, v180, v162
	v_and_b32_e32 v162, 0x7f800000, v179
	s_delay_alu instid0(VALU_DEP_1)
	v_cmp_ne_u32_e32 vcc_lo, 0x7f800000, v162
	v_mov_b32_e32 v162, 0x80
	s_and_saveexec_b32 s17, vcc_lo
	s_cbranch_execz .LBB4_7128
; %bb.7121:                             ;   in Loop: Header=BB4_6830 Depth=3
	v_mov_b32_e32 v162, 0
	s_mov_b32 s30, exec_lo
	v_cmpx_ne_u32_e32 0, v179
	s_cbranch_execz .LBB4_7127
; %bb.7122:                             ;   in Loop: Header=BB4_6830 Depth=3
	v_bfe_u32 v162, v179, 23, 8
	s_delay_alu instid0(VALU_DEP_1) | instskip(SKIP_1) | instid1(VALU_DEP_2)
	v_sub_nc_u32_e32 v181, 0x70, v162
	v_cmp_gt_u32_e32 vcc_lo, 0x71, v162
	v_dual_cndmask_b32 v181, 0, v181 :: v_dual_and_b32 v180, 0x7fffff, v179
	s_delay_alu instid0(VALU_DEP_1) | instskip(SKIP_2) | instid1(VALU_DEP_4)
	v_or_b32_e32 v182, 0x800000, v180
	v_cmp_eq_u32_e32 vcc_lo, 0, v162
	v_add_nc_u32_e32 v162, 0xffffff91, v162
	v_cndmask_b32_e64 v181, v181, 0x6f, vcc_lo
	s_delay_alu instid0(VALU_DEP_2) | instskip(SKIP_1) | instid1(VALU_DEP_3)
	v_cndmask_b32_e64 v162, v162, 0xffffff92, vcc_lo
	v_cndmask_b32_e32 v180, v182, v180, vcc_lo
	v_lshl_add_u32 v182, 0x200000, v181, -1
	v_lshlrev_b32_e64 v41, v181, 0x100000
	s_delay_alu instid0(VALU_DEP_3) | instskip(SKIP_1) | instid1(VALU_DEP_4)
	v_lshrrev_b32_e32 v183, v181, v180
	v_add_nc_u32_e32 v181, v181, v162
	v_and_b32_e32 v180, v182, v180
	s_delay_alu instid0(VALU_DEP_3) | instskip(NEXT) | instid1(VALU_DEP_2)
	v_bfe_u32 v40, v183, 21, 1
	v_cmp_eq_u32_e64 s13, v180, v41
	s_delay_alu instid0(VALU_DEP_2) | instskip(NEXT) | instid1(VALU_DEP_1)
	v_add_nc_u32_e32 v182, -1, v40
	v_cndmask_b32_e64 v180, 0, v182, s13
	v_lshrrev_b32_e32 v182, 23, v183
	s_mov_b32 s13, exec_lo
	s_delay_alu instid0(VALU_DEP_2) | instskip(NEXT) | instid1(VALU_DEP_2)
	v_add_nc_u32_e32 v180, v180, v183
	v_xor_b32_e32 v182, 1, v182
	s_delay_alu instid0(VALU_DEP_2) | instskip(NEXT) | instid1(VALU_DEP_1)
	v_and_b32_e32 v162, 0x1fffff, v180
	v_add_nc_u32_e32 v180, v162, v183
                                        ; implicit-def: $vgpr162
	s_delay_alu instid0(VALU_DEP_3)
	v_cmpx_ne_u32_e64 v181, v182
	s_xor_b32 s13, exec_lo, s13
; %bb.7123:                             ;   in Loop: Header=BB4_6830 Depth=3
	s_delay_alu instid0(VALU_DEP_2) | instskip(SKIP_2) | instid1(VALU_DEP_2)
	v_cmp_lt_u32_e32 vcc_lo, 0xffffff, v180
	v_sub_nc_u32_e32 v162, v181, v182
	v_cndmask_b32_e64 v181, 0, 1, vcc_lo
	v_add_co_ci_u32_e32 v162, vcc_lo, 0, v162, vcc_lo
	s_delay_alu instid0(VALU_DEP_2)
	v_lshrrev_b32_e32 v180, v181, v180
; %bb.7124:                             ;   in Loop: Header=BB4_6830 Depth=3
	s_and_not1_saveexec_b32 s13, s13
; %bb.7125:                             ;   in Loop: Header=BB4_6830 Depth=3
	s_delay_alu instid0(VALU_DEP_1)
	v_bfe_u32 v162, v180, 23, 1
; %bb.7126:                             ;   in Loop: Header=BB4_6830 Depth=3
	s_or_b32 exec_lo, exec_lo, s13
	v_lshrrev_b32_e32 v180, 21, v180
	s_delay_alu instid0(VALU_DEP_2) | instskip(SKIP_2) | instid1(VALU_DEP_2)
	v_cmp_gt_i32_e32 vcc_lo, 32, v162
	v_lshrrev_b32_e32 v179, 24, v179
	v_min_i32_e32 v181, 31, v162
	v_dual_cndmask_b32 v180, 3, v180 :: v_dual_and_b32 v179, 0x80, v179
	s_delay_alu instid0(VALU_DEP_1) | instskip(SKIP_1) | instid1(VALU_DEP_2)
	v_or_b32_e32 v162, v162, v180
	v_and_b32_e32 v182, 3, v180
	v_cmp_ne_u32_e32 vcc_lo, 0, v162
	v_lshlrev_b32_e32 v181, 2, v181
	s_delay_alu instid0(VALU_DEP_1) | instskip(NEXT) | instid1(VALU_DEP_1)
	v_or3_b32 v179, v181, v179, v182
	v_cndmask_b32_e32 v162, 0, v179, vcc_lo
.LBB4_7127:                             ;   in Loop: Header=BB4_6830 Depth=3
	s_or_b32 exec_lo, exec_lo, s30
.LBB4_7128:                             ;   in Loop: Header=BB4_6830 Depth=3
	s_delay_alu instid0(SALU_CYCLE_1) | instskip(SKIP_3) | instid1(VALU_DEP_1)
	s_or_b32 exec_lo, exec_lo, s17
	v_and_b32_e32 v180, 0xff, v161
	s_mov_b32 s13, 0
	s_mov_b32 s30, exec_lo
                                        ; implicit-def: $sgpr17
	v_cmpx_lt_i16_e64 0x7f, v180
	s_xor_b32 s30, exec_lo, s30
	s_cbranch_execnz .LBB4_7401
; %bb.7129:                             ;   in Loop: Header=BB4_6830 Depth=3
	s_or_saveexec_b32 s30, s30
	v_mov_b32_e32 v179, s17
	s_xor_b32 exec_lo, exec_lo, s30
	s_cbranch_execnz .LBB4_7404
.LBB4_7130:                             ;   in Loop: Header=BB4_6830 Depth=3
	s_or_b32 exec_lo, exec_lo, s30
	s_and_saveexec_b32 s17, s13
	s_cbranch_execz .LBB4_7132
.LBB4_7131:                             ;   in Loop: Header=BB4_6830 Depth=3
	v_lshrrev_b16 v182, 2, v161
	s_delay_alu instid0(VALU_DEP_1) | instskip(NEXT) | instid1(VALU_DEP_1)
	v_and_b32_e32 v182, 31, v182
	v_cmp_eq_u32_e32 vcc_lo, 0, v182
	v_and_b32_e32 v179, 3, v161
	s_delay_alu instid0(VALU_DEP_1) | instskip(NEXT) | instid1(VALU_DEP_1)
	v_clz_i32_u32_e32 v180, v179
	v_min_u32_e32 v180, 32, v180
	s_delay_alu instid0(VALU_DEP_1) | instskip(SKIP_1) | instid1(VALU_DEP_1)
	v_subrev_nc_u32_e32 v181, 29, v180
	v_sub_nc_u32_e32 v180, 30, v180
	v_dual_cndmask_b32 v180, v182, v180 :: v_dual_lshlrev_b32 v181, v181, v161
	v_lshlrev_b32_e32 v161, 24, v161
	s_delay_alu instid0(VALU_DEP_2) | instskip(NEXT) | instid1(VALU_DEP_3)
	v_and_b32_e32 v181, 3, v181
	v_lshl_add_u32 v180, v180, 23, 0x37800000
	s_delay_alu instid0(VALU_DEP_3) | instskip(NEXT) | instid1(VALU_DEP_3)
	v_and_b32_e32 v161, 0x80000000, v161
	v_cndmask_b32_e32 v179, v179, v181, vcc_lo
	s_delay_alu instid0(VALU_DEP_1) | instskip(NEXT) | instid1(VALU_DEP_1)
	v_lshlrev_b32_e32 v179, 21, v179
	v_or3_b32 v179, v161, v180, v179
.LBB4_7132:                             ;   in Loop: Header=BB4_6830 Depth=3
	s_or_b32 exec_lo, exec_lo, s17
	s_waitcnt vmcnt(9) lgkmcnt(9)
	v_and_b32_e32 v180, 0xff, v178
	s_mov_b32 s13, 0
	s_mov_b32 s30, exec_lo
                                        ; implicit-def: $sgpr17
	s_delay_alu instid0(VALU_DEP_1)
	v_cmpx_lt_i16_e64 0x7f, v180
	s_xor_b32 s30, exec_lo, s30
	s_cbranch_execnz .LBB4_7405
; %bb.7133:                             ;   in Loop: Header=BB4_6830 Depth=3
	s_or_saveexec_b32 s30, s30
	v_mov_b32_e32 v161, s17
	s_xor_b32 exec_lo, exec_lo, s30
	s_cbranch_execnz .LBB4_7408
.LBB4_7134:                             ;   in Loop: Header=BB4_6830 Depth=3
	s_or_b32 exec_lo, exec_lo, s30
	s_and_saveexec_b32 s17, s13
	s_cbranch_execz .LBB4_7136
.LBB4_7135:                             ;   in Loop: Header=BB4_6830 Depth=3
	v_lshrrev_b16 v182, 2, v178
	s_delay_alu instid0(VALU_DEP_1) | instskip(NEXT) | instid1(VALU_DEP_1)
	v_and_b32_e32 v182, 31, v182
	v_cmp_eq_u32_e32 vcc_lo, 0, v182
	v_and_b32_e32 v161, 3, v178
	s_delay_alu instid0(VALU_DEP_1) | instskip(NEXT) | instid1(VALU_DEP_1)
	v_clz_i32_u32_e32 v180, v161
	v_min_u32_e32 v180, 32, v180
	s_delay_alu instid0(VALU_DEP_1) | instskip(SKIP_1) | instid1(VALU_DEP_1)
	v_subrev_nc_u32_e32 v181, 29, v180
	v_sub_nc_u32_e32 v180, 30, v180
	v_dual_cndmask_b32 v180, v182, v180 :: v_dual_lshlrev_b32 v181, v181, v178
	v_lshlrev_b32_e32 v178, 24, v178
	s_delay_alu instid0(VALU_DEP_2) | instskip(NEXT) | instid1(VALU_DEP_3)
	v_and_b32_e32 v181, 3, v181
	v_lshl_add_u32 v180, v180, 23, 0x37800000
	s_delay_alu instid0(VALU_DEP_2) | instskip(NEXT) | instid1(VALU_DEP_1)
	v_dual_cndmask_b32 v161, v161, v181 :: v_dual_and_b32 v178, 0x80000000, v178
	v_lshlrev_b32_e32 v161, 21, v161
	s_delay_alu instid0(VALU_DEP_1)
	v_or3_b32 v161, v178, v180, v161
.LBB4_7136:                             ;   in Loop: Header=BB4_6830 Depth=3
	s_or_b32 exec_lo, exec_lo, s17
	s_delay_alu instid0(VALU_DEP_1) | instskip(NEXT) | instid1(VALU_DEP_1)
	v_add_f32_e32 v178, v179, v161
	v_and_b32_e32 v161, 0x7f800000, v178
	s_delay_alu instid0(VALU_DEP_1)
	v_cmp_ne_u32_e32 vcc_lo, 0x7f800000, v161
	v_mov_b32_e32 v161, 0x80
	s_and_saveexec_b32 s17, vcc_lo
	s_cbranch_execz .LBB4_7144
; %bb.7137:                             ;   in Loop: Header=BB4_6830 Depth=3
	v_mov_b32_e32 v161, 0
	s_mov_b32 s30, exec_lo
	v_cmpx_ne_u32_e32 0, v178
	s_cbranch_execz .LBB4_7143
; %bb.7138:                             ;   in Loop: Header=BB4_6830 Depth=3
	v_bfe_u32 v161, v178, 23, 8
	s_delay_alu instid0(VALU_DEP_1) | instskip(SKIP_1) | instid1(VALU_DEP_2)
	v_sub_nc_u32_e32 v180, 0x70, v161
	v_cmp_gt_u32_e32 vcc_lo, 0x71, v161
	v_dual_cndmask_b32 v180, 0, v180 :: v_dual_and_b32 v179, 0x7fffff, v178
	s_delay_alu instid0(VALU_DEP_1) | instskip(SKIP_2) | instid1(VALU_DEP_4)
	v_or_b32_e32 v181, 0x800000, v179
	v_cmp_eq_u32_e32 vcc_lo, 0, v161
	v_add_nc_u32_e32 v161, 0xffffff91, v161
	v_cndmask_b32_e64 v180, v180, 0x6f, vcc_lo
	s_delay_alu instid0(VALU_DEP_2) | instskip(SKIP_1) | instid1(VALU_DEP_3)
	v_cndmask_b32_e64 v161, v161, 0xffffff92, vcc_lo
	v_cndmask_b32_e32 v179, v181, v179, vcc_lo
	v_lshl_add_u32 v181, 0x200000, v180, -1
	v_lshlrev_b32_e64 v40, v180, 0x100000
	s_delay_alu instid0(VALU_DEP_3) | instskip(SKIP_1) | instid1(VALU_DEP_4)
	v_lshrrev_b32_e32 v182, v180, v179
	v_add_nc_u32_e32 v180, v180, v161
	v_and_b32_e32 v179, v181, v179
	s_delay_alu instid0(VALU_DEP_3) | instskip(NEXT) | instid1(VALU_DEP_2)
	v_bfe_u32 v183, v182, 21, 1
	v_cmp_eq_u32_e64 s13, v179, v40
	s_delay_alu instid0(VALU_DEP_2) | instskip(NEXT) | instid1(VALU_DEP_1)
	v_add_nc_u32_e32 v181, -1, v183
	v_cndmask_b32_e64 v179, 0, v181, s13
	v_lshrrev_b32_e32 v181, 23, v182
	s_mov_b32 s13, exec_lo
	s_delay_alu instid0(VALU_DEP_2) | instskip(NEXT) | instid1(VALU_DEP_2)
	v_add_nc_u32_e32 v179, v179, v182
	v_xor_b32_e32 v181, 1, v181
	s_delay_alu instid0(VALU_DEP_2) | instskip(NEXT) | instid1(VALU_DEP_1)
	v_and_b32_e32 v161, 0x1fffff, v179
	v_add_nc_u32_e32 v179, v161, v182
                                        ; implicit-def: $vgpr161
	s_delay_alu instid0(VALU_DEP_3)
	v_cmpx_ne_u32_e64 v180, v181
	s_xor_b32 s13, exec_lo, s13
; %bb.7139:                             ;   in Loop: Header=BB4_6830 Depth=3
	s_delay_alu instid0(VALU_DEP_2) | instskip(SKIP_2) | instid1(VALU_DEP_2)
	v_cmp_lt_u32_e32 vcc_lo, 0xffffff, v179
	v_sub_nc_u32_e32 v161, v180, v181
	v_cndmask_b32_e64 v180, 0, 1, vcc_lo
	v_add_co_ci_u32_e32 v161, vcc_lo, 0, v161, vcc_lo
	s_delay_alu instid0(VALU_DEP_2)
	v_lshrrev_b32_e32 v179, v180, v179
; %bb.7140:                             ;   in Loop: Header=BB4_6830 Depth=3
	s_and_not1_saveexec_b32 s13, s13
; %bb.7141:                             ;   in Loop: Header=BB4_6830 Depth=3
	s_delay_alu instid0(VALU_DEP_1)
	v_bfe_u32 v161, v179, 23, 1
; %bb.7142:                             ;   in Loop: Header=BB4_6830 Depth=3
	s_or_b32 exec_lo, exec_lo, s13
	v_lshrrev_b32_e32 v179, 21, v179
	s_delay_alu instid0(VALU_DEP_2) | instskip(SKIP_2) | instid1(VALU_DEP_2)
	v_cmp_gt_i32_e32 vcc_lo, 32, v161
	v_lshrrev_b32_e32 v178, 24, v178
	v_min_i32_e32 v180, 31, v161
	v_dual_cndmask_b32 v179, 3, v179 :: v_dual_and_b32 v178, 0x80, v178
	s_delay_alu instid0(VALU_DEP_1) | instskip(SKIP_1) | instid1(VALU_DEP_2)
	v_or_b32_e32 v161, v161, v179
	v_and_b32_e32 v181, 3, v179
	v_cmp_ne_u32_e32 vcc_lo, 0, v161
	v_lshlrev_b32_e32 v180, 2, v180
	s_delay_alu instid0(VALU_DEP_1) | instskip(NEXT) | instid1(VALU_DEP_1)
	v_or3_b32 v178, v180, v178, v181
	v_cndmask_b32_e32 v161, 0, v178, vcc_lo
.LBB4_7143:                             ;   in Loop: Header=BB4_6830 Depth=3
	s_or_b32 exec_lo, exec_lo, s30
.LBB4_7144:                             ;   in Loop: Header=BB4_6830 Depth=3
	s_delay_alu instid0(SALU_CYCLE_1) | instskip(SKIP_3) | instid1(VALU_DEP_1)
	s_or_b32 exec_lo, exec_lo, s17
	v_and_b32_e32 v179, 0xff, v151
	s_mov_b32 s13, 0
	s_mov_b32 s30, exec_lo
                                        ; implicit-def: $sgpr17
	v_cmpx_lt_i16_e64 0x7f, v179
	s_xor_b32 s30, exec_lo, s30
	s_cbranch_execnz .LBB4_7409
; %bb.7145:                             ;   in Loop: Header=BB4_6830 Depth=3
	s_or_saveexec_b32 s30, s30
	v_mov_b32_e32 v178, s17
	s_xor_b32 exec_lo, exec_lo, s30
	s_cbranch_execnz .LBB4_7412
.LBB4_7146:                             ;   in Loop: Header=BB4_6830 Depth=3
	s_or_b32 exec_lo, exec_lo, s30
	s_and_saveexec_b32 s17, s13
	s_cbranch_execz .LBB4_7148
.LBB4_7147:                             ;   in Loop: Header=BB4_6830 Depth=3
	v_and_b32_e32 v178, 3, v151
	v_lshrrev_b16 v181, 2, v151
	s_delay_alu instid0(VALU_DEP_2) | instskip(NEXT) | instid1(VALU_DEP_1)
	v_clz_i32_u32_e32 v179, v178
	v_min_u32_e32 v179, 32, v179
	s_delay_alu instid0(VALU_DEP_1) | instskip(SKIP_1) | instid1(VALU_DEP_2)
	v_subrev_nc_u32_e32 v180, 29, v179
	v_sub_nc_u32_e32 v179, 30, v179
	v_lshlrev_b32_e32 v180, v180, v151
	v_lshlrev_b32_e32 v151, 24, v151
	s_delay_alu instid0(VALU_DEP_2) | instskip(SKIP_1) | instid1(VALU_DEP_3)
	v_and_b32_e32 v180, 3, v180
	v_and_b32_e32 v181, 31, v181
	;; [unrolled: 1-line block ×3, first 2 shown]
	s_delay_alu instid0(VALU_DEP_2) | instskip(NEXT) | instid1(VALU_DEP_4)
	v_cmp_eq_u32_e32 vcc_lo, 0, v181
	v_dual_cndmask_b32 v178, v178, v180 :: v_dual_cndmask_b32 v179, v181, v179
	s_delay_alu instid0(VALU_DEP_1) | instskip(NEXT) | instid1(VALU_DEP_2)
	v_lshlrev_b32_e32 v178, 21, v178
	v_lshl_add_u32 v179, v179, 23, 0x37800000
	s_delay_alu instid0(VALU_DEP_1)
	v_or3_b32 v178, v151, v179, v178
.LBB4_7148:                             ;   in Loop: Header=BB4_6830 Depth=3
	s_or_b32 exec_lo, exec_lo, s17
	s_waitcnt vmcnt(8) lgkmcnt(8)
	v_and_b32_e32 v179, 0xff, v177
	s_mov_b32 s13, 0
	s_mov_b32 s30, exec_lo
                                        ; implicit-def: $sgpr17
	s_delay_alu instid0(VALU_DEP_1)
	v_cmpx_lt_i16_e64 0x7f, v179
	s_xor_b32 s30, exec_lo, s30
	s_cbranch_execnz .LBB4_7413
; %bb.7149:                             ;   in Loop: Header=BB4_6830 Depth=3
	s_or_saveexec_b32 s30, s30
	v_mov_b32_e32 v151, s17
	s_xor_b32 exec_lo, exec_lo, s30
	s_cbranch_execnz .LBB4_7416
.LBB4_7150:                             ;   in Loop: Header=BB4_6830 Depth=3
	s_or_b32 exec_lo, exec_lo, s30
	s_and_saveexec_b32 s17, s13
	s_cbranch_execz .LBB4_7152
.LBB4_7151:                             ;   in Loop: Header=BB4_6830 Depth=3
	v_and_b32_e32 v151, 3, v177
	v_lshrrev_b16 v181, 2, v177
	s_delay_alu instid0(VALU_DEP_2) | instskip(NEXT) | instid1(VALU_DEP_2)
	v_clz_i32_u32_e32 v179, v151
	v_and_b32_e32 v181, 31, v181
	s_delay_alu instid0(VALU_DEP_2) | instskip(NEXT) | instid1(VALU_DEP_2)
	v_min_u32_e32 v179, 32, v179
	v_cmp_eq_u32_e32 vcc_lo, 0, v181
	s_delay_alu instid0(VALU_DEP_2) | instskip(SKIP_1) | instid1(VALU_DEP_1)
	v_subrev_nc_u32_e32 v180, 29, v179
	v_sub_nc_u32_e32 v179, 30, v179
	v_dual_cndmask_b32 v179, v181, v179 :: v_dual_lshlrev_b32 v180, v180, v177
	v_lshlrev_b32_e32 v177, 24, v177
	s_delay_alu instid0(VALU_DEP_2) | instskip(NEXT) | instid1(VALU_DEP_3)
	v_and_b32_e32 v180, 3, v180
	v_lshl_add_u32 v179, v179, 23, 0x37800000
	s_delay_alu instid0(VALU_DEP_3) | instskip(NEXT) | instid1(VALU_DEP_3)
	v_and_b32_e32 v177, 0x80000000, v177
	v_cndmask_b32_e32 v151, v151, v180, vcc_lo
	s_delay_alu instid0(VALU_DEP_1) | instskip(NEXT) | instid1(VALU_DEP_1)
	v_lshlrev_b32_e32 v151, 21, v151
	v_or3_b32 v151, v177, v179, v151
.LBB4_7152:                             ;   in Loop: Header=BB4_6830 Depth=3
	s_or_b32 exec_lo, exec_lo, s17
	s_delay_alu instid0(VALU_DEP_1) | instskip(NEXT) | instid1(VALU_DEP_1)
	v_add_f32_e32 v177, v178, v151
	v_and_b32_e32 v151, 0x7f800000, v177
	s_delay_alu instid0(VALU_DEP_1)
	v_cmp_ne_u32_e32 vcc_lo, 0x7f800000, v151
	v_mov_b32_e32 v151, 0x80
	s_and_saveexec_b32 s17, vcc_lo
	s_cbranch_execz .LBB4_7160
; %bb.7153:                             ;   in Loop: Header=BB4_6830 Depth=3
	v_mov_b32_e32 v151, 0
	s_mov_b32 s30, exec_lo
	v_cmpx_ne_u32_e32 0, v177
	s_cbranch_execz .LBB4_7159
; %bb.7154:                             ;   in Loop: Header=BB4_6830 Depth=3
	v_bfe_u32 v151, v177, 23, 8
	s_delay_alu instid0(VALU_DEP_1) | instskip(SKIP_1) | instid1(VALU_DEP_2)
	v_sub_nc_u32_e32 v179, 0x70, v151
	v_cmp_gt_u32_e32 vcc_lo, 0x71, v151
	v_dual_cndmask_b32 v179, 0, v179 :: v_dual_and_b32 v178, 0x7fffff, v177
	s_delay_alu instid0(VALU_DEP_1) | instskip(SKIP_2) | instid1(VALU_DEP_4)
	v_or_b32_e32 v180, 0x800000, v178
	v_cmp_eq_u32_e32 vcc_lo, 0, v151
	v_add_nc_u32_e32 v151, 0xffffff91, v151
	v_cndmask_b32_e64 v179, v179, 0x6f, vcc_lo
	s_delay_alu instid0(VALU_DEP_4) | instskip(NEXT) | instid1(VALU_DEP_3)
	v_cndmask_b32_e32 v178, v180, v178, vcc_lo
	v_cndmask_b32_e64 v151, v151, 0xffffff92, vcc_lo
	s_delay_alu instid0(VALU_DEP_3) | instskip(NEXT) | instid1(VALU_DEP_3)
	v_lshl_add_u32 v180, 0x200000, v179, -1
	v_lshrrev_b32_e32 v181, v179, v178
	v_lshlrev_b32_e64 v183, v179, 0x100000
	s_delay_alu instid0(VALU_DEP_4) | instskip(NEXT) | instid1(VALU_DEP_4)
	v_add_nc_u32_e32 v179, v179, v151
	v_and_b32_e32 v178, v180, v178
	s_delay_alu instid0(VALU_DEP_4) | instskip(NEXT) | instid1(VALU_DEP_2)
	v_bfe_u32 v182, v181, 21, 1
	v_cmp_eq_u32_e64 s13, v178, v183
	s_delay_alu instid0(VALU_DEP_2) | instskip(NEXT) | instid1(VALU_DEP_1)
	v_add_nc_u32_e32 v180, -1, v182
	v_cndmask_b32_e64 v178, 0, v180, s13
	v_lshrrev_b32_e32 v180, 23, v181
	s_mov_b32 s13, exec_lo
	s_delay_alu instid0(VALU_DEP_2) | instskip(NEXT) | instid1(VALU_DEP_2)
	v_add_nc_u32_e32 v178, v178, v181
	v_xor_b32_e32 v180, 1, v180
	s_delay_alu instid0(VALU_DEP_2) | instskip(NEXT) | instid1(VALU_DEP_1)
	v_and_b32_e32 v151, 0x1fffff, v178
	v_add_nc_u32_e32 v178, v151, v181
                                        ; implicit-def: $vgpr151
	s_delay_alu instid0(VALU_DEP_3)
	v_cmpx_ne_u32_e64 v179, v180
	s_xor_b32 s13, exec_lo, s13
; %bb.7155:                             ;   in Loop: Header=BB4_6830 Depth=3
	s_delay_alu instid0(VALU_DEP_2) | instskip(SKIP_2) | instid1(VALU_DEP_2)
	v_cmp_lt_u32_e32 vcc_lo, 0xffffff, v178
	v_sub_nc_u32_e32 v151, v179, v180
	v_cndmask_b32_e64 v179, 0, 1, vcc_lo
	v_add_co_ci_u32_e32 v151, vcc_lo, 0, v151, vcc_lo
	s_delay_alu instid0(VALU_DEP_2)
	v_lshrrev_b32_e32 v178, v179, v178
; %bb.7156:                             ;   in Loop: Header=BB4_6830 Depth=3
	s_and_not1_saveexec_b32 s13, s13
; %bb.7157:                             ;   in Loop: Header=BB4_6830 Depth=3
	s_delay_alu instid0(VALU_DEP_1)
	v_bfe_u32 v151, v178, 23, 1
; %bb.7158:                             ;   in Loop: Header=BB4_6830 Depth=3
	s_or_b32 exec_lo, exec_lo, s13
	v_lshrrev_b32_e32 v178, 21, v178
	s_delay_alu instid0(VALU_DEP_2) | instskip(SKIP_2) | instid1(VALU_DEP_2)
	v_cmp_gt_i32_e32 vcc_lo, 32, v151
	v_lshrrev_b32_e32 v177, 24, v177
	v_min_i32_e32 v179, 31, v151
	v_dual_cndmask_b32 v178, 3, v178 :: v_dual_and_b32 v177, 0x80, v177
	s_delay_alu instid0(VALU_DEP_2) | instskip(NEXT) | instid1(VALU_DEP_2)
	v_lshlrev_b32_e32 v179, 2, v179
	v_or_b32_e32 v151, v151, v178
	s_delay_alu instid0(VALU_DEP_1) | instskip(SKIP_1) | instid1(VALU_DEP_1)
	v_cmp_ne_u32_e32 vcc_lo, 0, v151
	v_and_b32_e32 v180, 3, v178
	v_or3_b32 v177, v179, v177, v180
	s_delay_alu instid0(VALU_DEP_1)
	v_cndmask_b32_e32 v151, 0, v177, vcc_lo
.LBB4_7159:                             ;   in Loop: Header=BB4_6830 Depth=3
	s_or_b32 exec_lo, exec_lo, s30
.LBB4_7160:                             ;   in Loop: Header=BB4_6830 Depth=3
	s_delay_alu instid0(SALU_CYCLE_1) | instskip(SKIP_3) | instid1(VALU_DEP_1)
	s_or_b32 exec_lo, exec_lo, s17
	v_and_b32_e32 v178, 0xff, v149
	s_mov_b32 s13, 0
	s_mov_b32 s30, exec_lo
                                        ; implicit-def: $sgpr17
	v_cmpx_lt_i16_e64 0x7f, v178
	s_xor_b32 s30, exec_lo, s30
	s_cbranch_execnz .LBB4_7417
; %bb.7161:                             ;   in Loop: Header=BB4_6830 Depth=3
	s_or_saveexec_b32 s30, s30
	v_mov_b32_e32 v177, s17
	s_xor_b32 exec_lo, exec_lo, s30
	s_cbranch_execnz .LBB4_7420
.LBB4_7162:                             ;   in Loop: Header=BB4_6830 Depth=3
	s_or_b32 exec_lo, exec_lo, s30
	s_and_saveexec_b32 s17, s13
	s_cbranch_execz .LBB4_7164
.LBB4_7163:                             ;   in Loop: Header=BB4_6830 Depth=3
	v_lshrrev_b16 v180, 2, v149
	s_delay_alu instid0(VALU_DEP_1) | instskip(NEXT) | instid1(VALU_DEP_1)
	v_and_b32_e32 v180, 31, v180
	v_cmp_eq_u32_e32 vcc_lo, 0, v180
	v_and_b32_e32 v177, 3, v149
	s_delay_alu instid0(VALU_DEP_1) | instskip(NEXT) | instid1(VALU_DEP_1)
	v_clz_i32_u32_e32 v178, v177
	v_min_u32_e32 v178, 32, v178
	s_delay_alu instid0(VALU_DEP_1) | instskip(SKIP_1) | instid1(VALU_DEP_1)
	v_subrev_nc_u32_e32 v179, 29, v178
	v_sub_nc_u32_e32 v178, 30, v178
	v_dual_cndmask_b32 v178, v180, v178 :: v_dual_lshlrev_b32 v179, v179, v149
	v_lshlrev_b32_e32 v149, 24, v149
	s_delay_alu instid0(VALU_DEP_2) | instskip(NEXT) | instid1(VALU_DEP_3)
	v_and_b32_e32 v179, 3, v179
	v_lshl_add_u32 v178, v178, 23, 0x37800000
	s_delay_alu instid0(VALU_DEP_3) | instskip(NEXT) | instid1(VALU_DEP_3)
	v_and_b32_e32 v149, 0x80000000, v149
	v_cndmask_b32_e32 v177, v177, v179, vcc_lo
	s_delay_alu instid0(VALU_DEP_1) | instskip(NEXT) | instid1(VALU_DEP_1)
	v_lshlrev_b32_e32 v177, 21, v177
	v_or3_b32 v177, v149, v178, v177
.LBB4_7164:                             ;   in Loop: Header=BB4_6830 Depth=3
	s_or_b32 exec_lo, exec_lo, s17
	s_waitcnt vmcnt(7) lgkmcnt(7)
	v_and_b32_e32 v178, 0xff, v176
	s_mov_b32 s13, 0
	s_mov_b32 s30, exec_lo
                                        ; implicit-def: $sgpr17
	s_delay_alu instid0(VALU_DEP_1)
	v_cmpx_lt_i16_e64 0x7f, v178
	s_xor_b32 s30, exec_lo, s30
	s_cbranch_execnz .LBB4_7421
; %bb.7165:                             ;   in Loop: Header=BB4_6830 Depth=3
	s_or_saveexec_b32 s30, s30
	v_mov_b32_e32 v149, s17
	s_xor_b32 exec_lo, exec_lo, s30
	s_cbranch_execnz .LBB4_7424
.LBB4_7166:                             ;   in Loop: Header=BB4_6830 Depth=3
	s_or_b32 exec_lo, exec_lo, s30
	s_and_saveexec_b32 s17, s13
	s_cbranch_execz .LBB4_7168
.LBB4_7167:                             ;   in Loop: Header=BB4_6830 Depth=3
	v_lshrrev_b16 v180, 2, v176
	s_delay_alu instid0(VALU_DEP_1) | instskip(NEXT) | instid1(VALU_DEP_1)
	v_and_b32_e32 v180, 31, v180
	v_cmp_eq_u32_e32 vcc_lo, 0, v180
	v_and_b32_e32 v149, 3, v176
	s_delay_alu instid0(VALU_DEP_1) | instskip(NEXT) | instid1(VALU_DEP_1)
	v_clz_i32_u32_e32 v178, v149
	v_min_u32_e32 v178, 32, v178
	s_delay_alu instid0(VALU_DEP_1) | instskip(SKIP_1) | instid1(VALU_DEP_1)
	v_subrev_nc_u32_e32 v179, 29, v178
	v_sub_nc_u32_e32 v178, 30, v178
	v_dual_cndmask_b32 v178, v180, v178 :: v_dual_lshlrev_b32 v179, v179, v176
	v_lshlrev_b32_e32 v176, 24, v176
	s_delay_alu instid0(VALU_DEP_2) | instskip(NEXT) | instid1(VALU_DEP_3)
	v_and_b32_e32 v179, 3, v179
	v_lshl_add_u32 v178, v178, 23, 0x37800000
	s_delay_alu instid0(VALU_DEP_2) | instskip(NEXT) | instid1(VALU_DEP_1)
	v_dual_cndmask_b32 v149, v149, v179 :: v_dual_and_b32 v176, 0x80000000, v176
	v_lshlrev_b32_e32 v149, 21, v149
	s_delay_alu instid0(VALU_DEP_1)
	v_or3_b32 v149, v176, v178, v149
.LBB4_7168:                             ;   in Loop: Header=BB4_6830 Depth=3
	s_or_b32 exec_lo, exec_lo, s17
	s_delay_alu instid0(VALU_DEP_1) | instskip(NEXT) | instid1(VALU_DEP_1)
	v_add_f32_e32 v176, v177, v149
	v_and_b32_e32 v149, 0x7f800000, v176
	s_delay_alu instid0(VALU_DEP_1)
	v_cmp_ne_u32_e32 vcc_lo, 0x7f800000, v149
	v_mov_b32_e32 v149, 0x80
	s_and_saveexec_b32 s17, vcc_lo
	s_cbranch_execz .LBB4_7176
; %bb.7169:                             ;   in Loop: Header=BB4_6830 Depth=3
	v_mov_b32_e32 v149, 0
	s_mov_b32 s30, exec_lo
	v_cmpx_ne_u32_e32 0, v176
	s_cbranch_execz .LBB4_7175
; %bb.7170:                             ;   in Loop: Header=BB4_6830 Depth=3
	v_bfe_u32 v149, v176, 23, 8
	s_delay_alu instid0(VALU_DEP_1) | instskip(SKIP_1) | instid1(VALU_DEP_2)
	v_sub_nc_u32_e32 v178, 0x70, v149
	v_cmp_gt_u32_e32 vcc_lo, 0x71, v149
	v_dual_cndmask_b32 v178, 0, v178 :: v_dual_and_b32 v177, 0x7fffff, v176
	s_delay_alu instid0(VALU_DEP_1) | instskip(SKIP_2) | instid1(VALU_DEP_4)
	v_or_b32_e32 v179, 0x800000, v177
	v_cmp_eq_u32_e32 vcc_lo, 0, v149
	v_add_nc_u32_e32 v149, 0xffffff91, v149
	v_cndmask_b32_e64 v178, v178, 0x6f, vcc_lo
	s_delay_alu instid0(VALU_DEP_4) | instskip(NEXT) | instid1(VALU_DEP_3)
	v_cndmask_b32_e32 v177, v179, v177, vcc_lo
	v_cndmask_b32_e64 v149, v149, 0xffffff92, vcc_lo
	s_delay_alu instid0(VALU_DEP_3) | instskip(NEXT) | instid1(VALU_DEP_3)
	v_lshl_add_u32 v179, 0x200000, v178, -1
	v_lshrrev_b32_e32 v180, v178, v177
	v_lshlrev_b32_e64 v182, v178, 0x100000
	s_delay_alu instid0(VALU_DEP_4) | instskip(NEXT) | instid1(VALU_DEP_4)
	v_add_nc_u32_e32 v178, v178, v149
	v_and_b32_e32 v177, v179, v177
	s_delay_alu instid0(VALU_DEP_4) | instskip(NEXT) | instid1(VALU_DEP_2)
	v_bfe_u32 v181, v180, 21, 1
	v_cmp_eq_u32_e64 s13, v177, v182
	s_delay_alu instid0(VALU_DEP_2) | instskip(NEXT) | instid1(VALU_DEP_1)
	v_add_nc_u32_e32 v179, -1, v181
	v_cndmask_b32_e64 v177, 0, v179, s13
	v_lshrrev_b32_e32 v179, 23, v180
	s_mov_b32 s13, exec_lo
	s_delay_alu instid0(VALU_DEP_2) | instskip(NEXT) | instid1(VALU_DEP_2)
	v_add_nc_u32_e32 v177, v177, v180
	v_xor_b32_e32 v179, 1, v179
	s_delay_alu instid0(VALU_DEP_2) | instskip(NEXT) | instid1(VALU_DEP_1)
	v_and_b32_e32 v149, 0x1fffff, v177
	v_add_nc_u32_e32 v177, v149, v180
                                        ; implicit-def: $vgpr149
	s_delay_alu instid0(VALU_DEP_3)
	v_cmpx_ne_u32_e64 v178, v179
	s_xor_b32 s13, exec_lo, s13
; %bb.7171:                             ;   in Loop: Header=BB4_6830 Depth=3
	s_delay_alu instid0(VALU_DEP_2) | instskip(SKIP_2) | instid1(VALU_DEP_2)
	v_cmp_lt_u32_e32 vcc_lo, 0xffffff, v177
	v_sub_nc_u32_e32 v149, v178, v179
	v_cndmask_b32_e64 v178, 0, 1, vcc_lo
	v_add_co_ci_u32_e32 v149, vcc_lo, 0, v149, vcc_lo
	s_delay_alu instid0(VALU_DEP_2)
	v_lshrrev_b32_e32 v177, v178, v177
; %bb.7172:                             ;   in Loop: Header=BB4_6830 Depth=3
	s_and_not1_saveexec_b32 s13, s13
; %bb.7173:                             ;   in Loop: Header=BB4_6830 Depth=3
	s_delay_alu instid0(VALU_DEP_1)
	v_bfe_u32 v149, v177, 23, 1
; %bb.7174:                             ;   in Loop: Header=BB4_6830 Depth=3
	s_or_b32 exec_lo, exec_lo, s13
	v_lshrrev_b32_e32 v177, 21, v177
	s_delay_alu instid0(VALU_DEP_2) | instskip(SKIP_2) | instid1(VALU_DEP_2)
	v_cmp_gt_i32_e32 vcc_lo, 32, v149
	v_lshrrev_b32_e32 v176, 24, v176
	v_min_i32_e32 v178, 31, v149
	v_dual_cndmask_b32 v177, 3, v177 :: v_dual_and_b32 v176, 0x80, v176
	s_delay_alu instid0(VALU_DEP_1) | instskip(SKIP_1) | instid1(VALU_DEP_2)
	v_or_b32_e32 v149, v149, v177
	v_and_b32_e32 v179, 3, v177
	v_cmp_ne_u32_e32 vcc_lo, 0, v149
	v_lshlrev_b32_e32 v178, 2, v178
	s_delay_alu instid0(VALU_DEP_1) | instskip(NEXT) | instid1(VALU_DEP_1)
	v_or3_b32 v176, v178, v176, v179
	v_cndmask_b32_e32 v149, 0, v176, vcc_lo
.LBB4_7175:                             ;   in Loop: Header=BB4_6830 Depth=3
	s_or_b32 exec_lo, exec_lo, s30
.LBB4_7176:                             ;   in Loop: Header=BB4_6830 Depth=3
	s_delay_alu instid0(SALU_CYCLE_1) | instskip(SKIP_3) | instid1(VALU_DEP_1)
	s_or_b32 exec_lo, exec_lo, s17
	v_and_b32_e32 v177, 0xff, v148
	s_mov_b32 s13, 0
	s_mov_b32 s30, exec_lo
                                        ; implicit-def: $sgpr17
	v_cmpx_lt_i16_e64 0x7f, v177
	s_xor_b32 s30, exec_lo, s30
	s_cbranch_execnz .LBB4_7425
; %bb.7177:                             ;   in Loop: Header=BB4_6830 Depth=3
	s_or_saveexec_b32 s30, s30
	v_mov_b32_e32 v176, s17
	s_xor_b32 exec_lo, exec_lo, s30
	s_cbranch_execnz .LBB4_7428
.LBB4_7178:                             ;   in Loop: Header=BB4_6830 Depth=3
	s_or_b32 exec_lo, exec_lo, s30
	s_and_saveexec_b32 s17, s13
	s_cbranch_execz .LBB4_7180
.LBB4_7179:                             ;   in Loop: Header=BB4_6830 Depth=3
	v_lshrrev_b16 v179, 2, v148
	s_delay_alu instid0(VALU_DEP_1) | instskip(NEXT) | instid1(VALU_DEP_1)
	v_and_b32_e32 v179, 31, v179
	v_cmp_eq_u32_e32 vcc_lo, 0, v179
	v_and_b32_e32 v176, 3, v148
	s_delay_alu instid0(VALU_DEP_1) | instskip(NEXT) | instid1(VALU_DEP_1)
	v_clz_i32_u32_e32 v177, v176
	v_min_u32_e32 v177, 32, v177
	s_delay_alu instid0(VALU_DEP_1) | instskip(SKIP_1) | instid1(VALU_DEP_1)
	v_subrev_nc_u32_e32 v178, 29, v177
	v_sub_nc_u32_e32 v177, 30, v177
	v_dual_cndmask_b32 v177, v179, v177 :: v_dual_lshlrev_b32 v178, v178, v148
	v_lshlrev_b32_e32 v148, 24, v148
	s_delay_alu instid0(VALU_DEP_2) | instskip(NEXT) | instid1(VALU_DEP_3)
	v_and_b32_e32 v178, 3, v178
	v_lshl_add_u32 v177, v177, 23, 0x37800000
	s_delay_alu instid0(VALU_DEP_3) | instskip(NEXT) | instid1(VALU_DEP_3)
	v_and_b32_e32 v148, 0x80000000, v148
	v_cndmask_b32_e32 v176, v176, v178, vcc_lo
	s_delay_alu instid0(VALU_DEP_1) | instskip(NEXT) | instid1(VALU_DEP_1)
	v_lshlrev_b32_e32 v176, 21, v176
	v_or3_b32 v176, v148, v177, v176
.LBB4_7180:                             ;   in Loop: Header=BB4_6830 Depth=3
	s_or_b32 exec_lo, exec_lo, s17
	s_waitcnt vmcnt(6) lgkmcnt(6)
	v_and_b32_e32 v177, 0xff, v167
	s_mov_b32 s13, 0
	s_mov_b32 s30, exec_lo
                                        ; implicit-def: $sgpr17
	s_delay_alu instid0(VALU_DEP_1)
	v_cmpx_lt_i16_e64 0x7f, v177
	s_xor_b32 s30, exec_lo, s30
	s_cbranch_execnz .LBB4_7429
; %bb.7181:                             ;   in Loop: Header=BB4_6830 Depth=3
	s_or_saveexec_b32 s30, s30
	v_mov_b32_e32 v148, s17
	s_xor_b32 exec_lo, exec_lo, s30
	s_cbranch_execnz .LBB4_7432
.LBB4_7182:                             ;   in Loop: Header=BB4_6830 Depth=3
	s_or_b32 exec_lo, exec_lo, s30
	s_and_saveexec_b32 s17, s13
	s_cbranch_execz .LBB4_7184
.LBB4_7183:                             ;   in Loop: Header=BB4_6830 Depth=3
	v_lshrrev_b16 v179, 2, v167
	s_delay_alu instid0(VALU_DEP_1) | instskip(NEXT) | instid1(VALU_DEP_1)
	v_and_b32_e32 v179, 31, v179
	v_cmp_eq_u32_e32 vcc_lo, 0, v179
	v_and_b32_e32 v148, 3, v167
	s_delay_alu instid0(VALU_DEP_1) | instskip(NEXT) | instid1(VALU_DEP_1)
	v_clz_i32_u32_e32 v177, v148
	v_min_u32_e32 v177, 32, v177
	s_delay_alu instid0(VALU_DEP_1) | instskip(SKIP_1) | instid1(VALU_DEP_1)
	v_subrev_nc_u32_e32 v178, 29, v177
	v_sub_nc_u32_e32 v177, 30, v177
	v_dual_cndmask_b32 v177, v179, v177 :: v_dual_lshlrev_b32 v178, v178, v167
	v_lshlrev_b32_e32 v167, 24, v167
	s_delay_alu instid0(VALU_DEP_2) | instskip(NEXT) | instid1(VALU_DEP_3)
	v_and_b32_e32 v178, 3, v178
	v_lshl_add_u32 v177, v177, 23, 0x37800000
	s_delay_alu instid0(VALU_DEP_2) | instskip(NEXT) | instid1(VALU_DEP_1)
	v_dual_cndmask_b32 v148, v148, v178 :: v_dual_and_b32 v167, 0x80000000, v167
	v_lshlrev_b32_e32 v148, 21, v148
	s_delay_alu instid0(VALU_DEP_1)
	v_or3_b32 v148, v167, v177, v148
.LBB4_7184:                             ;   in Loop: Header=BB4_6830 Depth=3
	s_or_b32 exec_lo, exec_lo, s17
	s_delay_alu instid0(VALU_DEP_1) | instskip(NEXT) | instid1(VALU_DEP_1)
	v_add_f32_e32 v167, v176, v148
	v_and_b32_e32 v148, 0x7f800000, v167
	s_delay_alu instid0(VALU_DEP_1)
	v_cmp_ne_u32_e32 vcc_lo, 0x7f800000, v148
	v_mov_b32_e32 v148, 0x80
	s_and_saveexec_b32 s17, vcc_lo
	s_cbranch_execz .LBB4_7192
; %bb.7185:                             ;   in Loop: Header=BB4_6830 Depth=3
	v_mov_b32_e32 v148, 0
	s_mov_b32 s30, exec_lo
	v_cmpx_ne_u32_e32 0, v167
	s_cbranch_execz .LBB4_7191
; %bb.7186:                             ;   in Loop: Header=BB4_6830 Depth=3
	v_bfe_u32 v148, v167, 23, 8
	s_delay_alu instid0(VALU_DEP_1) | instskip(SKIP_1) | instid1(VALU_DEP_2)
	v_sub_nc_u32_e32 v177, 0x70, v148
	v_cmp_gt_u32_e32 vcc_lo, 0x71, v148
	v_dual_cndmask_b32 v177, 0, v177 :: v_dual_and_b32 v176, 0x7fffff, v167
	s_delay_alu instid0(VALU_DEP_1) | instskip(SKIP_2) | instid1(VALU_DEP_4)
	v_or_b32_e32 v178, 0x800000, v176
	v_cmp_eq_u32_e32 vcc_lo, 0, v148
	v_add_nc_u32_e32 v148, 0xffffff91, v148
	v_cndmask_b32_e64 v177, v177, 0x6f, vcc_lo
	s_delay_alu instid0(VALU_DEP_4) | instskip(NEXT) | instid1(VALU_DEP_3)
	v_cndmask_b32_e32 v176, v178, v176, vcc_lo
	v_cndmask_b32_e64 v148, v148, 0xffffff92, vcc_lo
	s_delay_alu instid0(VALU_DEP_3) | instskip(NEXT) | instid1(VALU_DEP_3)
	v_lshl_add_u32 v178, 0x200000, v177, -1
	v_lshrrev_b32_e32 v179, v177, v176
	v_lshlrev_b32_e64 v181, v177, 0x100000
	s_delay_alu instid0(VALU_DEP_4) | instskip(NEXT) | instid1(VALU_DEP_4)
	v_add_nc_u32_e32 v177, v177, v148
	v_and_b32_e32 v176, v178, v176
	s_delay_alu instid0(VALU_DEP_4) | instskip(NEXT) | instid1(VALU_DEP_2)
	v_bfe_u32 v180, v179, 21, 1
	v_cmp_eq_u32_e64 s13, v176, v181
	s_delay_alu instid0(VALU_DEP_2) | instskip(NEXT) | instid1(VALU_DEP_1)
	v_add_nc_u32_e32 v178, -1, v180
	v_cndmask_b32_e64 v176, 0, v178, s13
	v_lshrrev_b32_e32 v178, 23, v179
	s_mov_b32 s13, exec_lo
	s_delay_alu instid0(VALU_DEP_2) | instskip(NEXT) | instid1(VALU_DEP_2)
	v_add_nc_u32_e32 v176, v176, v179
	v_xor_b32_e32 v178, 1, v178
	s_delay_alu instid0(VALU_DEP_2) | instskip(NEXT) | instid1(VALU_DEP_1)
	v_and_b32_e32 v148, 0x1fffff, v176
	v_add_nc_u32_e32 v176, v148, v179
                                        ; implicit-def: $vgpr148
	s_delay_alu instid0(VALU_DEP_3)
	v_cmpx_ne_u32_e64 v177, v178
	s_xor_b32 s13, exec_lo, s13
; %bb.7187:                             ;   in Loop: Header=BB4_6830 Depth=3
	s_delay_alu instid0(VALU_DEP_2) | instskip(SKIP_2) | instid1(VALU_DEP_2)
	v_cmp_lt_u32_e32 vcc_lo, 0xffffff, v176
	v_sub_nc_u32_e32 v148, v177, v178
	v_cndmask_b32_e64 v177, 0, 1, vcc_lo
	v_add_co_ci_u32_e32 v148, vcc_lo, 0, v148, vcc_lo
	s_delay_alu instid0(VALU_DEP_2)
	v_lshrrev_b32_e32 v176, v177, v176
; %bb.7188:                             ;   in Loop: Header=BB4_6830 Depth=3
	s_and_not1_saveexec_b32 s13, s13
; %bb.7189:                             ;   in Loop: Header=BB4_6830 Depth=3
	s_delay_alu instid0(VALU_DEP_1)
	v_bfe_u32 v148, v176, 23, 1
; %bb.7190:                             ;   in Loop: Header=BB4_6830 Depth=3
	s_or_b32 exec_lo, exec_lo, s13
	v_lshrrev_b32_e32 v176, 21, v176
	s_delay_alu instid0(VALU_DEP_2) | instskip(SKIP_2) | instid1(VALU_DEP_2)
	v_cmp_gt_i32_e32 vcc_lo, 32, v148
	v_lshrrev_b32_e32 v167, 24, v167
	v_min_i32_e32 v177, 31, v148
	v_dual_cndmask_b32 v176, 3, v176 :: v_dual_and_b32 v167, 0x80, v167
	s_delay_alu instid0(VALU_DEP_1) | instskip(SKIP_1) | instid1(VALU_DEP_2)
	v_or_b32_e32 v148, v148, v176
	v_and_b32_e32 v178, 3, v176
	v_cmp_ne_u32_e32 vcc_lo, 0, v148
	v_lshlrev_b32_e32 v177, 2, v177
	s_delay_alu instid0(VALU_DEP_1) | instskip(NEXT) | instid1(VALU_DEP_1)
	v_or3_b32 v167, v177, v167, v178
	v_cndmask_b32_e32 v148, 0, v167, vcc_lo
.LBB4_7191:                             ;   in Loop: Header=BB4_6830 Depth=3
	s_or_b32 exec_lo, exec_lo, s30
.LBB4_7192:                             ;   in Loop: Header=BB4_6830 Depth=3
	s_delay_alu instid0(SALU_CYCLE_1) | instskip(SKIP_3) | instid1(VALU_DEP_1)
	s_or_b32 exec_lo, exec_lo, s17
	v_and_b32_e32 v176, 0xff, v146
	s_mov_b32 s13, 0
	s_mov_b32 s30, exec_lo
                                        ; implicit-def: $sgpr17
	v_cmpx_lt_i16_e64 0x7f, v176
	s_xor_b32 s30, exec_lo, s30
	s_cbranch_execnz .LBB4_7433
; %bb.7193:                             ;   in Loop: Header=BB4_6830 Depth=3
	s_or_saveexec_b32 s30, s30
	v_mov_b32_e32 v167, s17
	s_xor_b32 exec_lo, exec_lo, s30
	s_cbranch_execnz .LBB4_7436
.LBB4_7194:                             ;   in Loop: Header=BB4_6830 Depth=3
	s_or_b32 exec_lo, exec_lo, s30
	s_and_saveexec_b32 s17, s13
	s_cbranch_execz .LBB4_7196
.LBB4_7195:                             ;   in Loop: Header=BB4_6830 Depth=3
	v_lshrrev_b16 v178, 2, v146
	s_delay_alu instid0(VALU_DEP_1) | instskip(NEXT) | instid1(VALU_DEP_1)
	v_and_b32_e32 v178, 31, v178
	v_cmp_eq_u32_e32 vcc_lo, 0, v178
	v_and_b32_e32 v167, 3, v146
	s_delay_alu instid0(VALU_DEP_1) | instskip(NEXT) | instid1(VALU_DEP_1)
	v_clz_i32_u32_e32 v176, v167
	v_min_u32_e32 v176, 32, v176
	s_delay_alu instid0(VALU_DEP_1) | instskip(SKIP_1) | instid1(VALU_DEP_1)
	v_subrev_nc_u32_e32 v177, 29, v176
	v_sub_nc_u32_e32 v176, 30, v176
	v_dual_cndmask_b32 v176, v178, v176 :: v_dual_lshlrev_b32 v177, v177, v146
	v_lshlrev_b32_e32 v146, 24, v146
	s_delay_alu instid0(VALU_DEP_2) | instskip(NEXT) | instid1(VALU_DEP_3)
	v_and_b32_e32 v177, 3, v177
	v_lshl_add_u32 v176, v176, 23, 0x37800000
	s_delay_alu instid0(VALU_DEP_2) | instskip(NEXT) | instid1(VALU_DEP_1)
	v_dual_cndmask_b32 v167, v167, v177 :: v_dual_and_b32 v146, 0x80000000, v146
	v_lshlrev_b32_e32 v167, 21, v167
	s_delay_alu instid0(VALU_DEP_1)
	v_or3_b32 v167, v146, v176, v167
.LBB4_7196:                             ;   in Loop: Header=BB4_6830 Depth=3
	s_or_b32 exec_lo, exec_lo, s17
	s_waitcnt vmcnt(5) lgkmcnt(5)
	v_and_b32_e32 v176, 0xff, v166
	s_mov_b32 s13, 0
	s_mov_b32 s30, exec_lo
                                        ; implicit-def: $sgpr17
	s_delay_alu instid0(VALU_DEP_1)
	v_cmpx_lt_i16_e64 0x7f, v176
	s_xor_b32 s30, exec_lo, s30
	s_cbranch_execnz .LBB4_7437
; %bb.7197:                             ;   in Loop: Header=BB4_6830 Depth=3
	s_or_saveexec_b32 s30, s30
	v_mov_b32_e32 v146, s17
	s_xor_b32 exec_lo, exec_lo, s30
	s_cbranch_execnz .LBB4_7440
.LBB4_7198:                             ;   in Loop: Header=BB4_6830 Depth=3
	s_or_b32 exec_lo, exec_lo, s30
	s_and_saveexec_b32 s17, s13
	s_cbranch_execz .LBB4_7200
.LBB4_7199:                             ;   in Loop: Header=BB4_6830 Depth=3
	v_and_b32_e32 v146, 3, v166
	v_lshrrev_b16 v178, 2, v166
	s_delay_alu instid0(VALU_DEP_2) | instskip(NEXT) | instid1(VALU_DEP_2)
	v_clz_i32_u32_e32 v176, v146
	v_and_b32_e32 v178, 31, v178
	s_delay_alu instid0(VALU_DEP_2) | instskip(NEXT) | instid1(VALU_DEP_2)
	v_min_u32_e32 v176, 32, v176
	v_cmp_eq_u32_e32 vcc_lo, 0, v178
	s_delay_alu instid0(VALU_DEP_2) | instskip(SKIP_1) | instid1(VALU_DEP_1)
	v_subrev_nc_u32_e32 v177, 29, v176
	v_sub_nc_u32_e32 v176, 30, v176
	v_dual_cndmask_b32 v176, v178, v176 :: v_dual_lshlrev_b32 v177, v177, v166
	v_lshlrev_b32_e32 v166, 24, v166
	s_delay_alu instid0(VALU_DEP_2) | instskip(NEXT) | instid1(VALU_DEP_3)
	v_and_b32_e32 v177, 3, v177
	v_lshl_add_u32 v176, v176, 23, 0x37800000
	s_delay_alu instid0(VALU_DEP_3) | instskip(NEXT) | instid1(VALU_DEP_3)
	v_and_b32_e32 v166, 0x80000000, v166
	v_cndmask_b32_e32 v146, v146, v177, vcc_lo
	s_delay_alu instid0(VALU_DEP_1) | instskip(NEXT) | instid1(VALU_DEP_1)
	v_lshlrev_b32_e32 v146, 21, v146
	v_or3_b32 v146, v166, v176, v146
.LBB4_7200:                             ;   in Loop: Header=BB4_6830 Depth=3
	s_or_b32 exec_lo, exec_lo, s17
	s_delay_alu instid0(VALU_DEP_1) | instskip(NEXT) | instid1(VALU_DEP_1)
	v_add_f32_e32 v166, v167, v146
	v_and_b32_e32 v146, 0x7f800000, v166
	s_delay_alu instid0(VALU_DEP_1)
	v_cmp_ne_u32_e32 vcc_lo, 0x7f800000, v146
	v_mov_b32_e32 v146, 0x80
	s_and_saveexec_b32 s17, vcc_lo
	s_cbranch_execz .LBB4_7208
; %bb.7201:                             ;   in Loop: Header=BB4_6830 Depth=3
	v_mov_b32_e32 v146, 0
	s_mov_b32 s30, exec_lo
	v_cmpx_ne_u32_e32 0, v166
	s_cbranch_execz .LBB4_7207
; %bb.7202:                             ;   in Loop: Header=BB4_6830 Depth=3
	v_bfe_u32 v146, v166, 23, 8
	s_delay_alu instid0(VALU_DEP_1) | instskip(SKIP_1) | instid1(VALU_DEP_2)
	v_sub_nc_u32_e32 v176, 0x70, v146
	v_cmp_gt_u32_e32 vcc_lo, 0x71, v146
	v_dual_cndmask_b32 v176, 0, v176 :: v_dual_and_b32 v167, 0x7fffff, v166
	s_delay_alu instid0(VALU_DEP_1) | instskip(SKIP_2) | instid1(VALU_DEP_4)
	v_or_b32_e32 v177, 0x800000, v167
	v_cmp_eq_u32_e32 vcc_lo, 0, v146
	v_add_nc_u32_e32 v146, 0xffffff91, v146
	v_cndmask_b32_e64 v176, v176, 0x6f, vcc_lo
	s_delay_alu instid0(VALU_DEP_4) | instskip(NEXT) | instid1(VALU_DEP_3)
	v_cndmask_b32_e32 v167, v177, v167, vcc_lo
	v_cndmask_b32_e64 v146, v146, 0xffffff92, vcc_lo
	s_delay_alu instid0(VALU_DEP_3) | instskip(NEXT) | instid1(VALU_DEP_3)
	v_lshl_add_u32 v177, 0x200000, v176, -1
	v_lshrrev_b32_e32 v178, v176, v167
	v_lshlrev_b32_e64 v180, v176, 0x100000
	s_delay_alu instid0(VALU_DEP_4) | instskip(NEXT) | instid1(VALU_DEP_4)
	v_add_nc_u32_e32 v176, v176, v146
	v_and_b32_e32 v167, v177, v167
	s_delay_alu instid0(VALU_DEP_4) | instskip(NEXT) | instid1(VALU_DEP_2)
	v_bfe_u32 v179, v178, 21, 1
	v_cmp_eq_u32_e64 s13, v167, v180
	s_delay_alu instid0(VALU_DEP_2) | instskip(NEXT) | instid1(VALU_DEP_1)
	v_add_nc_u32_e32 v177, -1, v179
	v_cndmask_b32_e64 v167, 0, v177, s13
	v_lshrrev_b32_e32 v177, 23, v178
	s_mov_b32 s13, exec_lo
	s_delay_alu instid0(VALU_DEP_2) | instskip(NEXT) | instid1(VALU_DEP_2)
	v_add_nc_u32_e32 v167, v167, v178
	v_xor_b32_e32 v177, 1, v177
	s_delay_alu instid0(VALU_DEP_2) | instskip(NEXT) | instid1(VALU_DEP_1)
	v_and_b32_e32 v146, 0x1fffff, v167
	v_add_nc_u32_e32 v167, v146, v178
                                        ; implicit-def: $vgpr146
	s_delay_alu instid0(VALU_DEP_3)
	v_cmpx_ne_u32_e64 v176, v177
	s_xor_b32 s13, exec_lo, s13
; %bb.7203:                             ;   in Loop: Header=BB4_6830 Depth=3
	s_delay_alu instid0(VALU_DEP_2) | instskip(SKIP_2) | instid1(VALU_DEP_2)
	v_cmp_lt_u32_e32 vcc_lo, 0xffffff, v167
	v_sub_nc_u32_e32 v146, v176, v177
	v_cndmask_b32_e64 v176, 0, 1, vcc_lo
	v_add_co_ci_u32_e32 v146, vcc_lo, 0, v146, vcc_lo
	s_delay_alu instid0(VALU_DEP_2)
	v_lshrrev_b32_e32 v167, v176, v167
; %bb.7204:                             ;   in Loop: Header=BB4_6830 Depth=3
	s_and_not1_saveexec_b32 s13, s13
; %bb.7205:                             ;   in Loop: Header=BB4_6830 Depth=3
	s_delay_alu instid0(VALU_DEP_1)
	v_bfe_u32 v146, v167, 23, 1
; %bb.7206:                             ;   in Loop: Header=BB4_6830 Depth=3
	s_or_b32 exec_lo, exec_lo, s13
	v_lshrrev_b32_e32 v167, 21, v167
	s_delay_alu instid0(VALU_DEP_2) | instskip(SKIP_2) | instid1(VALU_DEP_2)
	v_cmp_gt_i32_e32 vcc_lo, 32, v146
	v_lshrrev_b32_e32 v166, 24, v166
	v_min_i32_e32 v176, 31, v146
	v_dual_cndmask_b32 v167, 3, v167 :: v_dual_and_b32 v166, 0x80, v166
	s_delay_alu instid0(VALU_DEP_2) | instskip(NEXT) | instid1(VALU_DEP_2)
	v_lshlrev_b32_e32 v176, 2, v176
	v_or_b32_e32 v146, v146, v167
	s_delay_alu instid0(VALU_DEP_1) | instskip(SKIP_1) | instid1(VALU_DEP_1)
	v_cmp_ne_u32_e32 vcc_lo, 0, v146
	v_and_b32_e32 v177, 3, v167
	v_or3_b32 v166, v176, v166, v177
	s_delay_alu instid0(VALU_DEP_1)
	v_cndmask_b32_e32 v146, 0, v166, vcc_lo
.LBB4_7207:                             ;   in Loop: Header=BB4_6830 Depth=3
	s_or_b32 exec_lo, exec_lo, s30
.LBB4_7208:                             ;   in Loop: Header=BB4_6830 Depth=3
	s_delay_alu instid0(SALU_CYCLE_1) | instskip(SKIP_3) | instid1(VALU_DEP_1)
	s_or_b32 exec_lo, exec_lo, s17
	v_and_b32_e32 v167, 0xff, v145
	s_mov_b32 s13, 0
	s_mov_b32 s30, exec_lo
                                        ; implicit-def: $sgpr17
	v_cmpx_lt_i16_e64 0x7f, v167
	s_xor_b32 s30, exec_lo, s30
	s_cbranch_execnz .LBB4_7441
; %bb.7209:                             ;   in Loop: Header=BB4_6830 Depth=3
	s_or_saveexec_b32 s30, s30
	v_mov_b32_e32 v166, s17
	s_xor_b32 exec_lo, exec_lo, s30
	s_cbranch_execnz .LBB4_7444
.LBB4_7210:                             ;   in Loop: Header=BB4_6830 Depth=3
	s_or_b32 exec_lo, exec_lo, s30
	s_and_saveexec_b32 s17, s13
	s_cbranch_execz .LBB4_7212
.LBB4_7211:                             ;   in Loop: Header=BB4_6830 Depth=3
	v_lshrrev_b16 v177, 2, v145
	s_delay_alu instid0(VALU_DEP_1) | instskip(NEXT) | instid1(VALU_DEP_1)
	v_and_b32_e32 v177, 31, v177
	v_cmp_eq_u32_e32 vcc_lo, 0, v177
	v_and_b32_e32 v166, 3, v145
	s_delay_alu instid0(VALU_DEP_1) | instskip(NEXT) | instid1(VALU_DEP_1)
	v_clz_i32_u32_e32 v167, v166
	v_min_u32_e32 v167, 32, v167
	s_delay_alu instid0(VALU_DEP_1) | instskip(SKIP_1) | instid1(VALU_DEP_1)
	v_subrev_nc_u32_e32 v176, 29, v167
	v_sub_nc_u32_e32 v167, 30, v167
	v_dual_cndmask_b32 v167, v177, v167 :: v_dual_lshlrev_b32 v176, v176, v145
	v_lshlrev_b32_e32 v145, 24, v145
	s_delay_alu instid0(VALU_DEP_2) | instskip(NEXT) | instid1(VALU_DEP_3)
	v_and_b32_e32 v176, 3, v176
	v_lshl_add_u32 v167, v167, 23, 0x37800000
	s_delay_alu instid0(VALU_DEP_2) | instskip(NEXT) | instid1(VALU_DEP_1)
	v_dual_cndmask_b32 v166, v166, v176 :: v_dual_and_b32 v145, 0x80000000, v145
	v_lshlrev_b32_e32 v166, 21, v166
	s_delay_alu instid0(VALU_DEP_1)
	v_or3_b32 v166, v145, v167, v166
.LBB4_7212:                             ;   in Loop: Header=BB4_6830 Depth=3
	s_or_b32 exec_lo, exec_lo, s17
	s_waitcnt vmcnt(4) lgkmcnt(4)
	v_and_b32_e32 v167, 0xff, v165
	s_mov_b32 s13, 0
	s_mov_b32 s30, exec_lo
                                        ; implicit-def: $sgpr17
	s_delay_alu instid0(VALU_DEP_1)
	v_cmpx_lt_i16_e64 0x7f, v167
	s_xor_b32 s30, exec_lo, s30
	s_cbranch_execnz .LBB4_7445
; %bb.7213:                             ;   in Loop: Header=BB4_6830 Depth=3
	s_or_saveexec_b32 s30, s30
	v_mov_b32_e32 v145, s17
	s_xor_b32 exec_lo, exec_lo, s30
	s_cbranch_execnz .LBB4_7448
.LBB4_7214:                             ;   in Loop: Header=BB4_6830 Depth=3
	s_or_b32 exec_lo, exec_lo, s30
	s_and_saveexec_b32 s17, s13
	s_cbranch_execz .LBB4_7216
.LBB4_7215:                             ;   in Loop: Header=BB4_6830 Depth=3
	v_and_b32_e32 v145, 3, v165
	v_lshrrev_b16 v177, 2, v165
	s_delay_alu instid0(VALU_DEP_2) | instskip(NEXT) | instid1(VALU_DEP_2)
	v_clz_i32_u32_e32 v167, v145
	v_and_b32_e32 v177, 31, v177
	s_delay_alu instid0(VALU_DEP_2) | instskip(NEXT) | instid1(VALU_DEP_2)
	v_min_u32_e32 v167, 32, v167
	v_cmp_eq_u32_e32 vcc_lo, 0, v177
	s_delay_alu instid0(VALU_DEP_2) | instskip(SKIP_1) | instid1(VALU_DEP_1)
	v_subrev_nc_u32_e32 v176, 29, v167
	v_sub_nc_u32_e32 v167, 30, v167
	v_dual_cndmask_b32 v167, v177, v167 :: v_dual_lshlrev_b32 v176, v176, v165
	v_lshlrev_b32_e32 v165, 24, v165
	s_delay_alu instid0(VALU_DEP_2) | instskip(NEXT) | instid1(VALU_DEP_3)
	v_and_b32_e32 v176, 3, v176
	v_lshl_add_u32 v167, v167, 23, 0x37800000
	s_delay_alu instid0(VALU_DEP_3) | instskip(NEXT) | instid1(VALU_DEP_3)
	v_and_b32_e32 v165, 0x80000000, v165
	v_cndmask_b32_e32 v145, v145, v176, vcc_lo
	s_delay_alu instid0(VALU_DEP_1) | instskip(NEXT) | instid1(VALU_DEP_1)
	v_lshlrev_b32_e32 v145, 21, v145
	v_or3_b32 v145, v165, v167, v145
.LBB4_7216:                             ;   in Loop: Header=BB4_6830 Depth=3
	s_or_b32 exec_lo, exec_lo, s17
	s_delay_alu instid0(VALU_DEP_1) | instskip(NEXT) | instid1(VALU_DEP_1)
	v_add_f32_e32 v165, v166, v145
	v_and_b32_e32 v145, 0x7f800000, v165
	s_delay_alu instid0(VALU_DEP_1)
	v_cmp_ne_u32_e32 vcc_lo, 0x7f800000, v145
	v_mov_b32_e32 v145, 0x80
	s_and_saveexec_b32 s17, vcc_lo
	s_cbranch_execz .LBB4_7224
; %bb.7217:                             ;   in Loop: Header=BB4_6830 Depth=3
	v_mov_b32_e32 v145, 0
	s_mov_b32 s30, exec_lo
	v_cmpx_ne_u32_e32 0, v165
	s_cbranch_execz .LBB4_7223
; %bb.7218:                             ;   in Loop: Header=BB4_6830 Depth=3
	v_bfe_u32 v145, v165, 23, 8
	s_delay_alu instid0(VALU_DEP_1) | instskip(SKIP_1) | instid1(VALU_DEP_2)
	v_sub_nc_u32_e32 v167, 0x70, v145
	v_cmp_gt_u32_e32 vcc_lo, 0x71, v145
	v_dual_cndmask_b32 v167, 0, v167 :: v_dual_and_b32 v166, 0x7fffff, v165
	s_delay_alu instid0(VALU_DEP_1) | instskip(SKIP_2) | instid1(VALU_DEP_4)
	v_or_b32_e32 v176, 0x800000, v166
	v_cmp_eq_u32_e32 vcc_lo, 0, v145
	v_add_nc_u32_e32 v145, 0xffffff91, v145
	v_cndmask_b32_e64 v167, v167, 0x6f, vcc_lo
	s_delay_alu instid0(VALU_DEP_4) | instskip(NEXT) | instid1(VALU_DEP_3)
	v_cndmask_b32_e32 v166, v176, v166, vcc_lo
	v_cndmask_b32_e64 v145, v145, 0xffffff92, vcc_lo
	s_delay_alu instid0(VALU_DEP_3) | instskip(NEXT) | instid1(VALU_DEP_3)
	v_lshl_add_u32 v176, 0x200000, v167, -1
	v_lshrrev_b32_e32 v177, v167, v166
	v_lshlrev_b32_e64 v179, v167, 0x100000
	s_delay_alu instid0(VALU_DEP_4) | instskip(NEXT) | instid1(VALU_DEP_4)
	v_add_nc_u32_e32 v167, v167, v145
	v_and_b32_e32 v166, v176, v166
	s_delay_alu instid0(VALU_DEP_4) | instskip(NEXT) | instid1(VALU_DEP_2)
	v_bfe_u32 v178, v177, 21, 1
	v_cmp_eq_u32_e64 s13, v166, v179
	s_delay_alu instid0(VALU_DEP_2) | instskip(NEXT) | instid1(VALU_DEP_1)
	v_add_nc_u32_e32 v176, -1, v178
	v_cndmask_b32_e64 v166, 0, v176, s13
	v_lshrrev_b32_e32 v176, 23, v177
	s_mov_b32 s13, exec_lo
	s_delay_alu instid0(VALU_DEP_2) | instskip(NEXT) | instid1(VALU_DEP_2)
	v_add_nc_u32_e32 v166, v166, v177
	v_xor_b32_e32 v176, 1, v176
	s_delay_alu instid0(VALU_DEP_2) | instskip(NEXT) | instid1(VALU_DEP_1)
	v_and_b32_e32 v145, 0x1fffff, v166
	v_add_nc_u32_e32 v166, v145, v177
                                        ; implicit-def: $vgpr145
	s_delay_alu instid0(VALU_DEP_3)
	v_cmpx_ne_u32_e64 v167, v176
	s_xor_b32 s13, exec_lo, s13
; %bb.7219:                             ;   in Loop: Header=BB4_6830 Depth=3
	s_delay_alu instid0(VALU_DEP_2) | instskip(SKIP_2) | instid1(VALU_DEP_2)
	v_cmp_lt_u32_e32 vcc_lo, 0xffffff, v166
	v_sub_nc_u32_e32 v145, v167, v176
	v_cndmask_b32_e64 v167, 0, 1, vcc_lo
	v_add_co_ci_u32_e32 v145, vcc_lo, 0, v145, vcc_lo
	s_delay_alu instid0(VALU_DEP_2)
	v_lshrrev_b32_e32 v166, v167, v166
; %bb.7220:                             ;   in Loop: Header=BB4_6830 Depth=3
	s_and_not1_saveexec_b32 s13, s13
; %bb.7221:                             ;   in Loop: Header=BB4_6830 Depth=3
	s_delay_alu instid0(VALU_DEP_1)
	v_bfe_u32 v145, v166, 23, 1
; %bb.7222:                             ;   in Loop: Header=BB4_6830 Depth=3
	s_or_b32 exec_lo, exec_lo, s13
	v_lshrrev_b32_e32 v166, 21, v166
	s_delay_alu instid0(VALU_DEP_2) | instskip(SKIP_2) | instid1(VALU_DEP_2)
	v_cmp_gt_i32_e32 vcc_lo, 32, v145
	v_lshrrev_b32_e32 v165, 24, v165
	v_min_i32_e32 v167, 31, v145
	v_dual_cndmask_b32 v166, 3, v166 :: v_dual_and_b32 v165, 0x80, v165
	s_delay_alu instid0(VALU_DEP_2) | instskip(NEXT) | instid1(VALU_DEP_2)
	v_lshlrev_b32_e32 v167, 2, v167
	v_or_b32_e32 v145, v145, v166
	s_delay_alu instid0(VALU_DEP_1) | instskip(SKIP_1) | instid1(VALU_DEP_1)
	v_cmp_ne_u32_e32 vcc_lo, 0, v145
	v_and_b32_e32 v176, 3, v166
	v_or3_b32 v165, v167, v165, v176
	s_delay_alu instid0(VALU_DEP_1)
	v_cndmask_b32_e32 v145, 0, v165, vcc_lo
.LBB4_7223:                             ;   in Loop: Header=BB4_6830 Depth=3
	s_or_b32 exec_lo, exec_lo, s30
.LBB4_7224:                             ;   in Loop: Header=BB4_6830 Depth=3
	s_delay_alu instid0(SALU_CYCLE_1) | instskip(SKIP_3) | instid1(VALU_DEP_1)
	s_or_b32 exec_lo, exec_lo, s17
	v_and_b32_e32 v166, 0xff, v135
	s_mov_b32 s13, 0
	s_mov_b32 s30, exec_lo
                                        ; implicit-def: $sgpr17
	v_cmpx_lt_i16_e64 0x7f, v166
	s_xor_b32 s30, exec_lo, s30
	s_cbranch_execnz .LBB4_7449
; %bb.7225:                             ;   in Loop: Header=BB4_6830 Depth=3
	s_or_saveexec_b32 s30, s30
	v_mov_b32_e32 v165, s17
	s_xor_b32 exec_lo, exec_lo, s30
	s_cbranch_execnz .LBB4_7452
.LBB4_7226:                             ;   in Loop: Header=BB4_6830 Depth=3
	s_or_b32 exec_lo, exec_lo, s30
	s_and_saveexec_b32 s17, s13
	s_cbranch_execz .LBB4_7228
.LBB4_7227:                             ;   in Loop: Header=BB4_6830 Depth=3
	v_lshrrev_b16 v176, 2, v135
	s_delay_alu instid0(VALU_DEP_1) | instskip(NEXT) | instid1(VALU_DEP_1)
	v_and_b32_e32 v176, 31, v176
	v_cmp_eq_u32_e32 vcc_lo, 0, v176
	v_and_b32_e32 v165, 3, v135
	s_delay_alu instid0(VALU_DEP_1) | instskip(NEXT) | instid1(VALU_DEP_1)
	v_clz_i32_u32_e32 v166, v165
	v_min_u32_e32 v166, 32, v166
	s_delay_alu instid0(VALU_DEP_1) | instskip(SKIP_1) | instid1(VALU_DEP_1)
	v_subrev_nc_u32_e32 v167, 29, v166
	v_sub_nc_u32_e32 v166, 30, v166
	v_dual_cndmask_b32 v166, v176, v166 :: v_dual_lshlrev_b32 v167, v167, v135
	v_lshlrev_b32_e32 v135, 24, v135
	s_delay_alu instid0(VALU_DEP_2) | instskip(NEXT) | instid1(VALU_DEP_3)
	v_and_b32_e32 v167, 3, v167
	v_lshl_add_u32 v166, v166, 23, 0x37800000
	s_delay_alu instid0(VALU_DEP_3) | instskip(NEXT) | instid1(VALU_DEP_3)
	v_and_b32_e32 v135, 0x80000000, v135
	v_cndmask_b32_e32 v165, v165, v167, vcc_lo
	s_delay_alu instid0(VALU_DEP_1) | instskip(NEXT) | instid1(VALU_DEP_1)
	v_lshlrev_b32_e32 v165, 21, v165
	v_or3_b32 v165, v135, v166, v165
.LBB4_7228:                             ;   in Loop: Header=BB4_6830 Depth=3
	s_or_b32 exec_lo, exec_lo, s17
	s_waitcnt vmcnt(3) lgkmcnt(3)
	v_and_b32_e32 v166, 0xff, v160
	s_mov_b32 s13, 0
	s_mov_b32 s30, exec_lo
                                        ; implicit-def: $sgpr17
	s_delay_alu instid0(VALU_DEP_1)
	v_cmpx_lt_i16_e64 0x7f, v166
	s_xor_b32 s30, exec_lo, s30
	s_cbranch_execnz .LBB4_7453
; %bb.7229:                             ;   in Loop: Header=BB4_6830 Depth=3
	s_or_saveexec_b32 s30, s30
	v_mov_b32_e32 v135, s17
	s_xor_b32 exec_lo, exec_lo, s30
	s_cbranch_execnz .LBB4_7456
.LBB4_7230:                             ;   in Loop: Header=BB4_6830 Depth=3
	s_or_b32 exec_lo, exec_lo, s30
	s_and_saveexec_b32 s17, s13
	s_cbranch_execz .LBB4_7232
.LBB4_7231:                             ;   in Loop: Header=BB4_6830 Depth=3
	v_lshrrev_b16 v176, 2, v160
	s_delay_alu instid0(VALU_DEP_1) | instskip(NEXT) | instid1(VALU_DEP_1)
	v_and_b32_e32 v176, 31, v176
	v_cmp_eq_u32_e32 vcc_lo, 0, v176
	v_and_b32_e32 v135, 3, v160
	s_delay_alu instid0(VALU_DEP_1) | instskip(NEXT) | instid1(VALU_DEP_1)
	v_clz_i32_u32_e32 v166, v135
	v_min_u32_e32 v166, 32, v166
	s_delay_alu instid0(VALU_DEP_1) | instskip(SKIP_1) | instid1(VALU_DEP_1)
	v_subrev_nc_u32_e32 v167, 29, v166
	v_sub_nc_u32_e32 v166, 30, v166
	v_dual_cndmask_b32 v166, v176, v166 :: v_dual_lshlrev_b32 v167, v167, v160
	v_lshlrev_b32_e32 v160, 24, v160
	s_delay_alu instid0(VALU_DEP_2) | instskip(NEXT) | instid1(VALU_DEP_3)
	v_and_b32_e32 v167, 3, v167
	v_lshl_add_u32 v166, v166, 23, 0x37800000
	s_delay_alu instid0(VALU_DEP_2) | instskip(NEXT) | instid1(VALU_DEP_1)
	v_dual_cndmask_b32 v135, v135, v167 :: v_dual_and_b32 v160, 0x80000000, v160
	v_lshlrev_b32_e32 v135, 21, v135
	s_delay_alu instid0(VALU_DEP_1)
	v_or3_b32 v135, v160, v166, v135
.LBB4_7232:                             ;   in Loop: Header=BB4_6830 Depth=3
	s_or_b32 exec_lo, exec_lo, s17
	s_delay_alu instid0(VALU_DEP_1) | instskip(NEXT) | instid1(VALU_DEP_1)
	v_add_f32_e32 v160, v165, v135
	v_and_b32_e32 v135, 0x7f800000, v160
	s_delay_alu instid0(VALU_DEP_1)
	v_cmp_ne_u32_e32 vcc_lo, 0x7f800000, v135
	v_mov_b32_e32 v135, 0x80
	s_and_saveexec_b32 s17, vcc_lo
	s_cbranch_execz .LBB4_7240
; %bb.7233:                             ;   in Loop: Header=BB4_6830 Depth=3
	v_mov_b32_e32 v135, 0
	s_mov_b32 s30, exec_lo
	v_cmpx_ne_u32_e32 0, v160
	s_cbranch_execz .LBB4_7239
; %bb.7234:                             ;   in Loop: Header=BB4_6830 Depth=3
	v_bfe_u32 v135, v160, 23, 8
	s_delay_alu instid0(VALU_DEP_1) | instskip(SKIP_1) | instid1(VALU_DEP_2)
	v_sub_nc_u32_e32 v166, 0x70, v135
	v_cmp_gt_u32_e32 vcc_lo, 0x71, v135
	v_dual_cndmask_b32 v166, 0, v166 :: v_dual_and_b32 v165, 0x7fffff, v160
	s_delay_alu instid0(VALU_DEP_1) | instskip(SKIP_2) | instid1(VALU_DEP_4)
	v_or_b32_e32 v167, 0x800000, v165
	v_cmp_eq_u32_e32 vcc_lo, 0, v135
	v_add_nc_u32_e32 v135, 0xffffff91, v135
	v_cndmask_b32_e64 v166, v166, 0x6f, vcc_lo
	s_delay_alu instid0(VALU_DEP_2) | instskip(SKIP_1) | instid1(VALU_DEP_3)
	v_cndmask_b32_e64 v135, v135, 0xffffff92, vcc_lo
	v_cndmask_b32_e32 v165, v167, v165, vcc_lo
	v_lshl_add_u32 v167, 0x200000, v166, -1
	v_lshlrev_b32_e64 v178, v166, 0x100000
	s_delay_alu instid0(VALU_DEP_3) | instskip(SKIP_1) | instid1(VALU_DEP_4)
	v_lshrrev_b32_e32 v176, v166, v165
	v_add_nc_u32_e32 v166, v166, v135
	v_and_b32_e32 v165, v167, v165
	s_delay_alu instid0(VALU_DEP_3) | instskip(NEXT) | instid1(VALU_DEP_2)
	v_bfe_u32 v177, v176, 21, 1
	v_cmp_eq_u32_e64 s13, v165, v178
	s_delay_alu instid0(VALU_DEP_2) | instskip(NEXT) | instid1(VALU_DEP_1)
	v_add_nc_u32_e32 v167, -1, v177
	v_cndmask_b32_e64 v165, 0, v167, s13
	v_lshrrev_b32_e32 v167, 23, v176
	s_mov_b32 s13, exec_lo
	s_delay_alu instid0(VALU_DEP_2) | instskip(NEXT) | instid1(VALU_DEP_2)
	v_add_nc_u32_e32 v165, v165, v176
	v_xor_b32_e32 v167, 1, v167
	s_delay_alu instid0(VALU_DEP_2) | instskip(NEXT) | instid1(VALU_DEP_1)
	v_and_b32_e32 v135, 0x1fffff, v165
	v_add_nc_u32_e32 v165, v135, v176
                                        ; implicit-def: $vgpr135
	s_delay_alu instid0(VALU_DEP_3)
	v_cmpx_ne_u32_e64 v166, v167
	s_xor_b32 s13, exec_lo, s13
; %bb.7235:                             ;   in Loop: Header=BB4_6830 Depth=3
	s_delay_alu instid0(VALU_DEP_2) | instskip(SKIP_2) | instid1(VALU_DEP_2)
	v_cmp_lt_u32_e32 vcc_lo, 0xffffff, v165
	v_sub_nc_u32_e32 v135, v166, v167
	v_cndmask_b32_e64 v166, 0, 1, vcc_lo
	v_add_co_ci_u32_e32 v135, vcc_lo, 0, v135, vcc_lo
	s_delay_alu instid0(VALU_DEP_2)
	v_lshrrev_b32_e32 v165, v166, v165
; %bb.7236:                             ;   in Loop: Header=BB4_6830 Depth=3
	s_and_not1_saveexec_b32 s13, s13
; %bb.7237:                             ;   in Loop: Header=BB4_6830 Depth=3
	s_delay_alu instid0(VALU_DEP_1)
	v_bfe_u32 v135, v165, 23, 1
; %bb.7238:                             ;   in Loop: Header=BB4_6830 Depth=3
	s_or_b32 exec_lo, exec_lo, s13
	v_lshrrev_b32_e32 v165, 21, v165
	s_delay_alu instid0(VALU_DEP_2) | instskip(SKIP_2) | instid1(VALU_DEP_2)
	v_cmp_gt_i32_e32 vcc_lo, 32, v135
	v_lshrrev_b32_e32 v160, 24, v160
	v_min_i32_e32 v166, 31, v135
	v_dual_cndmask_b32 v165, 3, v165 :: v_dual_and_b32 v160, 0x80, v160
	s_delay_alu instid0(VALU_DEP_1) | instskip(SKIP_1) | instid1(VALU_DEP_2)
	v_or_b32_e32 v135, v135, v165
	v_and_b32_e32 v167, 3, v165
	v_cmp_ne_u32_e32 vcc_lo, 0, v135
	v_lshlrev_b32_e32 v166, 2, v166
	s_delay_alu instid0(VALU_DEP_1) | instskip(NEXT) | instid1(VALU_DEP_1)
	v_or3_b32 v160, v166, v160, v167
	v_cndmask_b32_e32 v135, 0, v160, vcc_lo
.LBB4_7239:                             ;   in Loop: Header=BB4_6830 Depth=3
	s_or_b32 exec_lo, exec_lo, s30
.LBB4_7240:                             ;   in Loop: Header=BB4_6830 Depth=3
	s_delay_alu instid0(SALU_CYCLE_1) | instskip(SKIP_3) | instid1(VALU_DEP_1)
	s_or_b32 exec_lo, exec_lo, s17
	v_and_b32_e32 v165, 0xff, v133
	s_mov_b32 s13, 0
	s_mov_b32 s30, exec_lo
                                        ; implicit-def: $sgpr17
	v_cmpx_lt_i16_e64 0x7f, v165
	s_xor_b32 s30, exec_lo, s30
	s_cbranch_execnz .LBB4_7457
; %bb.7241:                             ;   in Loop: Header=BB4_6830 Depth=3
	s_or_saveexec_b32 s30, s30
	v_mov_b32_e32 v160, s17
	s_xor_b32 exec_lo, exec_lo, s30
	s_cbranch_execnz .LBB4_7460
.LBB4_7242:                             ;   in Loop: Header=BB4_6830 Depth=3
	s_or_b32 exec_lo, exec_lo, s30
	s_and_saveexec_b32 s17, s13
	s_cbranch_execz .LBB4_7244
.LBB4_7243:                             ;   in Loop: Header=BB4_6830 Depth=3
	v_and_b32_e32 v160, 3, v133
	v_lshrrev_b16 v167, 2, v133
	s_delay_alu instid0(VALU_DEP_2) | instskip(NEXT) | instid1(VALU_DEP_1)
	v_clz_i32_u32_e32 v165, v160
	v_min_u32_e32 v165, 32, v165
	s_delay_alu instid0(VALU_DEP_1) | instskip(SKIP_1) | instid1(VALU_DEP_2)
	v_subrev_nc_u32_e32 v166, 29, v165
	v_sub_nc_u32_e32 v165, 30, v165
	v_lshlrev_b32_e32 v166, v166, v133
	v_lshlrev_b32_e32 v133, 24, v133
	s_delay_alu instid0(VALU_DEP_2) | instskip(SKIP_1) | instid1(VALU_DEP_3)
	v_and_b32_e32 v166, 3, v166
	v_and_b32_e32 v167, 31, v167
	;; [unrolled: 1-line block ×3, first 2 shown]
	s_delay_alu instid0(VALU_DEP_2) | instskip(NEXT) | instid1(VALU_DEP_4)
	v_cmp_eq_u32_e32 vcc_lo, 0, v167
	v_dual_cndmask_b32 v160, v160, v166 :: v_dual_cndmask_b32 v165, v167, v165
	s_delay_alu instid0(VALU_DEP_1) | instskip(NEXT) | instid1(VALU_DEP_2)
	v_lshlrev_b32_e32 v160, 21, v160
	v_lshl_add_u32 v165, v165, 23, 0x37800000
	s_delay_alu instid0(VALU_DEP_1)
	v_or3_b32 v160, v133, v165, v160
.LBB4_7244:                             ;   in Loop: Header=BB4_6830 Depth=3
	s_or_b32 exec_lo, exec_lo, s17
	s_waitcnt vmcnt(2) lgkmcnt(2)
	v_and_b32_e32 v165, 0xff, v147
	s_mov_b32 s13, 0
	s_mov_b32 s30, exec_lo
                                        ; implicit-def: $sgpr17
	s_delay_alu instid0(VALU_DEP_1)
	v_cmpx_lt_i16_e64 0x7f, v165
	s_xor_b32 s30, exec_lo, s30
	s_cbranch_execnz .LBB4_7461
; %bb.7245:                             ;   in Loop: Header=BB4_6830 Depth=3
	s_or_saveexec_b32 s30, s30
	v_mov_b32_e32 v133, s17
	s_xor_b32 exec_lo, exec_lo, s30
	s_cbranch_execnz .LBB4_7464
.LBB4_7246:                             ;   in Loop: Header=BB4_6830 Depth=3
	s_or_b32 exec_lo, exec_lo, s30
	s_and_saveexec_b32 s17, s13
	s_cbranch_execz .LBB4_7248
.LBB4_7247:                             ;   in Loop: Header=BB4_6830 Depth=3
	v_and_b32_e32 v133, 3, v147
	v_lshrrev_b16 v167, 2, v147
	s_delay_alu instid0(VALU_DEP_2) | instskip(NEXT) | instid1(VALU_DEP_2)
	v_clz_i32_u32_e32 v165, v133
	v_and_b32_e32 v167, 31, v167
	s_delay_alu instid0(VALU_DEP_2) | instskip(NEXT) | instid1(VALU_DEP_2)
	v_min_u32_e32 v165, 32, v165
	v_cmp_eq_u32_e32 vcc_lo, 0, v167
	s_delay_alu instid0(VALU_DEP_2) | instskip(SKIP_1) | instid1(VALU_DEP_1)
	v_subrev_nc_u32_e32 v166, 29, v165
	v_sub_nc_u32_e32 v165, 30, v165
	v_dual_cndmask_b32 v165, v167, v165 :: v_dual_lshlrev_b32 v166, v166, v147
	v_lshlrev_b32_e32 v147, 24, v147
	s_delay_alu instid0(VALU_DEP_2) | instskip(NEXT) | instid1(VALU_DEP_3)
	v_and_b32_e32 v166, 3, v166
	v_lshl_add_u32 v165, v165, 23, 0x37800000
	s_delay_alu instid0(VALU_DEP_3) | instskip(NEXT) | instid1(VALU_DEP_3)
	v_and_b32_e32 v147, 0x80000000, v147
	v_cndmask_b32_e32 v133, v133, v166, vcc_lo
	s_delay_alu instid0(VALU_DEP_1) | instskip(NEXT) | instid1(VALU_DEP_1)
	v_lshlrev_b32_e32 v133, 21, v133
	v_or3_b32 v133, v147, v165, v133
.LBB4_7248:                             ;   in Loop: Header=BB4_6830 Depth=3
	s_or_b32 exec_lo, exec_lo, s17
	s_delay_alu instid0(VALU_DEP_1) | instskip(NEXT) | instid1(VALU_DEP_1)
	v_add_f32_e32 v147, v160, v133
	v_and_b32_e32 v133, 0x7f800000, v147
	s_delay_alu instid0(VALU_DEP_1)
	v_cmp_ne_u32_e32 vcc_lo, 0x7f800000, v133
	v_mov_b32_e32 v133, 0x80
	s_and_saveexec_b32 s17, vcc_lo
	s_cbranch_execz .LBB4_7256
; %bb.7249:                             ;   in Loop: Header=BB4_6830 Depth=3
	v_mov_b32_e32 v133, 0
	s_mov_b32 s30, exec_lo
	v_cmpx_ne_u32_e32 0, v147
	s_cbranch_execz .LBB4_7255
; %bb.7250:                             ;   in Loop: Header=BB4_6830 Depth=3
	v_bfe_u32 v133, v147, 23, 8
	s_delay_alu instid0(VALU_DEP_1) | instskip(SKIP_1) | instid1(VALU_DEP_2)
	v_sub_nc_u32_e32 v165, 0x70, v133
	v_cmp_gt_u32_e32 vcc_lo, 0x71, v133
	v_dual_cndmask_b32 v165, 0, v165 :: v_dual_and_b32 v160, 0x7fffff, v147
	s_delay_alu instid0(VALU_DEP_1) | instskip(SKIP_2) | instid1(VALU_DEP_4)
	v_or_b32_e32 v166, 0x800000, v160
	v_cmp_eq_u32_e32 vcc_lo, 0, v133
	v_add_nc_u32_e32 v133, 0xffffff91, v133
	v_cndmask_b32_e64 v165, v165, 0x6f, vcc_lo
	s_delay_alu instid0(VALU_DEP_4) | instskip(NEXT) | instid1(VALU_DEP_3)
	v_cndmask_b32_e32 v160, v166, v160, vcc_lo
	v_cndmask_b32_e64 v133, v133, 0xffffff92, vcc_lo
	s_delay_alu instid0(VALU_DEP_3) | instskip(NEXT) | instid1(VALU_DEP_3)
	v_lshl_add_u32 v166, 0x200000, v165, -1
	v_lshrrev_b32_e32 v167, v165, v160
	v_lshlrev_b32_e64 v177, v165, 0x100000
	s_delay_alu instid0(VALU_DEP_4) | instskip(NEXT) | instid1(VALU_DEP_4)
	v_add_nc_u32_e32 v165, v165, v133
	v_and_b32_e32 v160, v166, v160
	s_delay_alu instid0(VALU_DEP_4) | instskip(NEXT) | instid1(VALU_DEP_2)
	v_bfe_u32 v176, v167, 21, 1
	v_cmp_eq_u32_e64 s13, v160, v177
	s_delay_alu instid0(VALU_DEP_2) | instskip(NEXT) | instid1(VALU_DEP_1)
	v_add_nc_u32_e32 v166, -1, v176
	v_cndmask_b32_e64 v160, 0, v166, s13
	v_lshrrev_b32_e32 v166, 23, v167
	s_mov_b32 s13, exec_lo
	s_delay_alu instid0(VALU_DEP_2) | instskip(NEXT) | instid1(VALU_DEP_2)
	v_add_nc_u32_e32 v160, v160, v167
	v_xor_b32_e32 v166, 1, v166
	s_delay_alu instid0(VALU_DEP_2) | instskip(NEXT) | instid1(VALU_DEP_1)
	v_and_b32_e32 v133, 0x1fffff, v160
	v_add_nc_u32_e32 v160, v133, v167
                                        ; implicit-def: $vgpr133
	s_delay_alu instid0(VALU_DEP_3)
	v_cmpx_ne_u32_e64 v165, v166
	s_xor_b32 s13, exec_lo, s13
; %bb.7251:                             ;   in Loop: Header=BB4_6830 Depth=3
	s_delay_alu instid0(VALU_DEP_2) | instskip(SKIP_2) | instid1(VALU_DEP_2)
	v_cmp_lt_u32_e32 vcc_lo, 0xffffff, v160
	v_sub_nc_u32_e32 v133, v165, v166
	v_cndmask_b32_e64 v165, 0, 1, vcc_lo
	v_add_co_ci_u32_e32 v133, vcc_lo, 0, v133, vcc_lo
	s_delay_alu instid0(VALU_DEP_2)
	v_lshrrev_b32_e32 v160, v165, v160
; %bb.7252:                             ;   in Loop: Header=BB4_6830 Depth=3
	s_and_not1_saveexec_b32 s13, s13
; %bb.7253:                             ;   in Loop: Header=BB4_6830 Depth=3
	s_delay_alu instid0(VALU_DEP_1)
	v_bfe_u32 v133, v160, 23, 1
; %bb.7254:                             ;   in Loop: Header=BB4_6830 Depth=3
	s_or_b32 exec_lo, exec_lo, s13
	v_lshrrev_b32_e32 v160, 21, v160
	s_delay_alu instid0(VALU_DEP_2) | instskip(SKIP_2) | instid1(VALU_DEP_2)
	v_cmp_gt_i32_e32 vcc_lo, 32, v133
	v_lshrrev_b32_e32 v147, 24, v147
	v_min_i32_e32 v165, 31, v133
	v_dual_cndmask_b32 v160, 3, v160 :: v_dual_and_b32 v147, 0x80, v147
	s_delay_alu instid0(VALU_DEP_2) | instskip(NEXT) | instid1(VALU_DEP_2)
	v_lshlrev_b32_e32 v165, 2, v165
	v_or_b32_e32 v133, v133, v160
	s_delay_alu instid0(VALU_DEP_1) | instskip(SKIP_1) | instid1(VALU_DEP_1)
	v_cmp_ne_u32_e32 vcc_lo, 0, v133
	v_and_b32_e32 v166, 3, v160
	v_or3_b32 v147, v165, v147, v166
	s_delay_alu instid0(VALU_DEP_1)
	v_cndmask_b32_e32 v133, 0, v147, vcc_lo
.LBB4_7255:                             ;   in Loop: Header=BB4_6830 Depth=3
	s_or_b32 exec_lo, exec_lo, s30
.LBB4_7256:                             ;   in Loop: Header=BB4_6830 Depth=3
	s_delay_alu instid0(SALU_CYCLE_1) | instskip(SKIP_3) | instid1(VALU_DEP_1)
	s_or_b32 exec_lo, exec_lo, s17
	v_and_b32_e32 v160, 0xff, v69
	s_mov_b32 s13, 0
	s_mov_b32 s30, exec_lo
                                        ; implicit-def: $sgpr17
	v_cmpx_lt_i16_e64 0x7f, v160
	s_xor_b32 s30, exec_lo, s30
	s_cbranch_execnz .LBB4_7465
; %bb.7257:                             ;   in Loop: Header=BB4_6830 Depth=3
	s_or_saveexec_b32 s30, s30
	v_mov_b32_e32 v147, s17
	s_xor_b32 exec_lo, exec_lo, s30
	s_cbranch_execnz .LBB4_7468
.LBB4_7258:                             ;   in Loop: Header=BB4_6830 Depth=3
	s_or_b32 exec_lo, exec_lo, s30
	s_and_saveexec_b32 s17, s13
	s_cbranch_execz .LBB4_7260
.LBB4_7259:                             ;   in Loop: Header=BB4_6830 Depth=3
	v_lshrrev_b16 v166, 2, v69
	s_delay_alu instid0(VALU_DEP_1) | instskip(NEXT) | instid1(VALU_DEP_1)
	v_and_b32_e32 v166, 31, v166
	v_cmp_eq_u32_e32 vcc_lo, 0, v166
	v_and_b32_e32 v147, 3, v69
	s_delay_alu instid0(VALU_DEP_1) | instskip(NEXT) | instid1(VALU_DEP_1)
	v_clz_i32_u32_e32 v160, v147
	v_min_u32_e32 v160, 32, v160
	s_delay_alu instid0(VALU_DEP_1) | instskip(SKIP_1) | instid1(VALU_DEP_1)
	v_subrev_nc_u32_e32 v165, 29, v160
	v_sub_nc_u32_e32 v160, 30, v160
	v_dual_cndmask_b32 v160, v166, v160 :: v_dual_lshlrev_b32 v165, v165, v69
	v_lshlrev_b32_e32 v69, 24, v69
	s_delay_alu instid0(VALU_DEP_2) | instskip(NEXT) | instid1(VALU_DEP_3)
	v_and_b32_e32 v165, 3, v165
	v_lshl_add_u32 v160, v160, 23, 0x37800000
	s_delay_alu instid0(VALU_DEP_3) | instskip(NEXT) | instid1(VALU_DEP_3)
	v_and_b32_e32 v69, 0x80000000, v69
	v_cndmask_b32_e32 v147, v147, v165, vcc_lo
	s_delay_alu instid0(VALU_DEP_1) | instskip(NEXT) | instid1(VALU_DEP_1)
	v_lshlrev_b32_e32 v147, 21, v147
	v_or3_b32 v147, v69, v160, v147
.LBB4_7260:                             ;   in Loop: Header=BB4_6830 Depth=3
	s_or_b32 exec_lo, exec_lo, s17
	s_waitcnt vmcnt(1) lgkmcnt(1)
	v_and_b32_e32 v160, 0xff, v134
	s_mov_b32 s13, 0
	s_mov_b32 s30, exec_lo
                                        ; implicit-def: $sgpr17
	s_delay_alu instid0(VALU_DEP_1)
	v_cmpx_lt_i16_e64 0x7f, v160
	s_xor_b32 s30, exec_lo, s30
	s_cbranch_execnz .LBB4_7469
; %bb.7261:                             ;   in Loop: Header=BB4_6830 Depth=3
	s_or_saveexec_b32 s30, s30
	v_mov_b32_e32 v69, s17
	s_xor_b32 exec_lo, exec_lo, s30
	s_cbranch_execnz .LBB4_7472
.LBB4_7262:                             ;   in Loop: Header=BB4_6830 Depth=3
	s_or_b32 exec_lo, exec_lo, s30
	s_and_saveexec_b32 s17, s13
	s_cbranch_execz .LBB4_7264
.LBB4_7263:                             ;   in Loop: Header=BB4_6830 Depth=3
	v_lshrrev_b16 v166, 2, v134
	s_delay_alu instid0(VALU_DEP_1) | instskip(NEXT) | instid1(VALU_DEP_1)
	v_and_b32_e32 v166, 31, v166
	v_cmp_eq_u32_e32 vcc_lo, 0, v166
	v_and_b32_e32 v69, 3, v134
	s_delay_alu instid0(VALU_DEP_1) | instskip(NEXT) | instid1(VALU_DEP_1)
	v_clz_i32_u32_e32 v160, v69
	v_min_u32_e32 v160, 32, v160
	s_delay_alu instid0(VALU_DEP_1) | instskip(SKIP_1) | instid1(VALU_DEP_1)
	v_subrev_nc_u32_e32 v165, 29, v160
	v_sub_nc_u32_e32 v160, 30, v160
	v_dual_cndmask_b32 v160, v166, v160 :: v_dual_lshlrev_b32 v165, v165, v134
	v_lshlrev_b32_e32 v134, 24, v134
	s_delay_alu instid0(VALU_DEP_2) | instskip(NEXT) | instid1(VALU_DEP_3)
	v_and_b32_e32 v165, 3, v165
	v_lshl_add_u32 v160, v160, 23, 0x37800000
	s_delay_alu instid0(VALU_DEP_2) | instskip(NEXT) | instid1(VALU_DEP_1)
	v_dual_cndmask_b32 v69, v69, v165 :: v_dual_and_b32 v134, 0x80000000, v134
	v_lshlrev_b32_e32 v69, 21, v69
	s_delay_alu instid0(VALU_DEP_1)
	v_or3_b32 v69, v134, v160, v69
.LBB4_7264:                             ;   in Loop: Header=BB4_6830 Depth=3
	s_or_b32 exec_lo, exec_lo, s17
	s_delay_alu instid0(VALU_DEP_1) | instskip(NEXT) | instid1(VALU_DEP_1)
	v_add_f32_e32 v134, v147, v69
	v_and_b32_e32 v69, 0x7f800000, v134
	s_delay_alu instid0(VALU_DEP_1)
	v_cmp_ne_u32_e32 vcc_lo, 0x7f800000, v69
	v_mov_b32_e32 v69, 0x80
	s_and_saveexec_b32 s17, vcc_lo
	s_cbranch_execz .LBB4_7272
; %bb.7265:                             ;   in Loop: Header=BB4_6830 Depth=3
	v_mov_b32_e32 v69, 0
	s_mov_b32 s30, exec_lo
	v_cmpx_ne_u32_e32 0, v134
	s_cbranch_execz .LBB4_7271
; %bb.7266:                             ;   in Loop: Header=BB4_6830 Depth=3
	v_bfe_u32 v69, v134, 23, 8
	s_delay_alu instid0(VALU_DEP_1) | instskip(SKIP_1) | instid1(VALU_DEP_2)
	v_sub_nc_u32_e32 v160, 0x70, v69
	v_cmp_gt_u32_e32 vcc_lo, 0x71, v69
	v_dual_cndmask_b32 v160, 0, v160 :: v_dual_and_b32 v147, 0x7fffff, v134
	s_delay_alu instid0(VALU_DEP_1) | instskip(SKIP_2) | instid1(VALU_DEP_4)
	v_or_b32_e32 v165, 0x800000, v147
	v_cmp_eq_u32_e32 vcc_lo, 0, v69
	v_add_nc_u32_e32 v69, 0xffffff91, v69
	v_cndmask_b32_e64 v160, v160, 0x6f, vcc_lo
	s_delay_alu instid0(VALU_DEP_2) | instskip(SKIP_1) | instid1(VALU_DEP_3)
	v_cndmask_b32_e64 v69, v69, 0xffffff92, vcc_lo
	v_cndmask_b32_e32 v147, v165, v147, vcc_lo
	v_lshl_add_u32 v165, 0x200000, v160, -1
	v_lshlrev_b32_e64 v176, v160, 0x100000
	s_delay_alu instid0(VALU_DEP_3) | instskip(SKIP_1) | instid1(VALU_DEP_4)
	v_lshrrev_b32_e32 v166, v160, v147
	v_add_nc_u32_e32 v160, v160, v69
	v_and_b32_e32 v147, v165, v147
	s_delay_alu instid0(VALU_DEP_3) | instskip(NEXT) | instid1(VALU_DEP_2)
	v_bfe_u32 v167, v166, 21, 1
	v_cmp_eq_u32_e64 s13, v147, v176
	s_delay_alu instid0(VALU_DEP_2) | instskip(NEXT) | instid1(VALU_DEP_1)
	v_add_nc_u32_e32 v165, -1, v167
	v_cndmask_b32_e64 v147, 0, v165, s13
	v_lshrrev_b32_e32 v165, 23, v166
	s_mov_b32 s13, exec_lo
	s_delay_alu instid0(VALU_DEP_2) | instskip(NEXT) | instid1(VALU_DEP_2)
	v_add_nc_u32_e32 v147, v147, v166
	v_xor_b32_e32 v165, 1, v165
	s_delay_alu instid0(VALU_DEP_2) | instskip(NEXT) | instid1(VALU_DEP_1)
	v_and_b32_e32 v69, 0x1fffff, v147
	v_add_nc_u32_e32 v147, v69, v166
                                        ; implicit-def: $vgpr69
	s_delay_alu instid0(VALU_DEP_3)
	v_cmpx_ne_u32_e64 v160, v165
	s_xor_b32 s13, exec_lo, s13
; %bb.7267:                             ;   in Loop: Header=BB4_6830 Depth=3
	s_delay_alu instid0(VALU_DEP_2) | instskip(SKIP_2) | instid1(VALU_DEP_2)
	v_cmp_lt_u32_e32 vcc_lo, 0xffffff, v147
	v_sub_nc_u32_e32 v69, v160, v165
	v_cndmask_b32_e64 v160, 0, 1, vcc_lo
	v_add_co_ci_u32_e32 v69, vcc_lo, 0, v69, vcc_lo
	s_delay_alu instid0(VALU_DEP_2)
	v_lshrrev_b32_e32 v147, v160, v147
; %bb.7268:                             ;   in Loop: Header=BB4_6830 Depth=3
	s_and_not1_saveexec_b32 s13, s13
; %bb.7269:                             ;   in Loop: Header=BB4_6830 Depth=3
	s_delay_alu instid0(VALU_DEP_1)
	v_bfe_u32 v69, v147, 23, 1
; %bb.7270:                             ;   in Loop: Header=BB4_6830 Depth=3
	s_or_b32 exec_lo, exec_lo, s13
	v_lshrrev_b32_e32 v147, 21, v147
	s_delay_alu instid0(VALU_DEP_2) | instskip(SKIP_2) | instid1(VALU_DEP_2)
	v_cmp_gt_i32_e32 vcc_lo, 32, v69
	v_lshrrev_b32_e32 v134, 24, v134
	v_min_i32_e32 v160, 31, v69
	v_dual_cndmask_b32 v147, 3, v147 :: v_dual_and_b32 v134, 0x80, v134
	s_delay_alu instid0(VALU_DEP_1) | instskip(SKIP_1) | instid1(VALU_DEP_2)
	v_or_b32_e32 v69, v69, v147
	v_and_b32_e32 v165, 3, v147
	v_cmp_ne_u32_e32 vcc_lo, 0, v69
	v_lshlrev_b32_e32 v160, 2, v160
	s_delay_alu instid0(VALU_DEP_1) | instskip(NEXT) | instid1(VALU_DEP_1)
	v_or3_b32 v134, v160, v134, v165
	v_cndmask_b32_e32 v69, 0, v134, vcc_lo
.LBB4_7271:                             ;   in Loop: Header=BB4_6830 Depth=3
	s_or_b32 exec_lo, exec_lo, s30
.LBB4_7272:                             ;   in Loop: Header=BB4_6830 Depth=3
	s_delay_alu instid0(SALU_CYCLE_1) | instskip(SKIP_3) | instid1(VALU_DEP_1)
	s_or_b32 exec_lo, exec_lo, s17
	v_and_b32_e32 v147, 0xff, v54
	s_mov_b32 s13, 0
	s_mov_b32 s30, exec_lo
                                        ; implicit-def: $sgpr17
	v_cmpx_lt_i16_e64 0x7f, v147
	s_xor_b32 s30, exec_lo, s30
	s_cbranch_execnz .LBB4_7473
; %bb.7273:                             ;   in Loop: Header=BB4_6830 Depth=3
	s_or_saveexec_b32 s30, s30
	v_mov_b32_e32 v134, s17
	s_xor_b32 exec_lo, exec_lo, s30
	s_cbranch_execnz .LBB4_7476
.LBB4_7274:                             ;   in Loop: Header=BB4_6830 Depth=3
	s_or_b32 exec_lo, exec_lo, s30
	s_and_saveexec_b32 s17, s13
	s_cbranch_execz .LBB4_7276
.LBB4_7275:                             ;   in Loop: Header=BB4_6830 Depth=3
	v_lshrrev_b16 v165, 2, v54
	s_delay_alu instid0(VALU_DEP_1) | instskip(NEXT) | instid1(VALU_DEP_1)
	v_and_b32_e32 v165, 31, v165
	v_cmp_eq_u32_e32 vcc_lo, 0, v165
	v_and_b32_e32 v134, 3, v54
	s_delay_alu instid0(VALU_DEP_1) | instskip(NEXT) | instid1(VALU_DEP_1)
	v_clz_i32_u32_e32 v147, v134
	v_min_u32_e32 v147, 32, v147
	s_delay_alu instid0(VALU_DEP_1) | instskip(SKIP_1) | instid1(VALU_DEP_1)
	v_subrev_nc_u32_e32 v160, 29, v147
	v_sub_nc_u32_e32 v147, 30, v147
	v_dual_cndmask_b32 v147, v165, v147 :: v_dual_lshlrev_b32 v160, v160, v54
	v_lshlrev_b32_e32 v54, 24, v54
	s_delay_alu instid0(VALU_DEP_2) | instskip(NEXT) | instid1(VALU_DEP_3)
	v_and_b32_e32 v160, 3, v160
	v_lshl_add_u32 v147, v147, 23, 0x37800000
	s_delay_alu instid0(VALU_DEP_3) | instskip(NEXT) | instid1(VALU_DEP_3)
	v_and_b32_e32 v54, 0x80000000, v54
	v_cndmask_b32_e32 v134, v134, v160, vcc_lo
	s_delay_alu instid0(VALU_DEP_1) | instskip(NEXT) | instid1(VALU_DEP_1)
	v_lshlrev_b32_e32 v134, 21, v134
	v_or3_b32 v134, v54, v147, v134
.LBB4_7276:                             ;   in Loop: Header=BB4_6830 Depth=3
	s_or_b32 exec_lo, exec_lo, s17
	s_waitcnt vmcnt(0) lgkmcnt(0)
	v_and_b32_e32 v147, 0xff, v53
	s_mov_b32 s13, 0
	s_mov_b32 s30, exec_lo
                                        ; implicit-def: $sgpr17
	s_delay_alu instid0(VALU_DEP_1)
	v_cmpx_lt_i16_e64 0x7f, v147
	s_xor_b32 s30, exec_lo, s30
	s_cbranch_execnz .LBB4_7477
; %bb.7277:                             ;   in Loop: Header=BB4_6830 Depth=3
	s_or_saveexec_b32 s30, s30
	v_mov_b32_e32 v54, s17
	s_xor_b32 exec_lo, exec_lo, s30
	s_cbranch_execnz .LBB4_7480
.LBB4_7278:                             ;   in Loop: Header=BB4_6830 Depth=3
	s_or_b32 exec_lo, exec_lo, s30
	s_and_saveexec_b32 s17, s13
	s_cbranch_execz .LBB4_7280
.LBB4_7279:                             ;   in Loop: Header=BB4_6830 Depth=3
	v_lshrrev_b16 v165, 2, v53
	s_delay_alu instid0(VALU_DEP_1) | instskip(NEXT) | instid1(VALU_DEP_1)
	v_and_b32_e32 v165, 31, v165
	v_cmp_eq_u32_e32 vcc_lo, 0, v165
	v_and_b32_e32 v54, 3, v53
	s_delay_alu instid0(VALU_DEP_1) | instskip(NEXT) | instid1(VALU_DEP_1)
	v_clz_i32_u32_e32 v147, v54
	v_min_u32_e32 v147, 32, v147
	s_delay_alu instid0(VALU_DEP_1) | instskip(SKIP_1) | instid1(VALU_DEP_1)
	v_subrev_nc_u32_e32 v160, 29, v147
	v_sub_nc_u32_e32 v147, 30, v147
	v_dual_cndmask_b32 v147, v165, v147 :: v_dual_lshlrev_b32 v160, v160, v53
	v_lshlrev_b32_e32 v53, 24, v53
	s_delay_alu instid0(VALU_DEP_2) | instskip(NEXT) | instid1(VALU_DEP_3)
	v_and_b32_e32 v160, 3, v160
	v_lshl_add_u32 v147, v147, 23, 0x37800000
	s_delay_alu instid0(VALU_DEP_2) | instskip(NEXT) | instid1(VALU_DEP_1)
	v_dual_cndmask_b32 v54, v54, v160 :: v_dual_and_b32 v53, 0x80000000, v53
	v_lshlrev_b32_e32 v54, 21, v54
	s_delay_alu instid0(VALU_DEP_1)
	v_or3_b32 v54, v53, v147, v54
.LBB4_7280:                             ;   in Loop: Header=BB4_6830 Depth=3
	s_or_b32 exec_lo, exec_lo, s17
	s_delay_alu instid0(VALU_DEP_1) | instskip(NEXT) | instid1(VALU_DEP_1)
	v_add_f32_e32 v53, v134, v54
	v_and_b32_e32 v54, 0x7f800000, v53
	s_delay_alu instid0(VALU_DEP_1)
	v_cmp_ne_u32_e32 vcc_lo, 0x7f800000, v54
	v_mov_b32_e32 v54, 0x80
	s_and_saveexec_b32 s17, vcc_lo
	s_cbranch_execz .LBB4_7288
; %bb.7281:                             ;   in Loop: Header=BB4_6830 Depth=3
	v_mov_b32_e32 v54, 0
	s_mov_b32 s30, exec_lo
	v_cmpx_ne_u32_e32 0, v53
	s_cbranch_execz .LBB4_7287
; %bb.7282:                             ;   in Loop: Header=BB4_6830 Depth=3
	v_bfe_u32 v54, v53, 23, 8
	s_delay_alu instid0(VALU_DEP_1) | instskip(SKIP_1) | instid1(VALU_DEP_2)
	v_sub_nc_u32_e32 v147, 0x70, v54
	v_cmp_gt_u32_e32 vcc_lo, 0x71, v54
	v_dual_cndmask_b32 v147, 0, v147 :: v_dual_and_b32 v134, 0x7fffff, v53
	s_delay_alu instid0(VALU_DEP_1) | instskip(SKIP_2) | instid1(VALU_DEP_4)
	v_or_b32_e32 v160, 0x800000, v134
	v_cmp_eq_u32_e32 vcc_lo, 0, v54
	v_add_nc_u32_e32 v54, 0xffffff91, v54
	v_cndmask_b32_e64 v147, v147, 0x6f, vcc_lo
	s_delay_alu instid0(VALU_DEP_4) | instskip(NEXT) | instid1(VALU_DEP_3)
	v_cndmask_b32_e32 v134, v160, v134, vcc_lo
	v_cndmask_b32_e64 v54, v54, 0xffffff92, vcc_lo
	s_delay_alu instid0(VALU_DEP_3) | instskip(NEXT) | instid1(VALU_DEP_3)
	v_lshl_add_u32 v160, 0x200000, v147, -1
	v_lshrrev_b32_e32 v165, v147, v134
	v_lshlrev_b32_e64 v167, v147, 0x100000
	s_delay_alu instid0(VALU_DEP_4) | instskip(NEXT) | instid1(VALU_DEP_4)
	v_add_nc_u32_e32 v147, v147, v54
	v_and_b32_e32 v134, v160, v134
	s_delay_alu instid0(VALU_DEP_4) | instskip(NEXT) | instid1(VALU_DEP_2)
	v_bfe_u32 v166, v165, 21, 1
	v_cmp_eq_u32_e64 s13, v134, v167
	s_delay_alu instid0(VALU_DEP_2) | instskip(NEXT) | instid1(VALU_DEP_1)
	v_add_nc_u32_e32 v160, -1, v166
	v_cndmask_b32_e64 v134, 0, v160, s13
	v_lshrrev_b32_e32 v160, 23, v165
	s_mov_b32 s13, exec_lo
	s_delay_alu instid0(VALU_DEP_2) | instskip(NEXT) | instid1(VALU_DEP_2)
	v_add_nc_u32_e32 v134, v134, v165
	v_xor_b32_e32 v160, 1, v160
	s_delay_alu instid0(VALU_DEP_2) | instskip(NEXT) | instid1(VALU_DEP_1)
	v_and_b32_e32 v54, 0x1fffff, v134
	v_add_nc_u32_e32 v134, v54, v165
                                        ; implicit-def: $vgpr54
	s_delay_alu instid0(VALU_DEP_3)
	v_cmpx_ne_u32_e64 v147, v160
	s_xor_b32 s13, exec_lo, s13
; %bb.7283:                             ;   in Loop: Header=BB4_6830 Depth=3
	s_delay_alu instid0(VALU_DEP_2) | instskip(SKIP_2) | instid1(VALU_DEP_2)
	v_cmp_lt_u32_e32 vcc_lo, 0xffffff, v134
	v_sub_nc_u32_e32 v54, v147, v160
	v_cndmask_b32_e64 v147, 0, 1, vcc_lo
	v_add_co_ci_u32_e32 v54, vcc_lo, 0, v54, vcc_lo
	s_delay_alu instid0(VALU_DEP_2)
	v_lshrrev_b32_e32 v134, v147, v134
; %bb.7284:                             ;   in Loop: Header=BB4_6830 Depth=3
	s_and_not1_saveexec_b32 s13, s13
; %bb.7285:                             ;   in Loop: Header=BB4_6830 Depth=3
	s_delay_alu instid0(VALU_DEP_1)
	v_bfe_u32 v54, v134, 23, 1
; %bb.7286:                             ;   in Loop: Header=BB4_6830 Depth=3
	s_or_b32 exec_lo, exec_lo, s13
	v_lshrrev_b32_e32 v134, 21, v134
	s_delay_alu instid0(VALU_DEP_2) | instskip(SKIP_2) | instid1(VALU_DEP_2)
	v_cmp_gt_i32_e32 vcc_lo, 32, v54
	v_lshrrev_b32_e32 v53, 24, v53
	v_min_i32_e32 v147, 31, v54
	v_dual_cndmask_b32 v134, 3, v134 :: v_dual_and_b32 v53, 0x80, v53
	s_delay_alu instid0(VALU_DEP_1) | instskip(SKIP_1) | instid1(VALU_DEP_2)
	v_or_b32_e32 v54, v54, v134
	v_and_b32_e32 v160, 3, v134
	v_cmp_ne_u32_e32 vcc_lo, 0, v54
	v_lshlrev_b32_e32 v147, 2, v147
	s_delay_alu instid0(VALU_DEP_1) | instskip(NEXT) | instid1(VALU_DEP_1)
	v_or3_b32 v53, v147, v53, v160
	v_cndmask_b32_e32 v54, 0, v53, vcc_lo
.LBB4_7287:                             ;   in Loop: Header=BB4_6830 Depth=3
	s_or_b32 exec_lo, exec_lo, s30
.LBB4_7288:                             ;   in Loop: Header=BB4_6830 Depth=3
	s_delay_alu instid0(SALU_CYCLE_1)
	s_or_b32 exec_lo, exec_lo, s17
	v_add_co_u32 v8, vcc_lo, v8, v101
	v_add_co_ci_u32_e32 v9, vcc_lo, v9, v102, vcc_lo
	v_add_co_u32 v10, vcc_lo, v10, v101
	v_sub_nc_u32_e32 v2, v2, v81
	v_add_co_ci_u32_e32 v11, vcc_lo, v11, v102, vcc_lo
	s_clause 0xf
	flat_store_b8 v[12:13], v68 glc slc dlc
	flat_store_b8 v[12:13], v144 offset:32 glc slc dlc
	flat_store_b8 v[12:13], v150 offset:64 glc slc dlc
	;; [unrolled: 1-line block ×15, first 2 shown]
	s_clause 0xf
	flat_store_b8 v[14:15], v68 glc slc dlc
	flat_store_b8 v[14:15], v144 offset:32 glc slc dlc
	flat_store_b8 v[14:15], v150 offset:64 glc slc dlc
	;; [unrolled: 1-line block ×15, first 2 shown]
	v_add_co_u32 v12, vcc_lo, v12, v101
	v_add_co_ci_u32_e32 v13, vcc_lo, v13, v102, vcc_lo
	v_cmp_gt_i32_e32 vcc_lo, 1, v2
	v_add_co_u32 v14, s13, v14, v101
	s_delay_alu instid0(VALU_DEP_1) | instskip(SKIP_1) | instid1(SALU_CYCLE_1)
	v_add_co_ci_u32_e64 v15, s13, v15, v102, s13
	s_or_b32 s16, vcc_lo, s16
	s_and_not1_b32 exec_lo, exec_lo, s16
	s_cbranch_execnz .LBB4_6830
	s_branch .LBB4_7481
.LBB4_7289:                             ;   in Loop: Header=BB4_6830 Depth=3
	s_mov_b32 s13, -1
	s_mov_b32 s31, exec_lo
                                        ; implicit-def: $sgpr17
	v_cmpx_eq_u16_e32 0x80, v53
; %bb.7290:                             ;   in Loop: Header=BB4_6830 Depth=3
	s_mov_b32 s17, 0x7f800001
	s_xor_b32 s13, exec_lo, -1
; %bb.7291:                             ;   in Loop: Header=BB4_6830 Depth=3
	s_or_b32 exec_lo, exec_lo, s31
	s_delay_alu instid0(SALU_CYCLE_1)
	s_and_b32 s13, s13, exec_lo
	s_or_saveexec_b32 s30, s30
	v_mov_b32_e32 v68, s17
	s_xor_b32 exec_lo, exec_lo, s30
	s_cbranch_execz .LBB4_6842
.LBB4_7292:                             ;   in Loop: Header=BB4_6830 Depth=3
	v_cmp_ne_u16_e32 vcc_lo, 0, v53
	v_mov_b32_e32 v68, 0
	s_and_not1_b32 s13, s13, exec_lo
	s_and_b32 s17, vcc_lo, exec_lo
	s_delay_alu instid0(SALU_CYCLE_1)
	s_or_b32 s13, s13, s17
	s_or_b32 exec_lo, exec_lo, s30
	s_and_saveexec_b32 s17, s13
	s_cbranch_execnz .LBB4_6843
	s_branch .LBB4_6844
.LBB4_7293:                             ;   in Loop: Header=BB4_6830 Depth=3
	s_mov_b32 s13, -1
	s_mov_b32 s31, exec_lo
                                        ; implicit-def: $sgpr17
	v_cmpx_eq_u16_e32 0x80, v53
; %bb.7294:                             ;   in Loop: Header=BB4_6830 Depth=3
	s_mov_b32 s17, 0x7f800001
	s_xor_b32 s13, exec_lo, -1
; %bb.7295:                             ;   in Loop: Header=BB4_6830 Depth=3
	s_or_b32 exec_lo, exec_lo, s31
	s_delay_alu instid0(SALU_CYCLE_1)
	s_and_b32 s13, s13, exec_lo
	s_or_saveexec_b32 s30, s30
	v_mov_b32_e32 v69, s17
	s_xor_b32 exec_lo, exec_lo, s30
	s_cbranch_execz .LBB4_6854
.LBB4_7296:                             ;   in Loop: Header=BB4_6830 Depth=3
	v_cmp_ne_u16_e32 vcc_lo, 0, v53
	v_mov_b32_e32 v69, 0
	s_and_not1_b32 s13, s13, exec_lo
	s_and_b32 s17, vcc_lo, exec_lo
	s_delay_alu instid0(SALU_CYCLE_1)
	s_or_b32 s13, s13, s17
	s_or_b32 exec_lo, exec_lo, s30
	s_and_saveexec_b32 s17, s13
	s_cbranch_execnz .LBB4_6855
	s_branch .LBB4_6856
.LBB4_7297:                             ;   in Loop: Header=BB4_6830 Depth=3
	s_mov_b32 s13, -1
	s_mov_b32 s31, exec_lo
                                        ; implicit-def: $sgpr17
	v_cmpx_eq_u16_e32 0x80, v53
; %bb.7298:                             ;   in Loop: Header=BB4_6830 Depth=3
	s_mov_b32 s17, 0x7f800001
	s_xor_b32 s13, exec_lo, -1
; %bb.7299:                             ;   in Loop: Header=BB4_6830 Depth=3
	s_or_b32 exec_lo, exec_lo, s31
	s_delay_alu instid0(SALU_CYCLE_1)
	s_and_b32 s13, s13, exec_lo
	s_or_saveexec_b32 s30, s30
	v_mov_b32_e32 v69, s17
	s_xor_b32 exec_lo, exec_lo, s30
	s_cbranch_execz .LBB4_6866
.LBB4_7300:                             ;   in Loop: Header=BB4_6830 Depth=3
	v_cmp_ne_u16_e32 vcc_lo, 0, v53
	v_mov_b32_e32 v69, 0
	s_and_not1_b32 s13, s13, exec_lo
	s_and_b32 s17, vcc_lo, exec_lo
	s_delay_alu instid0(SALU_CYCLE_1)
	s_or_b32 s13, s13, s17
	s_or_b32 exec_lo, exec_lo, s30
	s_and_saveexec_b32 s17, s13
	s_cbranch_execnz .LBB4_6867
	s_branch .LBB4_6868
.LBB4_7301:                             ;   in Loop: Header=BB4_6830 Depth=3
	s_mov_b32 s13, -1
	s_mov_b32 s31, exec_lo
                                        ; implicit-def: $sgpr17
	v_cmpx_eq_u16_e32 0x80, v53
; %bb.7302:                             ;   in Loop: Header=BB4_6830 Depth=3
	s_mov_b32 s17, 0x7f800001
	s_xor_b32 s13, exec_lo, -1
; %bb.7303:                             ;   in Loop: Header=BB4_6830 Depth=3
	s_or_b32 exec_lo, exec_lo, s31
	s_delay_alu instid0(SALU_CYCLE_1)
	s_and_b32 s13, s13, exec_lo
	s_or_saveexec_b32 s30, s30
	v_mov_b32_e32 v69, s17
	s_xor_b32 exec_lo, exec_lo, s30
	s_cbranch_execz .LBB4_6878
.LBB4_7304:                             ;   in Loop: Header=BB4_6830 Depth=3
	v_cmp_ne_u16_e32 vcc_lo, 0, v53
	v_mov_b32_e32 v69, 0
	s_and_not1_b32 s13, s13, exec_lo
	s_and_b32 s17, vcc_lo, exec_lo
	s_delay_alu instid0(SALU_CYCLE_1)
	s_or_b32 s13, s13, s17
	s_or_b32 exec_lo, exec_lo, s30
	s_and_saveexec_b32 s17, s13
	s_cbranch_execnz .LBB4_6879
	s_branch .LBB4_6880
.LBB4_7305:                             ;   in Loop: Header=BB4_6830 Depth=3
	s_mov_b32 s13, -1
	s_mov_b32 s31, exec_lo
                                        ; implicit-def: $sgpr17
	v_cmpx_eq_u16_e32 0x80, v53
; %bb.7306:                             ;   in Loop: Header=BB4_6830 Depth=3
	s_mov_b32 s17, 0x7f800001
	s_xor_b32 s13, exec_lo, -1
; %bb.7307:                             ;   in Loop: Header=BB4_6830 Depth=3
	s_or_b32 exec_lo, exec_lo, s31
	s_delay_alu instid0(SALU_CYCLE_1)
	s_and_b32 s13, s13, exec_lo
	s_or_saveexec_b32 s30, s30
	v_mov_b32_e32 v69, s17
	s_xor_b32 exec_lo, exec_lo, s30
	s_cbranch_execz .LBB4_6890
.LBB4_7308:                             ;   in Loop: Header=BB4_6830 Depth=3
	v_cmp_ne_u16_e32 vcc_lo, 0, v53
	v_mov_b32_e32 v69, 0
	s_and_not1_b32 s13, s13, exec_lo
	s_and_b32 s17, vcc_lo, exec_lo
	s_delay_alu instid0(SALU_CYCLE_1)
	s_or_b32 s13, s13, s17
	s_or_b32 exec_lo, exec_lo, s30
	s_and_saveexec_b32 s17, s13
	s_cbranch_execnz .LBB4_6891
	s_branch .LBB4_6892
.LBB4_7309:                             ;   in Loop: Header=BB4_6830 Depth=3
	s_mov_b32 s13, -1
	s_mov_b32 s31, exec_lo
                                        ; implicit-def: $sgpr17
	v_cmpx_eq_u16_e32 0x80, v53
; %bb.7310:                             ;   in Loop: Header=BB4_6830 Depth=3
	s_mov_b32 s17, 0x7f800001
	s_xor_b32 s13, exec_lo, -1
; %bb.7311:                             ;   in Loop: Header=BB4_6830 Depth=3
	s_or_b32 exec_lo, exec_lo, s31
	s_delay_alu instid0(SALU_CYCLE_1)
	s_and_b32 s13, s13, exec_lo
	s_or_saveexec_b32 s30, s30
	v_mov_b32_e32 v69, s17
	s_xor_b32 exec_lo, exec_lo, s30
	s_cbranch_execz .LBB4_6902
.LBB4_7312:                             ;   in Loop: Header=BB4_6830 Depth=3
	v_cmp_ne_u16_e32 vcc_lo, 0, v53
	v_mov_b32_e32 v69, 0
	s_and_not1_b32 s13, s13, exec_lo
	s_and_b32 s17, vcc_lo, exec_lo
	s_delay_alu instid0(SALU_CYCLE_1)
	s_or_b32 s13, s13, s17
	s_or_b32 exec_lo, exec_lo, s30
	s_and_saveexec_b32 s17, s13
	s_cbranch_execnz .LBB4_6903
	s_branch .LBB4_6904
.LBB4_7313:                             ;   in Loop: Header=BB4_6830 Depth=3
	s_mov_b32 s13, -1
	s_mov_b32 s31, exec_lo
                                        ; implicit-def: $sgpr17
	v_cmpx_eq_u16_e32 0x80, v53
; %bb.7314:                             ;   in Loop: Header=BB4_6830 Depth=3
	s_mov_b32 s17, 0x7f800001
	s_xor_b32 s13, exec_lo, -1
; %bb.7315:                             ;   in Loop: Header=BB4_6830 Depth=3
	s_or_b32 exec_lo, exec_lo, s31
	s_delay_alu instid0(SALU_CYCLE_1)
	s_and_b32 s13, s13, exec_lo
	s_or_saveexec_b32 s30, s30
	v_mov_b32_e32 v69, s17
	s_xor_b32 exec_lo, exec_lo, s30
	s_cbranch_execz .LBB4_6914
.LBB4_7316:                             ;   in Loop: Header=BB4_6830 Depth=3
	v_cmp_ne_u16_e32 vcc_lo, 0, v53
	v_mov_b32_e32 v69, 0
	s_and_not1_b32 s13, s13, exec_lo
	s_and_b32 s17, vcc_lo, exec_lo
	s_delay_alu instid0(SALU_CYCLE_1)
	s_or_b32 s13, s13, s17
	s_or_b32 exec_lo, exec_lo, s30
	s_and_saveexec_b32 s17, s13
	s_cbranch_execnz .LBB4_6915
	s_branch .LBB4_6916
.LBB4_7317:                             ;   in Loop: Header=BB4_6830 Depth=3
	s_mov_b32 s13, -1
	s_mov_b32 s31, exec_lo
                                        ; implicit-def: $sgpr17
	v_cmpx_eq_u16_e32 0x80, v53
; %bb.7318:                             ;   in Loop: Header=BB4_6830 Depth=3
	s_mov_b32 s17, 0x7f800001
	s_xor_b32 s13, exec_lo, -1
; %bb.7319:                             ;   in Loop: Header=BB4_6830 Depth=3
	s_or_b32 exec_lo, exec_lo, s31
	s_delay_alu instid0(SALU_CYCLE_1)
	s_and_b32 s13, s13, exec_lo
	s_or_saveexec_b32 s30, s30
	v_mov_b32_e32 v69, s17
	s_xor_b32 exec_lo, exec_lo, s30
	s_cbranch_execz .LBB4_6926
.LBB4_7320:                             ;   in Loop: Header=BB4_6830 Depth=3
	v_cmp_ne_u16_e32 vcc_lo, 0, v53
	v_mov_b32_e32 v69, 0
	s_and_not1_b32 s13, s13, exec_lo
	s_and_b32 s17, vcc_lo, exec_lo
	s_delay_alu instid0(SALU_CYCLE_1)
	s_or_b32 s13, s13, s17
	s_or_b32 exec_lo, exec_lo, s30
	s_and_saveexec_b32 s17, s13
	s_cbranch_execnz .LBB4_6927
	s_branch .LBB4_6928
.LBB4_7321:                             ;   in Loop: Header=BB4_6830 Depth=3
	s_mov_b32 s13, -1
	s_mov_b32 s31, exec_lo
                                        ; implicit-def: $sgpr17
	v_cmpx_eq_u16_e32 0x80, v53
; %bb.7322:                             ;   in Loop: Header=BB4_6830 Depth=3
	s_mov_b32 s17, 0x7f800001
	s_xor_b32 s13, exec_lo, -1
; %bb.7323:                             ;   in Loop: Header=BB4_6830 Depth=3
	s_or_b32 exec_lo, exec_lo, s31
	s_delay_alu instid0(SALU_CYCLE_1)
	s_and_b32 s13, s13, exec_lo
	s_or_saveexec_b32 s30, s30
	v_mov_b32_e32 v69, s17
	s_xor_b32 exec_lo, exec_lo, s30
	s_cbranch_execz .LBB4_6938
.LBB4_7324:                             ;   in Loop: Header=BB4_6830 Depth=3
	v_cmp_ne_u16_e32 vcc_lo, 0, v53
	v_mov_b32_e32 v69, 0
	s_and_not1_b32 s13, s13, exec_lo
	s_and_b32 s17, vcc_lo, exec_lo
	s_delay_alu instid0(SALU_CYCLE_1)
	s_or_b32 s13, s13, s17
	s_or_b32 exec_lo, exec_lo, s30
	s_and_saveexec_b32 s17, s13
	s_cbranch_execnz .LBB4_6939
	s_branch .LBB4_6940
.LBB4_7325:                             ;   in Loop: Header=BB4_6830 Depth=3
	s_mov_b32 s13, -1
	s_mov_b32 s31, exec_lo
                                        ; implicit-def: $sgpr17
	v_cmpx_eq_u16_e32 0x80, v53
; %bb.7326:                             ;   in Loop: Header=BB4_6830 Depth=3
	s_mov_b32 s17, 0x7f800001
	s_xor_b32 s13, exec_lo, -1
; %bb.7327:                             ;   in Loop: Header=BB4_6830 Depth=3
	s_or_b32 exec_lo, exec_lo, s31
	s_delay_alu instid0(SALU_CYCLE_1)
	s_and_b32 s13, s13, exec_lo
	s_or_saveexec_b32 s30, s30
	v_mov_b32_e32 v69, s17
	s_xor_b32 exec_lo, exec_lo, s30
	s_cbranch_execz .LBB4_6950
.LBB4_7328:                             ;   in Loop: Header=BB4_6830 Depth=3
	v_cmp_ne_u16_e32 vcc_lo, 0, v53
	v_mov_b32_e32 v69, 0
	s_and_not1_b32 s13, s13, exec_lo
	s_and_b32 s17, vcc_lo, exec_lo
	s_delay_alu instid0(SALU_CYCLE_1)
	s_or_b32 s13, s13, s17
	s_or_b32 exec_lo, exec_lo, s30
	s_and_saveexec_b32 s17, s13
	s_cbranch_execnz .LBB4_6951
	s_branch .LBB4_6952
.LBB4_7329:                             ;   in Loop: Header=BB4_6830 Depth=3
	s_mov_b32 s13, -1
	s_mov_b32 s31, exec_lo
                                        ; implicit-def: $sgpr17
	v_cmpx_eq_u16_e32 0x80, v53
; %bb.7330:                             ;   in Loop: Header=BB4_6830 Depth=3
	s_mov_b32 s17, 0x7f800001
	s_xor_b32 s13, exec_lo, -1
; %bb.7331:                             ;   in Loop: Header=BB4_6830 Depth=3
	s_or_b32 exec_lo, exec_lo, s31
	s_delay_alu instid0(SALU_CYCLE_1)
	s_and_b32 s13, s13, exec_lo
	s_or_saveexec_b32 s30, s30
	v_mov_b32_e32 v69, s17
	s_xor_b32 exec_lo, exec_lo, s30
	s_cbranch_execz .LBB4_6962
.LBB4_7332:                             ;   in Loop: Header=BB4_6830 Depth=3
	v_cmp_ne_u16_e32 vcc_lo, 0, v53
	v_mov_b32_e32 v69, 0
	s_and_not1_b32 s13, s13, exec_lo
	s_and_b32 s17, vcc_lo, exec_lo
	s_delay_alu instid0(SALU_CYCLE_1)
	s_or_b32 s13, s13, s17
	s_or_b32 exec_lo, exec_lo, s30
	s_and_saveexec_b32 s17, s13
	s_cbranch_execnz .LBB4_6963
	s_branch .LBB4_6964
.LBB4_7333:                             ;   in Loop: Header=BB4_6830 Depth=3
	s_mov_b32 s13, -1
	s_mov_b32 s31, exec_lo
                                        ; implicit-def: $sgpr17
	v_cmpx_eq_u16_e32 0x80, v53
; %bb.7334:                             ;   in Loop: Header=BB4_6830 Depth=3
	s_mov_b32 s17, 0x7f800001
	s_xor_b32 s13, exec_lo, -1
; %bb.7335:                             ;   in Loop: Header=BB4_6830 Depth=3
	s_or_b32 exec_lo, exec_lo, s31
	s_delay_alu instid0(SALU_CYCLE_1)
	s_and_b32 s13, s13, exec_lo
	s_or_saveexec_b32 s30, s30
	v_mov_b32_e32 v69, s17
	s_xor_b32 exec_lo, exec_lo, s30
	s_cbranch_execz .LBB4_6974
.LBB4_7336:                             ;   in Loop: Header=BB4_6830 Depth=3
	v_cmp_ne_u16_e32 vcc_lo, 0, v53
	v_mov_b32_e32 v69, 0
	s_and_not1_b32 s13, s13, exec_lo
	s_and_b32 s17, vcc_lo, exec_lo
	s_delay_alu instid0(SALU_CYCLE_1)
	s_or_b32 s13, s13, s17
	s_or_b32 exec_lo, exec_lo, s30
	s_and_saveexec_b32 s17, s13
	s_cbranch_execnz .LBB4_6975
	s_branch .LBB4_6976
.LBB4_7337:                             ;   in Loop: Header=BB4_6830 Depth=3
	s_mov_b32 s13, -1
	s_mov_b32 s31, exec_lo
                                        ; implicit-def: $sgpr17
	v_cmpx_eq_u16_e32 0x80, v53
; %bb.7338:                             ;   in Loop: Header=BB4_6830 Depth=3
	s_mov_b32 s17, 0x7f800001
	s_xor_b32 s13, exec_lo, -1
; %bb.7339:                             ;   in Loop: Header=BB4_6830 Depth=3
	s_or_b32 exec_lo, exec_lo, s31
	s_delay_alu instid0(SALU_CYCLE_1)
	s_and_b32 s13, s13, exec_lo
	s_or_saveexec_b32 s30, s30
	v_mov_b32_e32 v69, s17
	s_xor_b32 exec_lo, exec_lo, s30
	s_cbranch_execz .LBB4_6986
.LBB4_7340:                             ;   in Loop: Header=BB4_6830 Depth=3
	v_cmp_ne_u16_e32 vcc_lo, 0, v53
	v_mov_b32_e32 v69, 0
	s_and_not1_b32 s13, s13, exec_lo
	s_and_b32 s17, vcc_lo, exec_lo
	s_delay_alu instid0(SALU_CYCLE_1)
	s_or_b32 s13, s13, s17
	s_or_b32 exec_lo, exec_lo, s30
	s_and_saveexec_b32 s17, s13
	s_cbranch_execnz .LBB4_6987
	s_branch .LBB4_6988
.LBB4_7341:                             ;   in Loop: Header=BB4_6830 Depth=3
	s_mov_b32 s13, -1
	s_mov_b32 s31, exec_lo
                                        ; implicit-def: $sgpr17
	v_cmpx_eq_u16_e32 0x80, v53
; %bb.7342:                             ;   in Loop: Header=BB4_6830 Depth=3
	s_mov_b32 s17, 0x7f800001
	s_xor_b32 s13, exec_lo, -1
; %bb.7343:                             ;   in Loop: Header=BB4_6830 Depth=3
	s_or_b32 exec_lo, exec_lo, s31
	s_delay_alu instid0(SALU_CYCLE_1)
	s_and_b32 s13, s13, exec_lo
	s_or_saveexec_b32 s30, s30
	v_mov_b32_e32 v69, s17
	s_xor_b32 exec_lo, exec_lo, s30
	s_cbranch_execz .LBB4_6998
.LBB4_7344:                             ;   in Loop: Header=BB4_6830 Depth=3
	v_cmp_ne_u16_e32 vcc_lo, 0, v53
	v_mov_b32_e32 v69, 0
	s_and_not1_b32 s13, s13, exec_lo
	s_and_b32 s17, vcc_lo, exec_lo
	s_delay_alu instid0(SALU_CYCLE_1)
	s_or_b32 s13, s13, s17
	s_or_b32 exec_lo, exec_lo, s30
	s_and_saveexec_b32 s17, s13
	s_cbranch_execnz .LBB4_6999
	s_branch .LBB4_7000
.LBB4_7345:                             ;   in Loop: Header=BB4_6830 Depth=3
	s_mov_b32 s13, -1
	s_mov_b32 s31, exec_lo
                                        ; implicit-def: $sgpr17
	v_cmpx_eq_u16_e32 0x80, v53
; %bb.7346:                             ;   in Loop: Header=BB4_6830 Depth=3
	s_mov_b32 s17, 0x7f800001
	s_xor_b32 s13, exec_lo, -1
; %bb.7347:                             ;   in Loop: Header=BB4_6830 Depth=3
	s_or_b32 exec_lo, exec_lo, s31
	s_delay_alu instid0(SALU_CYCLE_1)
	s_and_b32 s13, s13, exec_lo
	s_or_saveexec_b32 s30, s30
	v_mov_b32_e32 v69, s17
	s_xor_b32 exec_lo, exec_lo, s30
	s_cbranch_execz .LBB4_7010
.LBB4_7348:                             ;   in Loop: Header=BB4_6830 Depth=3
	v_cmp_ne_u16_e32 vcc_lo, 0, v53
	v_mov_b32_e32 v69, 0
	s_and_not1_b32 s13, s13, exec_lo
	s_and_b32 s17, vcc_lo, exec_lo
	s_delay_alu instid0(SALU_CYCLE_1)
	s_or_b32 s13, s13, s17
	s_or_b32 exec_lo, exec_lo, s30
	s_and_saveexec_b32 s17, s13
	s_cbranch_execnz .LBB4_7011
	s_branch .LBB4_7012
.LBB4_7349:                             ;   in Loop: Header=BB4_6830 Depth=3
	s_mov_b32 s13, -1
	s_mov_b32 s31, exec_lo
                                        ; implicit-def: $sgpr17
	v_cmpx_eq_u16_e32 0x80, v53
; %bb.7350:                             ;   in Loop: Header=BB4_6830 Depth=3
	s_mov_b32 s17, 0x7f800001
	s_xor_b32 s13, exec_lo, -1
; %bb.7351:                             ;   in Loop: Header=BB4_6830 Depth=3
	s_or_b32 exec_lo, exec_lo, s31
	s_delay_alu instid0(SALU_CYCLE_1)
	s_and_b32 s13, s13, exec_lo
	s_or_saveexec_b32 s30, s30
	v_mov_b32_e32 v134, s17
	s_xor_b32 exec_lo, exec_lo, s30
	s_cbranch_execz .LBB4_7022
.LBB4_7352:                             ;   in Loop: Header=BB4_6830 Depth=3
	v_cmp_ne_u16_e32 vcc_lo, 0, v53
	v_mov_b32_e32 v134, 0
	s_and_not1_b32 s13, s13, exec_lo
	s_and_b32 s17, vcc_lo, exec_lo
	s_delay_alu instid0(SALU_CYCLE_1)
	s_or_b32 s13, s13, s17
	s_or_b32 exec_lo, exec_lo, s30
	s_and_saveexec_b32 s17, s13
	s_cbranch_execnz .LBB4_7023
	s_branch .LBB4_7024
.LBB4_7353:                             ;   in Loop: Header=BB4_6830 Depth=3
	s_mov_b32 s13, -1
	s_mov_b32 s31, exec_lo
                                        ; implicit-def: $sgpr17
	v_cmpx_eq_u16_e32 0x80, v42
; %bb.7354:                             ;   in Loop: Header=BB4_6830 Depth=3
	s_mov_b32 s17, 0x7f800001
	s_xor_b32 s13, exec_lo, -1
; %bb.7355:                             ;   in Loop: Header=BB4_6830 Depth=3
	s_or_b32 exec_lo, exec_lo, s31
	s_delay_alu instid0(SALU_CYCLE_1)
	s_and_b32 s13, s13, exec_lo
                                        ; implicit-def: $vgpr42
	s_or_saveexec_b32 s30, s30
	v_mov_b32_e32 v41, s17
	s_xor_b32 exec_lo, exec_lo, s30
	s_cbranch_execz .LBB4_7034
.LBB4_7356:                             ;   in Loop: Header=BB4_6830 Depth=3
	v_cmp_ne_u16_e32 vcc_lo, 0, v42
	v_mov_b32_e32 v41, 0
	s_and_not1_b32 s13, s13, exec_lo
	s_and_b32 s17, vcc_lo, exec_lo
	s_delay_alu instid0(SALU_CYCLE_1)
	s_or_b32 s13, s13, s17
	s_or_b32 exec_lo, exec_lo, s30
	s_and_saveexec_b32 s17, s13
	s_cbranch_execnz .LBB4_7035
	s_branch .LBB4_7036
.LBB4_7357:                             ;   in Loop: Header=BB4_6830 Depth=3
	s_mov_b32 s13, -1
	s_mov_b32 s31, exec_lo
                                        ; implicit-def: $sgpr17
	v_cmpx_eq_u16_e32 0x80, v42
; %bb.7358:                             ;   in Loop: Header=BB4_6830 Depth=3
	s_mov_b32 s17, 0x7f800001
	s_xor_b32 s13, exec_lo, -1
; %bb.7359:                             ;   in Loop: Header=BB4_6830 Depth=3
	s_or_b32 exec_lo, exec_lo, s31
	s_delay_alu instid0(SALU_CYCLE_1)
	s_and_b32 s13, s13, exec_lo
                                        ; implicit-def: $vgpr42
	s_or_saveexec_b32 s30, s30
	v_mov_b32_e32 v68, s17
	s_xor_b32 exec_lo, exec_lo, s30
	s_cbranch_execz .LBB4_7038
.LBB4_7360:                             ;   in Loop: Header=BB4_6830 Depth=3
	v_cmp_ne_u16_e32 vcc_lo, 0, v42
	v_mov_b32_e32 v68, 0
	s_and_not1_b32 s13, s13, exec_lo
	s_and_b32 s17, vcc_lo, exec_lo
	s_delay_alu instid0(SALU_CYCLE_1)
	s_or_b32 s13, s13, s17
	s_or_b32 exec_lo, exec_lo, s30
	s_and_saveexec_b32 s17, s13
	s_cbranch_execnz .LBB4_7039
	s_branch .LBB4_7040
.LBB4_7361:                             ;   in Loop: Header=BB4_6830 Depth=3
	s_mov_b32 s13, -1
	s_mov_b32 s31, exec_lo
                                        ; implicit-def: $sgpr17
	v_cmpx_eq_u16_e32 0x80, v41
; %bb.7362:                             ;   in Loop: Header=BB4_6830 Depth=3
	s_mov_b32 s17, 0x7f800001
	s_xor_b32 s13, exec_lo, -1
; %bb.7363:                             ;   in Loop: Header=BB4_6830 Depth=3
	s_or_b32 exec_lo, exec_lo, s31
	s_delay_alu instid0(SALU_CYCLE_1)
	s_and_b32 s13, s13, exec_lo
                                        ; implicit-def: $vgpr41
	s_or_saveexec_b32 s30, s30
	v_mov_b32_e32 v40, s17
	s_xor_b32 exec_lo, exec_lo, s30
	s_cbranch_execz .LBB4_7050
.LBB4_7364:                             ;   in Loop: Header=BB4_6830 Depth=3
	v_cmp_ne_u16_e32 vcc_lo, 0, v41
	v_mov_b32_e32 v40, 0
	s_and_not1_b32 s13, s13, exec_lo
	s_and_b32 s17, vcc_lo, exec_lo
	s_delay_alu instid0(SALU_CYCLE_1)
	s_or_b32 s13, s13, s17
	s_or_b32 exec_lo, exec_lo, s30
	s_and_saveexec_b32 s17, s13
	s_cbranch_execnz .LBB4_7051
	s_branch .LBB4_7052
.LBB4_7365:                             ;   in Loop: Header=BB4_6830 Depth=3
	s_mov_b32 s13, -1
	s_mov_b32 s31, exec_lo
                                        ; implicit-def: $sgpr17
	v_cmpx_eq_u16_e32 0x80, v41
; %bb.7366:                             ;   in Loop: Header=BB4_6830 Depth=3
	s_mov_b32 s17, 0x7f800001
	s_xor_b32 s13, exec_lo, -1
; %bb.7367:                             ;   in Loop: Header=BB4_6830 Depth=3
	s_or_b32 exec_lo, exec_lo, s31
	s_delay_alu instid0(SALU_CYCLE_1)
	s_and_b32 s13, s13, exec_lo
                                        ; implicit-def: $vgpr41
	s_or_saveexec_b32 s30, s30
	v_mov_b32_e32 v144, s17
	s_xor_b32 exec_lo, exec_lo, s30
	s_cbranch_execz .LBB4_7054
.LBB4_7368:                             ;   in Loop: Header=BB4_6830 Depth=3
	v_cmp_ne_u16_e32 vcc_lo, 0, v41
	v_mov_b32_e32 v144, 0
	s_and_not1_b32 s13, s13, exec_lo
	s_and_b32 s17, vcc_lo, exec_lo
	s_delay_alu instid0(SALU_CYCLE_1)
	s_or_b32 s13, s13, s17
	s_or_b32 exec_lo, exec_lo, s30
	s_and_saveexec_b32 s17, s13
	s_cbranch_execnz .LBB4_7055
	s_branch .LBB4_7056
.LBB4_7369:                             ;   in Loop: Header=BB4_6830 Depth=3
	s_mov_b32 s13, -1
	s_mov_b32 s31, exec_lo
                                        ; implicit-def: $sgpr17
	v_cmpx_eq_u16_e32 0x80, v40
; %bb.7370:                             ;   in Loop: Header=BB4_6830 Depth=3
	s_mov_b32 s17, 0x7f800001
	s_xor_b32 s13, exec_lo, -1
; %bb.7371:                             ;   in Loop: Header=BB4_6830 Depth=3
	s_or_b32 exec_lo, exec_lo, s31
	s_delay_alu instid0(SALU_CYCLE_1)
	s_and_b32 s13, s13, exec_lo
                                        ; implicit-def: $vgpr40
	s_or_saveexec_b32 s30, s30
	v_mov_b32_e32 v183, s17
	s_xor_b32 exec_lo, exec_lo, s30
	s_cbranch_execz .LBB4_7066
.LBB4_7372:                             ;   in Loop: Header=BB4_6830 Depth=3
	v_cmp_ne_u16_e32 vcc_lo, 0, v40
	v_mov_b32_e32 v183, 0
	s_and_not1_b32 s13, s13, exec_lo
	s_and_b32 s17, vcc_lo, exec_lo
	s_delay_alu instid0(SALU_CYCLE_1)
	s_or_b32 s13, s13, s17
	s_or_b32 exec_lo, exec_lo, s30
	s_and_saveexec_b32 s17, s13
	s_cbranch_execnz .LBB4_7067
	s_branch .LBB4_7068
.LBB4_7373:                             ;   in Loop: Header=BB4_6830 Depth=3
	s_mov_b32 s13, -1
	s_mov_b32 s31, exec_lo
                                        ; implicit-def: $sgpr17
	v_cmpx_eq_u16_e32 0x80, v40
; %bb.7374:                             ;   in Loop: Header=BB4_6830 Depth=3
	s_mov_b32 s17, 0x7f800001
	s_xor_b32 s13, exec_lo, -1
; %bb.7375:                             ;   in Loop: Header=BB4_6830 Depth=3
	s_or_b32 exec_lo, exec_lo, s31
	s_delay_alu instid0(SALU_CYCLE_1)
	s_and_b32 s13, s13, exec_lo
                                        ; implicit-def: $vgpr40
	s_or_saveexec_b32 s30, s30
	v_mov_b32_e32 v150, s17
	s_xor_b32 exec_lo, exec_lo, s30
	s_cbranch_execz .LBB4_7070
.LBB4_7376:                             ;   in Loop: Header=BB4_6830 Depth=3
	v_cmp_ne_u16_e32 vcc_lo, 0, v40
	v_mov_b32_e32 v150, 0
	s_and_not1_b32 s13, s13, exec_lo
	s_and_b32 s17, vcc_lo, exec_lo
	s_delay_alu instid0(SALU_CYCLE_1)
	s_or_b32 s13, s13, s17
	s_or_b32 exec_lo, exec_lo, s30
	s_and_saveexec_b32 s17, s13
	s_cbranch_execnz .LBB4_7071
	s_branch .LBB4_7072
.LBB4_7377:                             ;   in Loop: Header=BB4_6830 Depth=3
	s_mov_b32 s13, -1
	s_mov_b32 s31, exec_lo
                                        ; implicit-def: $sgpr17
	v_cmpx_eq_u16_e64 0x80, v183
; %bb.7378:                             ;   in Loop: Header=BB4_6830 Depth=3
	s_mov_b32 s17, 0x7f800001
	s_xor_b32 s13, exec_lo, -1
; %bb.7379:                             ;   in Loop: Header=BB4_6830 Depth=3
	s_or_b32 exec_lo, exec_lo, s31
	s_delay_alu instid0(SALU_CYCLE_1)
	s_and_b32 s13, s13, exec_lo
                                        ; implicit-def: $vgpr183
	s_or_saveexec_b32 s30, s30
	v_mov_b32_e32 v182, s17
	s_xor_b32 exec_lo, exec_lo, s30
	s_cbranch_execz .LBB4_7082
.LBB4_7380:                             ;   in Loop: Header=BB4_6830 Depth=3
	v_cmp_ne_u16_e64 vcc_lo, 0, v183
	v_mov_b32_e32 v182, 0
	s_and_not1_b32 s13, s13, exec_lo
	s_delay_alu instid0(VALU_DEP_2) | instskip(NEXT) | instid1(SALU_CYCLE_1)
	s_and_b32 s17, vcc_lo, exec_lo
	s_or_b32 s13, s13, s17
	s_or_b32 exec_lo, exec_lo, s30
	s_and_saveexec_b32 s17, s13
	s_cbranch_execnz .LBB4_7083
	s_branch .LBB4_7084
.LBB4_7381:                             ;   in Loop: Header=BB4_6830 Depth=3
	s_mov_b32 s13, -1
	s_mov_b32 s31, exec_lo
                                        ; implicit-def: $sgpr17
	v_cmpx_eq_u16_e64 0x80, v183
; %bb.7382:                             ;   in Loop: Header=BB4_6830 Depth=3
	s_mov_b32 s17, 0x7f800001
	s_xor_b32 s13, exec_lo, -1
; %bb.7383:                             ;   in Loop: Header=BB4_6830 Depth=3
	s_or_b32 exec_lo, exec_lo, s31
	s_delay_alu instid0(SALU_CYCLE_1)
	s_and_b32 s13, s13, exec_lo
                                        ; implicit-def: $vgpr183
	s_or_saveexec_b32 s30, s30
	v_mov_b32_e32 v163, s17
	s_xor_b32 exec_lo, exec_lo, s30
	s_cbranch_execz .LBB4_7086
.LBB4_7384:                             ;   in Loop: Header=BB4_6830 Depth=3
	v_cmp_ne_u16_e64 vcc_lo, 0, v183
	v_mov_b32_e32 v163, 0
	s_and_not1_b32 s13, s13, exec_lo
	s_delay_alu instid0(VALU_DEP_2) | instskip(NEXT) | instid1(SALU_CYCLE_1)
	s_and_b32 s17, vcc_lo, exec_lo
	s_or_b32 s13, s13, s17
	s_or_b32 exec_lo, exec_lo, s30
	s_and_saveexec_b32 s17, s13
	s_cbranch_execnz .LBB4_7087
	s_branch .LBB4_7088
.LBB4_7385:                             ;   in Loop: Header=BB4_6830 Depth=3
	s_mov_b32 s13, -1
	s_mov_b32 s31, exec_lo
                                        ; implicit-def: $sgpr17
	v_cmpx_eq_u16_e64 0x80, v182
; %bb.7386:                             ;   in Loop: Header=BB4_6830 Depth=3
	s_mov_b32 s17, 0x7f800001
	s_xor_b32 s13, exec_lo, -1
; %bb.7387:                             ;   in Loop: Header=BB4_6830 Depth=3
	s_or_b32 exec_lo, exec_lo, s31
	s_delay_alu instid0(SALU_CYCLE_1)
	s_and_b32 s13, s13, exec_lo
                                        ; implicit-def: $vgpr182
	s_or_saveexec_b32 s30, s30
	v_mov_b32_e32 v181, s17
	s_xor_b32 exec_lo, exec_lo, s30
	s_cbranch_execz .LBB4_7098
.LBB4_7388:                             ;   in Loop: Header=BB4_6830 Depth=3
	v_cmp_ne_u16_e64 vcc_lo, 0, v182
	v_mov_b32_e32 v181, 0
	s_and_not1_b32 s13, s13, exec_lo
	s_delay_alu instid0(VALU_DEP_2) | instskip(NEXT) | instid1(SALU_CYCLE_1)
	s_and_b32 s17, vcc_lo, exec_lo
	s_or_b32 s13, s13, s17
	s_or_b32 exec_lo, exec_lo, s30
	s_and_saveexec_b32 s17, s13
	s_cbranch_execnz .LBB4_7099
	s_branch .LBB4_7100
.LBB4_7389:                             ;   in Loop: Header=BB4_6830 Depth=3
	s_mov_b32 s13, -1
	s_mov_b32 s31, exec_lo
                                        ; implicit-def: $sgpr17
	v_cmpx_eq_u16_e64 0x80, v182
; %bb.7390:                             ;   in Loop: Header=BB4_6830 Depth=3
	s_mov_b32 s17, 0x7f800001
	s_xor_b32 s13, exec_lo, -1
; %bb.7391:                             ;   in Loop: Header=BB4_6830 Depth=3
	s_or_b32 exec_lo, exec_lo, s31
	s_delay_alu instid0(SALU_CYCLE_1)
	s_and_b32 s13, s13, exec_lo
                                        ; implicit-def: $vgpr182
	s_or_saveexec_b32 s30, s30
	v_mov_b32_e32 v164, s17
	s_xor_b32 exec_lo, exec_lo, s30
	s_cbranch_execz .LBB4_7102
.LBB4_7392:                             ;   in Loop: Header=BB4_6830 Depth=3
	v_cmp_ne_u16_e64 vcc_lo, 0, v182
	v_mov_b32_e32 v164, 0
	s_and_not1_b32 s13, s13, exec_lo
	s_delay_alu instid0(VALU_DEP_2) | instskip(NEXT) | instid1(SALU_CYCLE_1)
	s_and_b32 s17, vcc_lo, exec_lo
	s_or_b32 s13, s13, s17
	s_or_b32 exec_lo, exec_lo, s30
	s_and_saveexec_b32 s17, s13
	s_cbranch_execnz .LBB4_7103
	s_branch .LBB4_7104
.LBB4_7393:                             ;   in Loop: Header=BB4_6830 Depth=3
	s_mov_b32 s13, -1
	s_mov_b32 s31, exec_lo
                                        ; implicit-def: $sgpr17
	v_cmpx_eq_u16_e64 0x80, v181
; %bb.7394:                             ;   in Loop: Header=BB4_6830 Depth=3
	s_mov_b32 s17, 0x7f800001
	s_xor_b32 s13, exec_lo, -1
; %bb.7395:                             ;   in Loop: Header=BB4_6830 Depth=3
	s_or_b32 exec_lo, exec_lo, s31
	s_delay_alu instid0(SALU_CYCLE_1)
	s_and_b32 s13, s13, exec_lo
                                        ; implicit-def: $vgpr181
	s_or_saveexec_b32 s30, s30
	v_mov_b32_e32 v180, s17
	s_xor_b32 exec_lo, exec_lo, s30
	s_cbranch_execz .LBB4_7114
.LBB4_7396:                             ;   in Loop: Header=BB4_6830 Depth=3
	v_cmp_ne_u16_e64 vcc_lo, 0, v181
	v_mov_b32_e32 v180, 0
	s_and_not1_b32 s13, s13, exec_lo
	s_delay_alu instid0(VALU_DEP_2) | instskip(NEXT) | instid1(SALU_CYCLE_1)
	s_and_b32 s17, vcc_lo, exec_lo
	s_or_b32 s13, s13, s17
	s_or_b32 exec_lo, exec_lo, s30
	s_and_saveexec_b32 s17, s13
	s_cbranch_execnz .LBB4_7115
	s_branch .LBB4_7116
.LBB4_7397:                             ;   in Loop: Header=BB4_6830 Depth=3
	s_mov_b32 s13, -1
	s_mov_b32 s31, exec_lo
                                        ; implicit-def: $sgpr17
	v_cmpx_eq_u16_e64 0x80, v181
; %bb.7398:                             ;   in Loop: Header=BB4_6830 Depth=3
	s_mov_b32 s17, 0x7f800001
	s_xor_b32 s13, exec_lo, -1
; %bb.7399:                             ;   in Loop: Header=BB4_6830 Depth=3
	s_or_b32 exec_lo, exec_lo, s31
	s_delay_alu instid0(SALU_CYCLE_1)
	s_and_b32 s13, s13, exec_lo
                                        ; implicit-def: $vgpr181
	s_or_saveexec_b32 s30, s30
	v_mov_b32_e32 v162, s17
	s_xor_b32 exec_lo, exec_lo, s30
	s_cbranch_execz .LBB4_7118
.LBB4_7400:                             ;   in Loop: Header=BB4_6830 Depth=3
	v_cmp_ne_u16_e64 vcc_lo, 0, v181
	v_mov_b32_e32 v162, 0
	s_and_not1_b32 s13, s13, exec_lo
	s_delay_alu instid0(VALU_DEP_2) | instskip(NEXT) | instid1(SALU_CYCLE_1)
	s_and_b32 s17, vcc_lo, exec_lo
	s_or_b32 s13, s13, s17
	s_or_b32 exec_lo, exec_lo, s30
	s_and_saveexec_b32 s17, s13
	s_cbranch_execnz .LBB4_7119
	s_branch .LBB4_7120
.LBB4_7401:                             ;   in Loop: Header=BB4_6830 Depth=3
	s_mov_b32 s13, -1
	s_mov_b32 s31, exec_lo
                                        ; implicit-def: $sgpr17
	v_cmpx_eq_u16_e64 0x80, v180
; %bb.7402:                             ;   in Loop: Header=BB4_6830 Depth=3
	s_mov_b32 s17, 0x7f800001
	s_xor_b32 s13, exec_lo, -1
; %bb.7403:                             ;   in Loop: Header=BB4_6830 Depth=3
	s_or_b32 exec_lo, exec_lo, s31
	s_delay_alu instid0(SALU_CYCLE_1)
	s_and_b32 s13, s13, exec_lo
                                        ; implicit-def: $vgpr180
	s_or_saveexec_b32 s30, s30
	v_mov_b32_e32 v179, s17
	s_xor_b32 exec_lo, exec_lo, s30
	s_cbranch_execz .LBB4_7130
.LBB4_7404:                             ;   in Loop: Header=BB4_6830 Depth=3
	v_cmp_ne_u16_e64 vcc_lo, 0, v180
	v_mov_b32_e32 v179, 0
	s_and_not1_b32 s13, s13, exec_lo
	s_delay_alu instid0(VALU_DEP_2) | instskip(NEXT) | instid1(SALU_CYCLE_1)
	s_and_b32 s17, vcc_lo, exec_lo
	s_or_b32 s13, s13, s17
	s_or_b32 exec_lo, exec_lo, s30
	s_and_saveexec_b32 s17, s13
	s_cbranch_execnz .LBB4_7131
	s_branch .LBB4_7132
.LBB4_7405:                             ;   in Loop: Header=BB4_6830 Depth=3
	s_mov_b32 s13, -1
	s_mov_b32 s31, exec_lo
                                        ; implicit-def: $sgpr17
	v_cmpx_eq_u16_e64 0x80, v180
; %bb.7406:                             ;   in Loop: Header=BB4_6830 Depth=3
	s_mov_b32 s17, 0x7f800001
	s_xor_b32 s13, exec_lo, -1
; %bb.7407:                             ;   in Loop: Header=BB4_6830 Depth=3
	s_or_b32 exec_lo, exec_lo, s31
	s_delay_alu instid0(SALU_CYCLE_1)
	s_and_b32 s13, s13, exec_lo
                                        ; implicit-def: $vgpr180
	s_or_saveexec_b32 s30, s30
	v_mov_b32_e32 v161, s17
	s_xor_b32 exec_lo, exec_lo, s30
	s_cbranch_execz .LBB4_7134
.LBB4_7408:                             ;   in Loop: Header=BB4_6830 Depth=3
	v_cmp_ne_u16_e64 vcc_lo, 0, v180
	v_mov_b32_e32 v161, 0
	s_and_not1_b32 s13, s13, exec_lo
	s_delay_alu instid0(VALU_DEP_2) | instskip(NEXT) | instid1(SALU_CYCLE_1)
	s_and_b32 s17, vcc_lo, exec_lo
	s_or_b32 s13, s13, s17
	s_or_b32 exec_lo, exec_lo, s30
	s_and_saveexec_b32 s17, s13
	s_cbranch_execnz .LBB4_7135
	s_branch .LBB4_7136
.LBB4_7409:                             ;   in Loop: Header=BB4_6830 Depth=3
	s_mov_b32 s13, -1
	s_mov_b32 s31, exec_lo
                                        ; implicit-def: $sgpr17
	v_cmpx_eq_u16_e64 0x80, v179
; %bb.7410:                             ;   in Loop: Header=BB4_6830 Depth=3
	s_mov_b32 s17, 0x7f800001
	s_xor_b32 s13, exec_lo, -1
; %bb.7411:                             ;   in Loop: Header=BB4_6830 Depth=3
	s_or_b32 exec_lo, exec_lo, s31
	s_delay_alu instid0(SALU_CYCLE_1)
	s_and_b32 s13, s13, exec_lo
                                        ; implicit-def: $vgpr179
	s_or_saveexec_b32 s30, s30
	v_mov_b32_e32 v178, s17
	s_xor_b32 exec_lo, exec_lo, s30
	s_cbranch_execz .LBB4_7146
.LBB4_7412:                             ;   in Loop: Header=BB4_6830 Depth=3
	v_cmp_ne_u16_e64 vcc_lo, 0, v179
	v_mov_b32_e32 v178, 0
	s_and_not1_b32 s13, s13, exec_lo
	s_delay_alu instid0(VALU_DEP_2) | instskip(NEXT) | instid1(SALU_CYCLE_1)
	s_and_b32 s17, vcc_lo, exec_lo
	s_or_b32 s13, s13, s17
	s_or_b32 exec_lo, exec_lo, s30
	s_and_saveexec_b32 s17, s13
	s_cbranch_execnz .LBB4_7147
	s_branch .LBB4_7148
.LBB4_7413:                             ;   in Loop: Header=BB4_6830 Depth=3
	s_mov_b32 s13, -1
	s_mov_b32 s31, exec_lo
                                        ; implicit-def: $sgpr17
	v_cmpx_eq_u16_e64 0x80, v179
; %bb.7414:                             ;   in Loop: Header=BB4_6830 Depth=3
	s_mov_b32 s17, 0x7f800001
	s_xor_b32 s13, exec_lo, -1
; %bb.7415:                             ;   in Loop: Header=BB4_6830 Depth=3
	s_or_b32 exec_lo, exec_lo, s31
	s_delay_alu instid0(SALU_CYCLE_1)
	s_and_b32 s13, s13, exec_lo
                                        ; implicit-def: $vgpr179
	s_or_saveexec_b32 s30, s30
	v_mov_b32_e32 v151, s17
	s_xor_b32 exec_lo, exec_lo, s30
	s_cbranch_execz .LBB4_7150
.LBB4_7416:                             ;   in Loop: Header=BB4_6830 Depth=3
	v_cmp_ne_u16_e64 vcc_lo, 0, v179
	v_mov_b32_e32 v151, 0
	s_and_not1_b32 s13, s13, exec_lo
	s_delay_alu instid0(VALU_DEP_2) | instskip(NEXT) | instid1(SALU_CYCLE_1)
	s_and_b32 s17, vcc_lo, exec_lo
	s_or_b32 s13, s13, s17
	s_or_b32 exec_lo, exec_lo, s30
	s_and_saveexec_b32 s17, s13
	s_cbranch_execnz .LBB4_7151
	s_branch .LBB4_7152
.LBB4_7417:                             ;   in Loop: Header=BB4_6830 Depth=3
	s_mov_b32 s13, -1
	s_mov_b32 s31, exec_lo
                                        ; implicit-def: $sgpr17
	v_cmpx_eq_u16_e64 0x80, v178
; %bb.7418:                             ;   in Loop: Header=BB4_6830 Depth=3
	s_mov_b32 s17, 0x7f800001
	s_xor_b32 s13, exec_lo, -1
; %bb.7419:                             ;   in Loop: Header=BB4_6830 Depth=3
	s_or_b32 exec_lo, exec_lo, s31
	s_delay_alu instid0(SALU_CYCLE_1)
	s_and_b32 s13, s13, exec_lo
                                        ; implicit-def: $vgpr178
	s_or_saveexec_b32 s30, s30
	v_mov_b32_e32 v177, s17
	s_xor_b32 exec_lo, exec_lo, s30
	s_cbranch_execz .LBB4_7162
.LBB4_7420:                             ;   in Loop: Header=BB4_6830 Depth=3
	v_cmp_ne_u16_e64 vcc_lo, 0, v178
	v_mov_b32_e32 v177, 0
	s_and_not1_b32 s13, s13, exec_lo
	s_delay_alu instid0(VALU_DEP_2) | instskip(NEXT) | instid1(SALU_CYCLE_1)
	s_and_b32 s17, vcc_lo, exec_lo
	s_or_b32 s13, s13, s17
	s_or_b32 exec_lo, exec_lo, s30
	s_and_saveexec_b32 s17, s13
	s_cbranch_execnz .LBB4_7163
	s_branch .LBB4_7164
.LBB4_7421:                             ;   in Loop: Header=BB4_6830 Depth=3
	s_mov_b32 s13, -1
	s_mov_b32 s31, exec_lo
                                        ; implicit-def: $sgpr17
	v_cmpx_eq_u16_e64 0x80, v178
; %bb.7422:                             ;   in Loop: Header=BB4_6830 Depth=3
	s_mov_b32 s17, 0x7f800001
	s_xor_b32 s13, exec_lo, -1
; %bb.7423:                             ;   in Loop: Header=BB4_6830 Depth=3
	s_or_b32 exec_lo, exec_lo, s31
	s_delay_alu instid0(SALU_CYCLE_1)
	s_and_b32 s13, s13, exec_lo
                                        ; implicit-def: $vgpr178
	s_or_saveexec_b32 s30, s30
	v_mov_b32_e32 v149, s17
	s_xor_b32 exec_lo, exec_lo, s30
	s_cbranch_execz .LBB4_7166
.LBB4_7424:                             ;   in Loop: Header=BB4_6830 Depth=3
	v_cmp_ne_u16_e64 vcc_lo, 0, v178
	v_mov_b32_e32 v149, 0
	s_and_not1_b32 s13, s13, exec_lo
	s_delay_alu instid0(VALU_DEP_2) | instskip(NEXT) | instid1(SALU_CYCLE_1)
	s_and_b32 s17, vcc_lo, exec_lo
	s_or_b32 s13, s13, s17
	s_or_b32 exec_lo, exec_lo, s30
	s_and_saveexec_b32 s17, s13
	s_cbranch_execnz .LBB4_7167
	s_branch .LBB4_7168
.LBB4_7425:                             ;   in Loop: Header=BB4_6830 Depth=3
	s_mov_b32 s13, -1
	s_mov_b32 s31, exec_lo
                                        ; implicit-def: $sgpr17
	v_cmpx_eq_u16_e64 0x80, v177
; %bb.7426:                             ;   in Loop: Header=BB4_6830 Depth=3
	s_mov_b32 s17, 0x7f800001
	s_xor_b32 s13, exec_lo, -1
; %bb.7427:                             ;   in Loop: Header=BB4_6830 Depth=3
	s_or_b32 exec_lo, exec_lo, s31
	s_delay_alu instid0(SALU_CYCLE_1)
	s_and_b32 s13, s13, exec_lo
                                        ; implicit-def: $vgpr177
	s_or_saveexec_b32 s30, s30
	v_mov_b32_e32 v176, s17
	s_xor_b32 exec_lo, exec_lo, s30
	s_cbranch_execz .LBB4_7178
.LBB4_7428:                             ;   in Loop: Header=BB4_6830 Depth=3
	v_cmp_ne_u16_e64 vcc_lo, 0, v177
	v_mov_b32_e32 v176, 0
	s_and_not1_b32 s13, s13, exec_lo
	s_delay_alu instid0(VALU_DEP_2) | instskip(NEXT) | instid1(SALU_CYCLE_1)
	s_and_b32 s17, vcc_lo, exec_lo
	s_or_b32 s13, s13, s17
	s_or_b32 exec_lo, exec_lo, s30
	s_and_saveexec_b32 s17, s13
	s_cbranch_execnz .LBB4_7179
	s_branch .LBB4_7180
.LBB4_7429:                             ;   in Loop: Header=BB4_6830 Depth=3
	s_mov_b32 s13, -1
	s_mov_b32 s31, exec_lo
                                        ; implicit-def: $sgpr17
	v_cmpx_eq_u16_e64 0x80, v177
; %bb.7430:                             ;   in Loop: Header=BB4_6830 Depth=3
	s_mov_b32 s17, 0x7f800001
	s_xor_b32 s13, exec_lo, -1
; %bb.7431:                             ;   in Loop: Header=BB4_6830 Depth=3
	s_or_b32 exec_lo, exec_lo, s31
	s_delay_alu instid0(SALU_CYCLE_1)
	s_and_b32 s13, s13, exec_lo
                                        ; implicit-def: $vgpr177
	s_or_saveexec_b32 s30, s30
	v_mov_b32_e32 v148, s17
	s_xor_b32 exec_lo, exec_lo, s30
	s_cbranch_execz .LBB4_7182
.LBB4_7432:                             ;   in Loop: Header=BB4_6830 Depth=3
	v_cmp_ne_u16_e64 vcc_lo, 0, v177
	v_mov_b32_e32 v148, 0
	s_and_not1_b32 s13, s13, exec_lo
	s_delay_alu instid0(VALU_DEP_2) | instskip(NEXT) | instid1(SALU_CYCLE_1)
	s_and_b32 s17, vcc_lo, exec_lo
	s_or_b32 s13, s13, s17
	s_or_b32 exec_lo, exec_lo, s30
	s_and_saveexec_b32 s17, s13
	s_cbranch_execnz .LBB4_7183
	s_branch .LBB4_7184
.LBB4_7433:                             ;   in Loop: Header=BB4_6830 Depth=3
	s_mov_b32 s13, -1
	s_mov_b32 s31, exec_lo
                                        ; implicit-def: $sgpr17
	v_cmpx_eq_u16_e64 0x80, v176
; %bb.7434:                             ;   in Loop: Header=BB4_6830 Depth=3
	s_mov_b32 s17, 0x7f800001
	s_xor_b32 s13, exec_lo, -1
; %bb.7435:                             ;   in Loop: Header=BB4_6830 Depth=3
	s_or_b32 exec_lo, exec_lo, s31
	s_delay_alu instid0(SALU_CYCLE_1)
	s_and_b32 s13, s13, exec_lo
                                        ; implicit-def: $vgpr176
	s_or_saveexec_b32 s30, s30
	v_mov_b32_e32 v167, s17
	s_xor_b32 exec_lo, exec_lo, s30
	s_cbranch_execz .LBB4_7194
.LBB4_7436:                             ;   in Loop: Header=BB4_6830 Depth=3
	v_cmp_ne_u16_e64 vcc_lo, 0, v176
	v_mov_b32_e32 v167, 0
	s_and_not1_b32 s13, s13, exec_lo
	s_delay_alu instid0(VALU_DEP_2) | instskip(NEXT) | instid1(SALU_CYCLE_1)
	s_and_b32 s17, vcc_lo, exec_lo
	s_or_b32 s13, s13, s17
	s_or_b32 exec_lo, exec_lo, s30
	s_and_saveexec_b32 s17, s13
	s_cbranch_execnz .LBB4_7195
	s_branch .LBB4_7196
.LBB4_7437:                             ;   in Loop: Header=BB4_6830 Depth=3
	s_mov_b32 s13, -1
	s_mov_b32 s31, exec_lo
                                        ; implicit-def: $sgpr17
	v_cmpx_eq_u16_e64 0x80, v176
; %bb.7438:                             ;   in Loop: Header=BB4_6830 Depth=3
	s_mov_b32 s17, 0x7f800001
	s_xor_b32 s13, exec_lo, -1
; %bb.7439:                             ;   in Loop: Header=BB4_6830 Depth=3
	s_or_b32 exec_lo, exec_lo, s31
	s_delay_alu instid0(SALU_CYCLE_1)
	s_and_b32 s13, s13, exec_lo
                                        ; implicit-def: $vgpr176
	s_or_saveexec_b32 s30, s30
	v_mov_b32_e32 v146, s17
	s_xor_b32 exec_lo, exec_lo, s30
	s_cbranch_execz .LBB4_7198
.LBB4_7440:                             ;   in Loop: Header=BB4_6830 Depth=3
	v_cmp_ne_u16_e64 vcc_lo, 0, v176
	v_mov_b32_e32 v146, 0
	s_and_not1_b32 s13, s13, exec_lo
	s_delay_alu instid0(VALU_DEP_2) | instskip(NEXT) | instid1(SALU_CYCLE_1)
	s_and_b32 s17, vcc_lo, exec_lo
	s_or_b32 s13, s13, s17
	s_or_b32 exec_lo, exec_lo, s30
	s_and_saveexec_b32 s17, s13
	s_cbranch_execnz .LBB4_7199
	s_branch .LBB4_7200
.LBB4_7441:                             ;   in Loop: Header=BB4_6830 Depth=3
	s_mov_b32 s13, -1
	s_mov_b32 s31, exec_lo
                                        ; implicit-def: $sgpr17
	v_cmpx_eq_u16_e64 0x80, v167
; %bb.7442:                             ;   in Loop: Header=BB4_6830 Depth=3
	s_mov_b32 s17, 0x7f800001
	s_xor_b32 s13, exec_lo, -1
; %bb.7443:                             ;   in Loop: Header=BB4_6830 Depth=3
	s_or_b32 exec_lo, exec_lo, s31
	s_delay_alu instid0(SALU_CYCLE_1)
	s_and_b32 s13, s13, exec_lo
                                        ; implicit-def: $vgpr167
	s_or_saveexec_b32 s30, s30
	v_mov_b32_e32 v166, s17
	s_xor_b32 exec_lo, exec_lo, s30
	s_cbranch_execz .LBB4_7210
.LBB4_7444:                             ;   in Loop: Header=BB4_6830 Depth=3
	v_cmp_ne_u16_e64 vcc_lo, 0, v167
	v_mov_b32_e32 v166, 0
	s_and_not1_b32 s13, s13, exec_lo
	s_delay_alu instid0(VALU_DEP_2) | instskip(NEXT) | instid1(SALU_CYCLE_1)
	s_and_b32 s17, vcc_lo, exec_lo
	s_or_b32 s13, s13, s17
	s_or_b32 exec_lo, exec_lo, s30
	s_and_saveexec_b32 s17, s13
	s_cbranch_execnz .LBB4_7211
	s_branch .LBB4_7212
.LBB4_7445:                             ;   in Loop: Header=BB4_6830 Depth=3
	s_mov_b32 s13, -1
	s_mov_b32 s31, exec_lo
                                        ; implicit-def: $sgpr17
	v_cmpx_eq_u16_e64 0x80, v167
; %bb.7446:                             ;   in Loop: Header=BB4_6830 Depth=3
	s_mov_b32 s17, 0x7f800001
	s_xor_b32 s13, exec_lo, -1
; %bb.7447:                             ;   in Loop: Header=BB4_6830 Depth=3
	s_or_b32 exec_lo, exec_lo, s31
	s_delay_alu instid0(SALU_CYCLE_1)
	s_and_b32 s13, s13, exec_lo
                                        ; implicit-def: $vgpr167
	s_or_saveexec_b32 s30, s30
	v_mov_b32_e32 v145, s17
	s_xor_b32 exec_lo, exec_lo, s30
	s_cbranch_execz .LBB4_7214
.LBB4_7448:                             ;   in Loop: Header=BB4_6830 Depth=3
	v_cmp_ne_u16_e64 vcc_lo, 0, v167
	v_mov_b32_e32 v145, 0
	s_and_not1_b32 s13, s13, exec_lo
	s_delay_alu instid0(VALU_DEP_2) | instskip(NEXT) | instid1(SALU_CYCLE_1)
	s_and_b32 s17, vcc_lo, exec_lo
	s_or_b32 s13, s13, s17
	s_or_b32 exec_lo, exec_lo, s30
	s_and_saveexec_b32 s17, s13
	s_cbranch_execnz .LBB4_7215
	s_branch .LBB4_7216
.LBB4_7449:                             ;   in Loop: Header=BB4_6830 Depth=3
	s_mov_b32 s13, -1
	s_mov_b32 s31, exec_lo
                                        ; implicit-def: $sgpr17
	v_cmpx_eq_u16_e64 0x80, v166
; %bb.7450:                             ;   in Loop: Header=BB4_6830 Depth=3
	s_mov_b32 s17, 0x7f800001
	s_xor_b32 s13, exec_lo, -1
; %bb.7451:                             ;   in Loop: Header=BB4_6830 Depth=3
	s_or_b32 exec_lo, exec_lo, s31
	s_delay_alu instid0(SALU_CYCLE_1)
	s_and_b32 s13, s13, exec_lo
                                        ; implicit-def: $vgpr166
	s_or_saveexec_b32 s30, s30
	v_mov_b32_e32 v165, s17
	s_xor_b32 exec_lo, exec_lo, s30
	s_cbranch_execz .LBB4_7226
.LBB4_7452:                             ;   in Loop: Header=BB4_6830 Depth=3
	v_cmp_ne_u16_e64 vcc_lo, 0, v166
	v_mov_b32_e32 v165, 0
	s_and_not1_b32 s13, s13, exec_lo
	s_delay_alu instid0(VALU_DEP_2) | instskip(NEXT) | instid1(SALU_CYCLE_1)
	s_and_b32 s17, vcc_lo, exec_lo
	s_or_b32 s13, s13, s17
	s_or_b32 exec_lo, exec_lo, s30
	s_and_saveexec_b32 s17, s13
	s_cbranch_execnz .LBB4_7227
	s_branch .LBB4_7228
.LBB4_7453:                             ;   in Loop: Header=BB4_6830 Depth=3
	s_mov_b32 s13, -1
	s_mov_b32 s31, exec_lo
                                        ; implicit-def: $sgpr17
	v_cmpx_eq_u16_e64 0x80, v166
; %bb.7454:                             ;   in Loop: Header=BB4_6830 Depth=3
	s_mov_b32 s17, 0x7f800001
	s_xor_b32 s13, exec_lo, -1
; %bb.7455:                             ;   in Loop: Header=BB4_6830 Depth=3
	s_or_b32 exec_lo, exec_lo, s31
	s_delay_alu instid0(SALU_CYCLE_1)
	s_and_b32 s13, s13, exec_lo
                                        ; implicit-def: $vgpr166
	s_or_saveexec_b32 s30, s30
	v_mov_b32_e32 v135, s17
	s_xor_b32 exec_lo, exec_lo, s30
	s_cbranch_execz .LBB4_7230
.LBB4_7456:                             ;   in Loop: Header=BB4_6830 Depth=3
	v_cmp_ne_u16_e64 vcc_lo, 0, v166
	v_mov_b32_e32 v135, 0
	s_and_not1_b32 s13, s13, exec_lo
	s_delay_alu instid0(VALU_DEP_2) | instskip(NEXT) | instid1(SALU_CYCLE_1)
	s_and_b32 s17, vcc_lo, exec_lo
	s_or_b32 s13, s13, s17
	s_or_b32 exec_lo, exec_lo, s30
	s_and_saveexec_b32 s17, s13
	s_cbranch_execnz .LBB4_7231
	s_branch .LBB4_7232
.LBB4_7457:                             ;   in Loop: Header=BB4_6830 Depth=3
	s_mov_b32 s13, -1
	s_mov_b32 s31, exec_lo
                                        ; implicit-def: $sgpr17
	v_cmpx_eq_u16_e64 0x80, v165
; %bb.7458:                             ;   in Loop: Header=BB4_6830 Depth=3
	s_mov_b32 s17, 0x7f800001
	s_xor_b32 s13, exec_lo, -1
; %bb.7459:                             ;   in Loop: Header=BB4_6830 Depth=3
	s_or_b32 exec_lo, exec_lo, s31
	s_delay_alu instid0(SALU_CYCLE_1)
	s_and_b32 s13, s13, exec_lo
                                        ; implicit-def: $vgpr165
	s_or_saveexec_b32 s30, s30
	v_mov_b32_e32 v160, s17
	s_xor_b32 exec_lo, exec_lo, s30
	s_cbranch_execz .LBB4_7242
.LBB4_7460:                             ;   in Loop: Header=BB4_6830 Depth=3
	v_cmp_ne_u16_e64 vcc_lo, 0, v165
	v_mov_b32_e32 v160, 0
	s_and_not1_b32 s13, s13, exec_lo
	s_delay_alu instid0(VALU_DEP_2) | instskip(NEXT) | instid1(SALU_CYCLE_1)
	s_and_b32 s17, vcc_lo, exec_lo
	s_or_b32 s13, s13, s17
	s_or_b32 exec_lo, exec_lo, s30
	s_and_saveexec_b32 s17, s13
	s_cbranch_execnz .LBB4_7243
	s_branch .LBB4_7244
.LBB4_7461:                             ;   in Loop: Header=BB4_6830 Depth=3
	s_mov_b32 s13, -1
	s_mov_b32 s31, exec_lo
                                        ; implicit-def: $sgpr17
	v_cmpx_eq_u16_e64 0x80, v165
; %bb.7462:                             ;   in Loop: Header=BB4_6830 Depth=3
	s_mov_b32 s17, 0x7f800001
	s_xor_b32 s13, exec_lo, -1
; %bb.7463:                             ;   in Loop: Header=BB4_6830 Depth=3
	s_or_b32 exec_lo, exec_lo, s31
	s_delay_alu instid0(SALU_CYCLE_1)
	s_and_b32 s13, s13, exec_lo
                                        ; implicit-def: $vgpr165
	s_or_saveexec_b32 s30, s30
	v_mov_b32_e32 v133, s17
	s_xor_b32 exec_lo, exec_lo, s30
	s_cbranch_execz .LBB4_7246
.LBB4_7464:                             ;   in Loop: Header=BB4_6830 Depth=3
	v_cmp_ne_u16_e64 vcc_lo, 0, v165
	v_mov_b32_e32 v133, 0
	s_and_not1_b32 s13, s13, exec_lo
	s_delay_alu instid0(VALU_DEP_2) | instskip(NEXT) | instid1(SALU_CYCLE_1)
	s_and_b32 s17, vcc_lo, exec_lo
	s_or_b32 s13, s13, s17
	s_or_b32 exec_lo, exec_lo, s30
	s_and_saveexec_b32 s17, s13
	s_cbranch_execnz .LBB4_7247
	s_branch .LBB4_7248
.LBB4_7465:                             ;   in Loop: Header=BB4_6830 Depth=3
	s_mov_b32 s13, -1
	s_mov_b32 s31, exec_lo
                                        ; implicit-def: $sgpr17
	v_cmpx_eq_u16_e64 0x80, v160
; %bb.7466:                             ;   in Loop: Header=BB4_6830 Depth=3
	s_mov_b32 s17, 0x7f800001
	s_xor_b32 s13, exec_lo, -1
; %bb.7467:                             ;   in Loop: Header=BB4_6830 Depth=3
	s_or_b32 exec_lo, exec_lo, s31
	s_delay_alu instid0(SALU_CYCLE_1)
	s_and_b32 s13, s13, exec_lo
                                        ; implicit-def: $vgpr160
	s_or_saveexec_b32 s30, s30
	v_mov_b32_e32 v147, s17
	s_xor_b32 exec_lo, exec_lo, s30
	s_cbranch_execz .LBB4_7258
.LBB4_7468:                             ;   in Loop: Header=BB4_6830 Depth=3
	v_cmp_ne_u16_e64 vcc_lo, 0, v160
	v_mov_b32_e32 v147, 0
	s_and_not1_b32 s13, s13, exec_lo
	s_delay_alu instid0(VALU_DEP_2) | instskip(NEXT) | instid1(SALU_CYCLE_1)
	s_and_b32 s17, vcc_lo, exec_lo
	s_or_b32 s13, s13, s17
	s_or_b32 exec_lo, exec_lo, s30
	s_and_saveexec_b32 s17, s13
	s_cbranch_execnz .LBB4_7259
	s_branch .LBB4_7260
.LBB4_7469:                             ;   in Loop: Header=BB4_6830 Depth=3
	s_mov_b32 s13, -1
	s_mov_b32 s31, exec_lo
                                        ; implicit-def: $sgpr17
	v_cmpx_eq_u16_e64 0x80, v160
; %bb.7470:                             ;   in Loop: Header=BB4_6830 Depth=3
	s_mov_b32 s17, 0x7f800001
	s_xor_b32 s13, exec_lo, -1
; %bb.7471:                             ;   in Loop: Header=BB4_6830 Depth=3
	s_or_b32 exec_lo, exec_lo, s31
	s_delay_alu instid0(SALU_CYCLE_1)
	s_and_b32 s13, s13, exec_lo
                                        ; implicit-def: $vgpr160
	s_or_saveexec_b32 s30, s30
	v_mov_b32_e32 v69, s17
	s_xor_b32 exec_lo, exec_lo, s30
	s_cbranch_execz .LBB4_7262
.LBB4_7472:                             ;   in Loop: Header=BB4_6830 Depth=3
	v_cmp_ne_u16_e64 vcc_lo, 0, v160
	v_mov_b32_e32 v69, 0
	s_and_not1_b32 s13, s13, exec_lo
	s_delay_alu instid0(VALU_DEP_2) | instskip(NEXT) | instid1(SALU_CYCLE_1)
	s_and_b32 s17, vcc_lo, exec_lo
	s_or_b32 s13, s13, s17
	s_or_b32 exec_lo, exec_lo, s30
	s_and_saveexec_b32 s17, s13
	s_cbranch_execnz .LBB4_7263
	s_branch .LBB4_7264
.LBB4_7473:                             ;   in Loop: Header=BB4_6830 Depth=3
	s_mov_b32 s13, -1
	s_mov_b32 s31, exec_lo
                                        ; implicit-def: $sgpr17
	v_cmpx_eq_u16_e64 0x80, v147
; %bb.7474:                             ;   in Loop: Header=BB4_6830 Depth=3
	s_mov_b32 s17, 0x7f800001
	s_xor_b32 s13, exec_lo, -1
; %bb.7475:                             ;   in Loop: Header=BB4_6830 Depth=3
	s_or_b32 exec_lo, exec_lo, s31
	s_delay_alu instid0(SALU_CYCLE_1)
	s_and_b32 s13, s13, exec_lo
                                        ; implicit-def: $vgpr147
	s_or_saveexec_b32 s30, s30
	v_mov_b32_e32 v134, s17
	s_xor_b32 exec_lo, exec_lo, s30
	s_cbranch_execz .LBB4_7274
.LBB4_7476:                             ;   in Loop: Header=BB4_6830 Depth=3
	v_cmp_ne_u16_e64 vcc_lo, 0, v147
	v_mov_b32_e32 v134, 0
	s_and_not1_b32 s13, s13, exec_lo
	s_delay_alu instid0(VALU_DEP_2) | instskip(NEXT) | instid1(SALU_CYCLE_1)
	s_and_b32 s17, vcc_lo, exec_lo
	s_or_b32 s13, s13, s17
	s_or_b32 exec_lo, exec_lo, s30
	s_and_saveexec_b32 s17, s13
	s_cbranch_execnz .LBB4_7275
	s_branch .LBB4_7276
.LBB4_7477:                             ;   in Loop: Header=BB4_6830 Depth=3
	s_mov_b32 s13, -1
	s_mov_b32 s31, exec_lo
                                        ; implicit-def: $sgpr17
	v_cmpx_eq_u16_e64 0x80, v147
; %bb.7478:                             ;   in Loop: Header=BB4_6830 Depth=3
	s_mov_b32 s17, 0x7f800001
	s_xor_b32 s13, exec_lo, -1
; %bb.7479:                             ;   in Loop: Header=BB4_6830 Depth=3
	s_or_b32 exec_lo, exec_lo, s31
	s_delay_alu instid0(SALU_CYCLE_1)
	s_and_b32 s13, s13, exec_lo
                                        ; implicit-def: $vgpr147
	s_or_saveexec_b32 s30, s30
	v_mov_b32_e32 v54, s17
	s_xor_b32 exec_lo, exec_lo, s30
	s_cbranch_execz .LBB4_7278
.LBB4_7480:                             ;   in Loop: Header=BB4_6830 Depth=3
	v_cmp_ne_u16_e64 vcc_lo, 0, v147
	v_mov_b32_e32 v54, 0
	s_and_not1_b32 s13, s13, exec_lo
	s_delay_alu instid0(VALU_DEP_2) | instskip(NEXT) | instid1(SALU_CYCLE_1)
	s_and_b32 s17, vcc_lo, exec_lo
	s_or_b32 s13, s13, s17
	s_or_b32 exec_lo, exec_lo, s30
	s_and_saveexec_b32 s17, s13
	s_cbranch_execnz .LBB4_7279
	s_branch .LBB4_7280
.LBB4_7481:                             ;   in Loop: Header=BB4_4786 Depth=2
	s_or_b32 exec_lo, exec_lo, s16
.LBB4_7482:                             ;   in Loop: Header=BB4_4786 Depth=2
	s_delay_alu instid0(SALU_CYCLE_1) | instskip(SKIP_2) | instid1(VALU_DEP_1)
	s_or_b32 exec_lo, exec_lo, s14
	v_lshlrev_b32_e32 v8, 9, v66
	s_mov_b32 s30, exec_lo
	v_cmpx_ne_u32_e64 v65, v8
	s_cbranch_execz .LBB4_7539
; %bb.7483:                             ;   in Loop: Header=BB4_4786 Depth=2
	v_ashrrev_i32_e32 v9, 31, v67
	v_lshlrev_b32_e32 v2, 5, v2
	s_delay_alu instid0(VALU_DEP_2) | instskip(NEXT) | instid1(VALU_DEP_1)
	v_lshrrev_b32_e32 v9, 27, v9
	v_add_nc_u32_e32 v9, v67, v9
	s_delay_alu instid0(VALU_DEP_1) | instskip(NEXT) | instid1(VALU_DEP_1)
	v_and_b32_e32 v9, 0xffffffe0, v9
	v_sub_nc_u32_e32 v9, v67, v9
	s_delay_alu instid0(VALU_DEP_1) | instskip(NEXT) | instid1(VALU_DEP_1)
	v_sub_nc_u32_e32 v2, v9, v2
	v_add_nc_u32_e32 v8, v8, v2
	s_delay_alu instid0(VALU_DEP_1) | instskip(NEXT) | instid1(VALU_DEP_1)
	v_sub_nc_u32_e32 v2, v65, v8
	v_cmp_lt_i32_e32 vcc_lo, 0, v2
	s_and_b32 exec_lo, exec_lo, vcc_lo
	s_cbranch_execz .LBB4_7539
; %bb.7484:                             ;   in Loop: Header=BB4_4786 Depth=2
	s_cbranch_execz .LBB4_7485
; %bb.11715:
	s_getpc_b64 s[48:49]
.Lpost_getpc266:
	s_add_u32 s48, s48, (.LBB4_11343-.Lpost_getpc266)&4294967295
	s_addc_u32 s49, s49, (.LBB4_11343-.Lpost_getpc266)>>32
	s_setpc_b64 s[48:49]
.LBB4_7485:                             ;   in Loop: Header=BB4_4786 Depth=2
	ds_load_b128 v[9:12], v0
	v_add_nc_u32_e32 v13, v8, v64
	s_mov_b32 s31, 0
	s_delay_alu instid0(VALU_DEP_1) | instskip(SKIP_2) | instid1(VALU_DEP_2)
	v_ashrrev_i32_e32 v14, 31, v13
	s_waitcnt lgkmcnt(0)
	v_add_co_u32 v8, vcc_lo, v9, v13
	v_add_co_ci_u32_e32 v9, vcc_lo, v10, v14, vcc_lo
	v_add_co_u32 v10, vcc_lo, v11, v13
	v_add_co_ci_u32_e32 v11, vcc_lo, v12, v14, vcc_lo
	s_delay_alu instid0(VALU_DEP_3) | instskip(NEXT) | instid1(VALU_DEP_2)
	v_dual_mov_b32 v13, v9 :: v_dual_mov_b32 v12, v8
	v_dual_mov_b32 v15, v11 :: v_dual_mov_b32 v14, v10
.LBB4_7486:                             ;   Parent Loop BB4_51 Depth=1
                                        ;     Parent Loop BB4_4786 Depth=2
                                        ; =>    This Loop Header: Depth=3
                                        ;         Child Loop BB4_7525 Depth 4
	s_cbranch_execz .LBB4_7487
; %bb.11717:
	s_getpc_b64 s[48:49]
.Lpost_getpc267:
	s_add_u32 s48, s48, (.LBB4_11347-.Lpost_getpc267)&4294967295
	s_addc_u32 s49, s49, (.LBB4_11347-.Lpost_getpc267)>>32
	s_setpc_b64 s[48:49]
.LBB4_7487:                             ;   in Loop: Header=BB4_7486 Depth=3
	ds_load_b64 v[53:54], v0
	s_waitcnt lgkmcnt(0)
	v_and_b32_e32 v54, 0xff, v53
	v_readfirstlane_b32 s13, v53
	s_delay_alu instid0(VALU_DEP_2)
	v_cmp_gt_i16_e32 vcc_lo, 0x80, v54
	s_cbranch_vccnz .LBB4_7491
; %bb.7488:                             ;   in Loop: Header=BB4_7486 Depth=3
	v_cmp_eq_u16_e32 vcc_lo, 0x80, v54
	s_mov_b32 s14, -1
                                        ; implicit-def: $sgpr16
	s_cbranch_vccz .LBB4_7490
; %bb.7489:                             ;   in Loop: Header=BB4_7486 Depth=3
	s_mov_b32 s14, 0
	s_mov_b32 s16, 0x7f800001
.LBB4_7490:                             ;   in Loop: Header=BB4_7486 Depth=3
	s_mov_b32 s17, 0
	s_branch .LBB4_7492
.LBB4_7491:                             ;   in Loop: Header=BB4_7486 Depth=3
	s_mov_b32 s17, -1
	s_mov_b32 s14, 0
                                        ; implicit-def: $sgpr16
.LBB4_7492:                             ;   in Loop: Header=BB4_7486 Depth=3
	s_and_b32 vcc_lo, exec_lo, s17
	s_cbranch_vccz .LBB4_7494
; %bb.7493:                             ;   in Loop: Header=BB4_7486 Depth=3
	v_cmp_ne_u16_e64 s14, 0, v54
	s_mov_b32 s16, 0
.LBB4_7494:                             ;   in Loop: Header=BB4_7486 Depth=3
	s_delay_alu instid0(SALU_CYCLE_1) | instskip(NEXT) | instid1(VALU_DEP_2)
	v_mov_b32_e32 v54, s16
	s_and_not1_b32 vcc_lo, exec_lo, s14
	s_cbranch_vccnz .LBB4_7496
; %bb.7495:                             ;   in Loop: Header=BB4_7486 Depth=3
	s_and_b32 s14, s13, 3
	s_bfe_u32 s17, s13, 0x50002
	s_clz_i32_u32 s16, s14
	v_lshlrev_b32_e32 v53, 24, v53
	s_min_u32 s16, s16, 32
	s_delay_alu instid0(SALU_CYCLE_1)
	s_sub_i32 vcc_lo, s16, 29
	s_sub_i32 s16, 30, s16
	s_lshl_b32 s13, s13, vcc_lo
	v_and_b32_e32 v53, 0x80000000, v53
	s_and_b32 s13, s13, 3
	s_cmp_eq_u32 s17, 0
	s_cselect_b32 s16, s16, s17
	s_cselect_b32 s13, s13, s14
	s_lshl_b32 s14, s16, 23
	s_lshl_b32 s13, s13, 21
	s_add_i32 s14, s14, 0x37800000
	s_delay_alu instid0(SALU_CYCLE_1) | instskip(NEXT) | instid1(VALU_DEP_1)
	v_or_b32_e32 v53, s14, v53
	v_or_b32_e32 v54, s13, v53
.LBB4_7496:                             ;   in Loop: Header=BB4_7486 Depth=3
	flat_load_u8 v53, v[12:13] slc dlc
	s_mov_b32 s13, 0
	s_mov_b32 s16, exec_lo
                                        ; implicit-def: $sgpr14
	s_waitcnt vmcnt(0) lgkmcnt(0)
	v_cmpx_lt_i16_e32 0x7f, v53
	s_xor_b32 s16, exec_lo, s16
	s_cbranch_execnz .LBB4_7527
; %bb.7497:                             ;   in Loop: Header=BB4_7486 Depth=3
	s_or_saveexec_b32 s16, s16
	v_mov_b32_e32 v64, s14
	s_xor_b32 exec_lo, exec_lo, s16
	s_cbranch_execnz .LBB4_7530
.LBB4_7498:                             ;   in Loop: Header=BB4_7486 Depth=3
	s_or_b32 exec_lo, exec_lo, s16
	s_and_saveexec_b32 s14, s13
	s_cbranch_execz .LBB4_7500
.LBB4_7499:                             ;   in Loop: Header=BB4_7486 Depth=3
	v_and_b32_e32 v64, 0xffff, v53
	v_lshlrev_b32_e32 v53, 24, v53
	s_delay_alu instid0(VALU_DEP_2) | instskip(NEXT) | instid1(VALU_DEP_2)
	v_and_b32_e32 v65, 3, v64
	v_and_b32_e32 v53, 0x80000000, v53
	s_delay_alu instid0(VALU_DEP_2) | instskip(NEXT) | instid1(VALU_DEP_1)
	v_clz_i32_u32_e32 v66, v65
	v_min_u32_e32 v66, 32, v66
	s_delay_alu instid0(VALU_DEP_1) | instskip(SKIP_1) | instid1(VALU_DEP_2)
	v_subrev_nc_u32_e32 v67, 29, v66
	v_sub_nc_u32_e32 v66, 30, v66
	v_lshlrev_b32_e32 v67, v67, v64
	v_bfe_u32 v64, v64, 2, 5
	s_delay_alu instid0(VALU_DEP_2) | instskip(NEXT) | instid1(VALU_DEP_2)
	v_and_b32_e32 v67, 3, v67
	v_cmp_eq_u32_e32 vcc_lo, 0, v64
	s_delay_alu instid0(VALU_DEP_2) | instskip(NEXT) | instid1(VALU_DEP_1)
	v_dual_cndmask_b32 v64, v64, v66 :: v_dual_cndmask_b32 v65, v65, v67
	v_lshl_add_u32 v64, v64, 23, 0x37800000
	s_delay_alu instid0(VALU_DEP_2) | instskip(NEXT) | instid1(VALU_DEP_1)
	v_lshlrev_b32_e32 v65, 21, v65
	v_or3_b32 v64, v53, v64, v65
.LBB4_7500:                             ;   in Loop: Header=BB4_7486 Depth=3
	s_or_b32 exec_lo, exec_lo, s14
	s_delay_alu instid0(VALU_DEP_1) | instskip(SKIP_1) | instid1(VALU_DEP_1)
	v_dual_mul_f32 v53, v54, v64 :: v_dual_mov_b32 v64, 0x80
	s_mov_b32 s14, exec_lo
	v_and_b32_e32 v54, 0x7f800000, v53
	s_delay_alu instid0(VALU_DEP_1)
	v_cmpx_ne_u32_e32 0x7f800000, v54
	s_cbranch_execz .LBB4_7508
; %bb.7501:                             ;   in Loop: Header=BB4_7486 Depth=3
	v_mov_b32_e32 v64, 0
	s_mov_b32 s16, exec_lo
	v_cmpx_ne_u32_e32 0, v53
	s_cbranch_execz .LBB4_7507
; %bb.7502:                             ;   in Loop: Header=BB4_7486 Depth=3
	v_bfe_u32 v54, v53, 23, 8
	v_and_b32_e32 v64, 0x7fffff, v53
	s_delay_alu instid0(VALU_DEP_2) | instskip(SKIP_1) | instid1(VALU_DEP_3)
	v_sub_nc_u32_e32 v65, 0x70, v54
	v_cmp_gt_u32_e32 vcc_lo, 0x71, v54
	v_or_b32_e32 v66, 0x800000, v64
	s_delay_alu instid0(VALU_DEP_3) | instskip(SKIP_2) | instid1(VALU_DEP_4)
	v_cndmask_b32_e32 v65, 0, v65, vcc_lo
	v_cmp_eq_u32_e32 vcc_lo, 0, v54
	v_add_nc_u32_e32 v54, 0xffffff91, v54
	v_cndmask_b32_e32 v64, v66, v64, vcc_lo
	s_delay_alu instid0(VALU_DEP_4) | instskip(NEXT) | instid1(VALU_DEP_3)
	v_cndmask_b32_e64 v65, v65, 0x6f, vcc_lo
	v_cndmask_b32_e64 v54, v54, 0xffffff92, vcc_lo
	s_delay_alu instid0(VALU_DEP_2) | instskip(SKIP_2) | instid1(VALU_DEP_4)
	v_lshrrev_b32_e32 v67, v65, v64
	v_lshl_add_u32 v66, 0x200000, v65, -1
	v_lshlrev_b32_e64 v69, v65, 0x100000
	v_add_nc_u32_e32 v65, v65, v54
	s_delay_alu instid0(VALU_DEP_4) | instskip(NEXT) | instid1(VALU_DEP_4)
	v_bfe_u32 v68, v67, 21, 1
	v_and_b32_e32 v64, v66, v64
	s_delay_alu instid0(VALU_DEP_2) | instskip(NEXT) | instid1(VALU_DEP_2)
	v_add_nc_u32_e32 v66, -1, v68
	v_cmp_eq_u32_e64 s13, v64, v69
	s_delay_alu instid0(VALU_DEP_1) | instskip(SKIP_2) | instid1(VALU_DEP_2)
	v_cndmask_b32_e64 v64, 0, v66, s13
	v_lshrrev_b32_e32 v66, 23, v67
	s_mov_b32 s13, exec_lo
	v_add_nc_u32_e32 v64, v64, v67
	s_delay_alu instid0(VALU_DEP_2) | instskip(NEXT) | instid1(VALU_DEP_2)
	v_xor_b32_e32 v66, 1, v66
	v_and_b32_e32 v54, 0x1fffff, v64
	s_delay_alu instid0(VALU_DEP_1) | instskip(NEXT) | instid1(VALU_DEP_3)
	v_add_nc_u32_e32 v64, v54, v67
                                        ; implicit-def: $vgpr54
	v_cmpx_ne_u32_e64 v65, v66
	s_xor_b32 s13, exec_lo, s13
; %bb.7503:                             ;   in Loop: Header=BB4_7486 Depth=3
	s_delay_alu instid0(VALU_DEP_2) | instskip(SKIP_2) | instid1(VALU_DEP_2)
	v_cmp_lt_u32_e32 vcc_lo, 0xffffff, v64
	v_sub_nc_u32_e32 v54, v65, v66
	v_cndmask_b32_e64 v65, 0, 1, vcc_lo
	v_add_co_ci_u32_e32 v54, vcc_lo, 0, v54, vcc_lo
	s_delay_alu instid0(VALU_DEP_2)
	v_lshrrev_b32_e32 v64, v65, v64
; %bb.7504:                             ;   in Loop: Header=BB4_7486 Depth=3
	s_and_not1_saveexec_b32 s13, s13
; %bb.7505:                             ;   in Loop: Header=BB4_7486 Depth=3
	s_delay_alu instid0(VALU_DEP_1)
	v_bfe_u32 v54, v64, 23, 1
; %bb.7506:                             ;   in Loop: Header=BB4_7486 Depth=3
	s_or_b32 exec_lo, exec_lo, s13
	v_lshrrev_b32_e32 v64, 21, v64
	s_delay_alu instid0(VALU_DEP_2) | instskip(SKIP_2) | instid1(VALU_DEP_2)
	v_cmp_gt_i32_e32 vcc_lo, 32, v54
	v_lshrrev_b32_e32 v53, 24, v53
	v_min_i32_e32 v65, 31, v54
	v_dual_cndmask_b32 v64, 3, v64 :: v_dual_and_b32 v53, 0x80, v53
	s_delay_alu instid0(VALU_DEP_2) | instskip(NEXT) | instid1(VALU_DEP_2)
	v_lshlrev_b32_e32 v65, 2, v65
	v_and_b32_e32 v66, 3, v64
	v_or_b32_e32 v54, v54, v64
	s_delay_alu instid0(VALU_DEP_2) | instskip(NEXT) | instid1(VALU_DEP_2)
	v_or3_b32 v53, v65, v53, v66
	v_cmp_ne_u32_e32 vcc_lo, 0, v54
	s_delay_alu instid0(VALU_DEP_2)
	v_cndmask_b32_e32 v64, 0, v53, vcc_lo
.LBB4_7507:                             ;   in Loop: Header=BB4_7486 Depth=3
	s_or_b32 exec_lo, exec_lo, s16
.LBB4_7508:                             ;   in Loop: Header=BB4_7486 Depth=3
	s_delay_alu instid0(SALU_CYCLE_1) | instskip(SKIP_4) | instid1(VALU_DEP_1)
	s_or_b32 exec_lo, exec_lo, s14
	flat_load_u8 v53, v[14:15] slc dlc
	v_and_b32_e32 v65, 0xff, v64
	s_mov_b32 s13, 0
	s_mov_b32 s16, exec_lo
                                        ; implicit-def: $sgpr14
	v_cmpx_lt_i16_e32 0x7f, v65
	s_xor_b32 s16, exec_lo, s16
	s_cbranch_execnz .LBB4_7531
; %bb.7509:                             ;   in Loop: Header=BB4_7486 Depth=3
	s_or_saveexec_b32 s16, s16
	v_mov_b32_e32 v54, s14
	s_xor_b32 exec_lo, exec_lo, s16
	s_cbranch_execnz .LBB4_7534
.LBB4_7510:                             ;   in Loop: Header=BB4_7486 Depth=3
	s_or_b32 exec_lo, exec_lo, s16
	s_and_saveexec_b32 s14, s13
	s_cbranch_execz .LBB4_7512
.LBB4_7511:                             ;   in Loop: Header=BB4_7486 Depth=3
	v_lshrrev_b16 v67, 2, v64
	s_delay_alu instid0(VALU_DEP_1) | instskip(NEXT) | instid1(VALU_DEP_1)
	v_and_b32_e32 v67, 31, v67
	v_cmp_eq_u32_e32 vcc_lo, 0, v67
	v_and_b32_e32 v54, 3, v64
	s_delay_alu instid0(VALU_DEP_1) | instskip(NEXT) | instid1(VALU_DEP_1)
	v_clz_i32_u32_e32 v65, v54
	v_min_u32_e32 v65, 32, v65
	s_delay_alu instid0(VALU_DEP_1) | instskip(SKIP_1) | instid1(VALU_DEP_1)
	v_subrev_nc_u32_e32 v66, 29, v65
	v_sub_nc_u32_e32 v65, 30, v65
	v_dual_cndmask_b32 v65, v67, v65 :: v_dual_lshlrev_b32 v66, v66, v64
	v_lshlrev_b32_e32 v64, 24, v64
	s_delay_alu instid0(VALU_DEP_2) | instskip(NEXT) | instid1(VALU_DEP_3)
	v_and_b32_e32 v66, 3, v66
	v_lshl_add_u32 v65, v65, 23, 0x37800000
	s_delay_alu instid0(VALU_DEP_3) | instskip(NEXT) | instid1(VALU_DEP_3)
	v_and_b32_e32 v64, 0x80000000, v64
	v_cndmask_b32_e32 v54, v54, v66, vcc_lo
	s_delay_alu instid0(VALU_DEP_1) | instskip(NEXT) | instid1(VALU_DEP_1)
	v_lshlrev_b32_e32 v54, 21, v54
	v_or3_b32 v54, v64, v65, v54
.LBB4_7512:                             ;   in Loop: Header=BB4_7486 Depth=3
	s_or_b32 exec_lo, exec_lo, s14
	s_waitcnt vmcnt(0) lgkmcnt(0)
	v_and_b32_e32 v65, 0xff, v53
	s_mov_b32 s13, 0
	s_mov_b32 s16, exec_lo
                                        ; implicit-def: $sgpr14
	s_delay_alu instid0(VALU_DEP_1)
	v_cmpx_lt_i16_e32 0x7f, v65
	s_xor_b32 s16, exec_lo, s16
	s_cbranch_execnz .LBB4_7535
; %bb.7513:                             ;   in Loop: Header=BB4_7486 Depth=3
	s_or_saveexec_b32 s16, s16
	v_mov_b32_e32 v64, s14
	s_xor_b32 exec_lo, exec_lo, s16
	s_cbranch_execnz .LBB4_7538
.LBB4_7514:                             ;   in Loop: Header=BB4_7486 Depth=3
	s_or_b32 exec_lo, exec_lo, s16
	s_and_saveexec_b32 s14, s13
	s_cbranch_execz .LBB4_7516
.LBB4_7515:                             ;   in Loop: Header=BB4_7486 Depth=3
	v_and_b32_e32 v64, 3, v53
	v_lshrrev_b16 v67, 2, v53
	s_delay_alu instid0(VALU_DEP_2) | instskip(NEXT) | instid1(VALU_DEP_1)
	v_clz_i32_u32_e32 v65, v64
	v_min_u32_e32 v65, 32, v65
	s_delay_alu instid0(VALU_DEP_1) | instskip(SKIP_1) | instid1(VALU_DEP_2)
	v_subrev_nc_u32_e32 v66, 29, v65
	v_sub_nc_u32_e32 v65, 30, v65
	v_lshlrev_b32_e32 v66, v66, v53
	v_lshlrev_b32_e32 v53, 24, v53
	s_delay_alu instid0(VALU_DEP_2) | instskip(SKIP_1) | instid1(VALU_DEP_3)
	v_and_b32_e32 v66, 3, v66
	v_and_b32_e32 v67, 31, v67
	;; [unrolled: 1-line block ×3, first 2 shown]
	s_delay_alu instid0(VALU_DEP_2) | instskip(NEXT) | instid1(VALU_DEP_4)
	v_cmp_eq_u32_e32 vcc_lo, 0, v67
	v_dual_cndmask_b32 v64, v64, v66 :: v_dual_cndmask_b32 v65, v67, v65
	s_delay_alu instid0(VALU_DEP_1) | instskip(NEXT) | instid1(VALU_DEP_2)
	v_lshlrev_b32_e32 v64, 21, v64
	v_lshl_add_u32 v65, v65, 23, 0x37800000
	s_delay_alu instid0(VALU_DEP_1)
	v_or3_b32 v64, v53, v65, v64
.LBB4_7516:                             ;   in Loop: Header=BB4_7486 Depth=3
	s_or_b32 exec_lo, exec_lo, s14
	s_delay_alu instid0(VALU_DEP_1) | instskip(NEXT) | instid1(VALU_DEP_1)
	v_add_f32_e32 v53, v54, v64
	v_and_b32_e32 v54, 0x7f800000, v53
	s_delay_alu instid0(VALU_DEP_1)
	v_cmp_ne_u32_e32 vcc_lo, 0x7f800000, v54
	v_mov_b32_e32 v54, 0x80
	s_and_saveexec_b32 s14, vcc_lo
	s_cbranch_execz .LBB4_7524
; %bb.7517:                             ;   in Loop: Header=BB4_7486 Depth=3
	v_mov_b32_e32 v54, 0
	s_mov_b32 s16, exec_lo
	v_cmpx_ne_u32_e32 0, v53
	s_cbranch_execz .LBB4_7523
; %bb.7518:                             ;   in Loop: Header=BB4_7486 Depth=3
	v_bfe_u32 v54, v53, 23, 8
	v_and_b32_e32 v64, 0x7fffff, v53
	s_delay_alu instid0(VALU_DEP_2) | instskip(SKIP_1) | instid1(VALU_DEP_3)
	v_sub_nc_u32_e32 v65, 0x70, v54
	v_cmp_gt_u32_e32 vcc_lo, 0x71, v54
	v_or_b32_e32 v66, 0x800000, v64
	s_delay_alu instid0(VALU_DEP_3) | instskip(SKIP_2) | instid1(VALU_DEP_4)
	v_cndmask_b32_e32 v65, 0, v65, vcc_lo
	v_cmp_eq_u32_e32 vcc_lo, 0, v54
	v_add_nc_u32_e32 v54, 0xffffff91, v54
	v_cndmask_b32_e32 v64, v66, v64, vcc_lo
	s_delay_alu instid0(VALU_DEP_4) | instskip(NEXT) | instid1(VALU_DEP_3)
	v_cndmask_b32_e64 v65, v65, 0x6f, vcc_lo
	v_cndmask_b32_e64 v54, v54, 0xffffff92, vcc_lo
	s_delay_alu instid0(VALU_DEP_2) | instskip(SKIP_2) | instid1(VALU_DEP_4)
	v_lshrrev_b32_e32 v67, v65, v64
	v_lshl_add_u32 v66, 0x200000, v65, -1
	v_lshlrev_b32_e64 v69, v65, 0x100000
	v_add_nc_u32_e32 v65, v65, v54
	s_delay_alu instid0(VALU_DEP_4) | instskip(NEXT) | instid1(VALU_DEP_4)
	v_bfe_u32 v68, v67, 21, 1
	v_and_b32_e32 v64, v66, v64
	s_delay_alu instid0(VALU_DEP_2) | instskip(NEXT) | instid1(VALU_DEP_2)
	v_add_nc_u32_e32 v66, -1, v68
	v_cmp_eq_u32_e64 s13, v64, v69
	s_delay_alu instid0(VALU_DEP_1) | instskip(SKIP_2) | instid1(VALU_DEP_2)
	v_cndmask_b32_e64 v64, 0, v66, s13
	v_lshrrev_b32_e32 v66, 23, v67
	s_mov_b32 s13, exec_lo
	v_add_nc_u32_e32 v64, v64, v67
	s_delay_alu instid0(VALU_DEP_2) | instskip(NEXT) | instid1(VALU_DEP_2)
	v_xor_b32_e32 v66, 1, v66
	v_and_b32_e32 v54, 0x1fffff, v64
	s_delay_alu instid0(VALU_DEP_1) | instskip(NEXT) | instid1(VALU_DEP_3)
	v_add_nc_u32_e32 v64, v54, v67
                                        ; implicit-def: $vgpr54
	v_cmpx_ne_u32_e64 v65, v66
	s_xor_b32 s13, exec_lo, s13
; %bb.7519:                             ;   in Loop: Header=BB4_7486 Depth=3
	s_delay_alu instid0(VALU_DEP_2) | instskip(SKIP_2) | instid1(VALU_DEP_2)
	v_cmp_lt_u32_e32 vcc_lo, 0xffffff, v64
	v_sub_nc_u32_e32 v54, v65, v66
	v_cndmask_b32_e64 v65, 0, 1, vcc_lo
	v_add_co_ci_u32_e32 v54, vcc_lo, 0, v54, vcc_lo
	s_delay_alu instid0(VALU_DEP_2)
	v_lshrrev_b32_e32 v64, v65, v64
; %bb.7520:                             ;   in Loop: Header=BB4_7486 Depth=3
	s_and_not1_saveexec_b32 s13, s13
; %bb.7521:                             ;   in Loop: Header=BB4_7486 Depth=3
	s_delay_alu instid0(VALU_DEP_1)
	v_bfe_u32 v54, v64, 23, 1
; %bb.7522:                             ;   in Loop: Header=BB4_7486 Depth=3
	s_or_b32 exec_lo, exec_lo, s13
	v_lshrrev_b32_e32 v64, 21, v64
	s_delay_alu instid0(VALU_DEP_2) | instskip(SKIP_2) | instid1(VALU_DEP_2)
	v_cmp_gt_i32_e32 vcc_lo, 32, v54
	v_lshrrev_b32_e32 v53, 24, v53
	v_min_i32_e32 v65, 31, v54
	v_dual_cndmask_b32 v64, 3, v64 :: v_dual_and_b32 v53, 0x80, v53
	s_delay_alu instid0(VALU_DEP_2) | instskip(NEXT) | instid1(VALU_DEP_2)
	v_lshlrev_b32_e32 v65, 2, v65
	v_and_b32_e32 v66, 3, v64
	v_or_b32_e32 v54, v54, v64
	s_delay_alu instid0(VALU_DEP_2) | instskip(NEXT) | instid1(VALU_DEP_2)
	v_or3_b32 v53, v65, v53, v66
	v_cmp_ne_u32_e32 vcc_lo, 0, v54
	s_delay_alu instid0(VALU_DEP_2)
	v_cndmask_b32_e32 v54, 0, v53, vcc_lo
.LBB4_7523:                             ;   in Loop: Header=BB4_7486 Depth=3
	s_or_b32 exec_lo, exec_lo, s16
.LBB4_7524:                             ;   in Loop: Header=BB4_7486 Depth=3
	s_delay_alu instid0(SALU_CYCLE_1)
	s_or_b32 exec_lo, exec_lo, s14
	s_mov_b64 s[16:17], 0
	s_mov_b32 s34, -1
.LBB4_7525:                             ;   Parent Loop BB4_51 Depth=1
                                        ;     Parent Loop BB4_4786 Depth=2
                                        ;       Parent Loop BB4_7486 Depth=3
                                        ; =>      This Inner Loop Header: Depth=4
	s_cmp_eq_u32 s16, 1
	s_cselect_b32 vcc_lo, -1, 0
	s_cmp_eq_u32 s16, 0
	v_dual_cndmask_b32 v65, v9, v11 :: v_dual_cndmask_b32 v64, v8, v10
	s_mov_b64 s[16:17], 1
	s_delay_alu instid0(VALU_DEP_1) | instskip(NEXT) | instid1(VALU_DEP_1)
	v_add_co_u32 v53, s13, v64, 32
	v_add_co_ci_u32_e64 v66, s13, 0, v65, s13
	s_cselect_b32 s13, -1, 0
	s_and_b32 s14, exec_lo, s34
	s_delay_alu instid0(VALU_DEP_1)
	v_dual_cndmask_b32 v10, v10, v53 :: v_dual_cndmask_b32 v11, v11, v66
	v_cndmask_b32_e64 v9, v9, v66, s13
	v_cndmask_b32_e64 v8, v8, v53, s13
	s_mov_b32 s34, 0
	s_mov_b32 vcc_lo, s14
	flat_store_b8 v[64:65], v54 glc slc dlc
	s_cbranch_vccnz .LBB4_7525
; %bb.7526:                             ;   in Loop: Header=BB4_7486 Depth=3
	v_add_co_u32 v12, vcc_lo, v12, v112
	v_add_co_ci_u32_e32 v13, vcc_lo, v13, v113, vcc_lo
	v_add_co_u32 v14, vcc_lo, v14, v112
	v_sub_nc_u32_e32 v2, v2, v82
	v_add_co_ci_u32_e32 v15, vcc_lo, v15, v113, vcc_lo
	v_add_co_u32 v8, vcc_lo, v8, v100
	v_add_co_ci_u32_e32 v9, vcc_lo, v9, v103, vcc_lo
	s_delay_alu instid0(VALU_DEP_4) | instskip(SKIP_1) | instid1(VALU_DEP_1)
	v_cmp_gt_i32_e32 vcc_lo, 1, v2
	v_add_co_u32 v10, s13, v10, v100
	v_add_co_ci_u32_e64 v11, s13, v11, v103, s13
	s_or_b32 s31, vcc_lo, s31
	s_delay_alu instid0(SALU_CYCLE_1)
	s_and_not1_b32 exec_lo, exec_lo, s31
	s_cbranch_execnz .LBB4_7486
	s_branch .LBB4_7539
.LBB4_7527:                             ;   in Loop: Header=BB4_7486 Depth=3
	s_mov_b32 s13, -1
	s_mov_b32 s17, exec_lo
                                        ; implicit-def: $sgpr14
	v_cmpx_eq_u16_e32 0x80, v53
; %bb.7528:                             ;   in Loop: Header=BB4_7486 Depth=3
	s_mov_b32 s14, 0x7f800001
	s_xor_b32 s13, exec_lo, -1
; %bb.7529:                             ;   in Loop: Header=BB4_7486 Depth=3
	s_or_b32 exec_lo, exec_lo, s17
	s_delay_alu instid0(SALU_CYCLE_1)
	s_and_b32 s13, s13, exec_lo
	s_or_saveexec_b32 s16, s16
	v_mov_b32_e32 v64, s14
	s_xor_b32 exec_lo, exec_lo, s16
	s_cbranch_execz .LBB4_7498
.LBB4_7530:                             ;   in Loop: Header=BB4_7486 Depth=3
	v_cmp_ne_u16_e32 vcc_lo, 0, v53
	v_mov_b32_e32 v64, 0
	s_and_not1_b32 s13, s13, exec_lo
	s_and_b32 s14, vcc_lo, exec_lo
	s_delay_alu instid0(SALU_CYCLE_1)
	s_or_b32 s13, s13, s14
	s_or_b32 exec_lo, exec_lo, s16
	s_and_saveexec_b32 s14, s13
	s_cbranch_execnz .LBB4_7499
	s_branch .LBB4_7500
.LBB4_7531:                             ;   in Loop: Header=BB4_7486 Depth=3
	s_mov_b32 s13, -1
	s_mov_b32 s17, exec_lo
                                        ; implicit-def: $sgpr14
	v_cmpx_eq_u16_e32 0x80, v65
; %bb.7532:                             ;   in Loop: Header=BB4_7486 Depth=3
	s_mov_b32 s14, 0x7f800001
	s_xor_b32 s13, exec_lo, -1
; %bb.7533:                             ;   in Loop: Header=BB4_7486 Depth=3
	s_or_b32 exec_lo, exec_lo, s17
	s_delay_alu instid0(SALU_CYCLE_1)
	s_and_b32 s13, s13, exec_lo
                                        ; implicit-def: $vgpr65
	s_or_saveexec_b32 s16, s16
	v_mov_b32_e32 v54, s14
	s_xor_b32 exec_lo, exec_lo, s16
	s_cbranch_execz .LBB4_7510
.LBB4_7534:                             ;   in Loop: Header=BB4_7486 Depth=3
	v_cmp_ne_u16_e32 vcc_lo, 0, v65
	v_mov_b32_e32 v54, 0
	s_and_not1_b32 s13, s13, exec_lo
	s_and_b32 s14, vcc_lo, exec_lo
	s_delay_alu instid0(SALU_CYCLE_1)
	s_or_b32 s13, s13, s14
	s_or_b32 exec_lo, exec_lo, s16
	s_and_saveexec_b32 s14, s13
	s_cbranch_execnz .LBB4_7511
	s_branch .LBB4_7512
.LBB4_7535:                             ;   in Loop: Header=BB4_7486 Depth=3
	s_mov_b32 s13, -1
	s_mov_b32 s17, exec_lo
                                        ; implicit-def: $sgpr14
	v_cmpx_eq_u16_e32 0x80, v65
; %bb.7536:                             ;   in Loop: Header=BB4_7486 Depth=3
	s_mov_b32 s14, 0x7f800001
	s_xor_b32 s13, exec_lo, -1
; %bb.7537:                             ;   in Loop: Header=BB4_7486 Depth=3
	s_or_b32 exec_lo, exec_lo, s17
	s_delay_alu instid0(SALU_CYCLE_1)
	s_and_b32 s13, s13, exec_lo
                                        ; implicit-def: $vgpr65
	s_or_saveexec_b32 s16, s16
	v_mov_b32_e32 v64, s14
	s_xor_b32 exec_lo, exec_lo, s16
	s_cbranch_execz .LBB4_7514
.LBB4_7538:                             ;   in Loop: Header=BB4_7486 Depth=3
	v_cmp_ne_u16_e32 vcc_lo, 0, v65
	v_mov_b32_e32 v64, 0
	s_and_not1_b32 s13, s13, exec_lo
	s_and_b32 s14, vcc_lo, exec_lo
	s_delay_alu instid0(SALU_CYCLE_1)
	s_or_b32 s13, s13, s14
	s_or_b32 exec_lo, exec_lo, s16
	s_and_saveexec_b32 s14, s13
	s_cbranch_execnz .LBB4_7515
	s_branch .LBB4_7516
.LBB4_7539:                             ;   in Loop: Header=BB4_4786 Depth=2
	s_or_b32 exec_lo, exec_lo, s30
.LBB4_7540:                             ;   in Loop: Header=BB4_4786 Depth=2
	s_delay_alu instid0(SALU_CYCLE_1)
	s_or_b32 exec_lo, exec_lo, s15
	s_mov_b32 s13, 0
.LBB4_7541:                             ;   in Loop: Header=BB4_4786 Depth=2
	s_delay_alu instid0(SALU_CYCLE_1)
	s_and_b32 vcc_lo, exec_lo, s13
	s_cbranch_vccz .LBB4_10213
; %bb.7542:                             ;   in Loop: Header=BB4_4786 Depth=2
	s_mov_b32 s13, -1
	s_and_saveexec_b32 s14, s12
	s_cbranch_execz .LBB4_7544
; %bb.7543:                             ;   in Loop: Header=BB4_4786 Depth=2
	ds_load_b32 v2, v0 offset:720
	s_waitcnt lgkmcnt(0)
	v_and_b32_e32 v2, 15, v2
	s_delay_alu instid0(VALU_DEP_1)
	v_cmp_eq_u32_e32 vcc_lo, 0, v2
	s_or_not1_b32 s13, vcc_lo, exec_lo
.LBB4_7544:                             ;   in Loop: Header=BB4_4786 Depth=2
	s_or_b32 exec_lo, exec_lo, s14
	s_and_saveexec_b32 s14, s5
	s_cbranch_execz .LBB4_7546
; %bb.7545:                             ;   in Loop: Header=BB4_4786 Depth=2
	ds_load_b32 v2, v0 offset:784
	s_waitcnt lgkmcnt(0)
	v_and_b32_e32 v2, 15, v2
	s_delay_alu instid0(VALU_DEP_1) | instskip(SKIP_3) | instid1(SALU_CYCLE_1)
	v_cmp_eq_u32_e32 vcc_lo, 0, v2
	s_and_b32 s15, s13, vcc_lo
	s_and_not1_b32 s13, s13, exec_lo
	s_and_b32 s15, s15, exec_lo
	s_or_b32 s13, s13, s15
.LBB4_7546:                             ;   in Loop: Header=BB4_4786 Depth=2
	s_or_b32 exec_lo, exec_lo, s14
	s_xor_b32 s13, s13, -1
	v_dual_mov_b32 v53, 0 :: v_dual_mov_b32 v54, v132
	v_cndmask_b32_e64 v2, 0, 1, s13
	;;#ASMSTART
	;;#ASMEND
	s_delay_alu instid0(VALU_DEP_1)
	v_cmp_ne_u32_e32 vcc_lo, 0, v2
	v_mov_b32_e32 v64, v0
	v_mov_b32_e32 v8, v83
	s_mov_b32 s13, -1
	s_cbranch_vccnz .LBB4_9500
; %bb.7547:                             ;   in Loop: Header=BB4_4786 Depth=2
	v_ashrrev_i32_e32 v2, 31, v132
	s_mov_b32 s14, exec_lo
	s_delay_alu instid0(VALU_DEP_1) | instskip(NEXT) | instid1(VALU_DEP_1)
	v_lshrrev_b32_e32 v2, 22, v2
	v_add_nc_u32_e32 v2, v132, v2
	s_delay_alu instid0(VALU_DEP_1) | instskip(NEXT) | instid1(VALU_DEP_1)
	v_ashrrev_i32_e32 v68, 10, v2
	v_sub_nc_u32_e32 v2, v68, v83
	s_delay_alu instid0(VALU_DEP_1)
	v_cmpx_lt_i32_e32 0, v2
	s_cbranch_execz .LBB4_8841
; %bb.7548:                             ;   in Loop: Header=BB4_4786 Depth=2
	s_cbranch_execz .LBB4_7549
; %bb.11719:
	s_getpc_b64 s[48:49]
.Lpost_getpc268:
	s_add_u32 s48, s48, (.LBB4_11299-.Lpost_getpc268)&4294967295
	s_addc_u32 s49, s49, (.LBB4_11299-.Lpost_getpc268)>>32
	s_setpc_b64 s[48:49]
.LBB4_7549:                             ;   in Loop: Header=BB4_4786 Depth=2
	ds_load_b64 v[12:13], v0
	ds_load_b128 v[8:11], v0
	s_waitcnt lgkmcnt(1)
	v_readfirstlane_b32 s13, v12
	s_waitcnt lgkmcnt(0)
	v_add_co_u32 v53, vcc_lo, v8, v114
	v_add_co_ci_u32_e32 v54, vcc_lo, v9, v115, vcc_lo
	s_delay_alu instid0(VALU_DEP_3)
	s_and_b32 s15, s13, 3
	s_bfe_u32 s30, s13, 0x50002
	s_clz_i32_u32 s16, s15
	v_add_co_u32 v64, vcc_lo, v10, v114
	s_min_u32 s16, s16, 32
	v_add_co_ci_u32_e32 v65, vcc_lo, v11, v115, vcc_lo
	s_sub_i32 s17, s16, 29
	s_sub_i32 s16, 30, s16
	s_lshl_b32 s17, s13, s17
	v_add_co_u32 v66, vcc_lo, v12, v114
	s_and_b32 s17, s17, 3
	s_cmp_eq_u32 s30, 0
	v_add_co_ci_u32_e32 v67, vcc_lo, v13, v115, vcc_lo
	s_cselect_b32 s16, s16, s30
	s_cselect_b32 s15, s17, s15
	s_lshl_b32 s13, s13, 24
	s_lshl_b32 s17, s15, 21
	;; [unrolled: 1-line block ×3, first 2 shown]
	s_and_b32 s13, s13, 0x80000000
	s_add_i32 s15, s15, 0x37800000
	v_and_b32_e32 v69, 0xff, v12
	s_or_b32 s13, s13, s15
	s_mov_b32 s15, 0
	s_or_b32 s16, s13, s17
	s_branch .LBB4_7553
.LBB4_7550:                             ;   in Loop: Header=BB4_7553 Depth=3
	s_or_b32 exec_lo, exec_lo, s13
	s_delay_alu instid0(VALU_DEP_1) | instskip(NEXT) | instid1(VALU_DEP_2)
	v_lshrrev_b32_e32 v149, 21, v149
	v_min_i32_e32 v163, 31, v146
	v_cmp_gt_i32_e32 vcc_lo, 32, v146
	v_lshrrev_b32_e32 v11, 24, v11
	s_delay_alu instid0(VALU_DEP_3) | instskip(SKIP_1) | instid1(VALU_DEP_3)
	v_lshlrev_b32_e32 v163, 2, v163
	v_cndmask_b32_e32 v149, 3, v149, vcc_lo
	v_and_b32_e32 v11, 0x80, v11
	s_delay_alu instid0(VALU_DEP_3) | instskip(NEXT) | instid1(VALU_DEP_3)
	v_and_b32_e32 v163, 0xfc, v163
	v_and_b32_e32 v167, 3, v149
	v_or_b32_e32 v146, v146, v149
	s_delay_alu instid0(VALU_DEP_2) | instskip(NEXT) | instid1(VALU_DEP_2)
	v_or3_b32 v11, v11, v163, v167
	v_cmp_ne_u32_e32 vcc_lo, 0, v146
	s_delay_alu instid0(VALU_DEP_2) | instskip(NEXT) | instid1(VALU_DEP_1)
	v_lshlrev_b32_e32 v11, 8, v11
	v_cndmask_b32_e32 v146, 0, v11, vcc_lo
.LBB4_7551:                             ;   in Loop: Header=BB4_7553 Depth=3
	s_or_b32 exec_lo, exec_lo, s30
.LBB4_7552:                             ;   in Loop: Header=BB4_7553 Depth=3
	s_delay_alu instid0(SALU_CYCLE_1)
	s_or_b32 exec_lo, exec_lo, s17
	v_or_b32_e32 v11, v13, v182
	v_and_b32_e32 v149, 0xff, v151
	v_lshlrev_b32_e32 v151, 24, v12
	v_lshlrev_b32_e32 v12, 8, v145
	v_and_b32_e32 v145, 0xff, v183
	v_lshlrev_b32_e32 v163, 8, v40
	v_and_b32_e32 v13, 0xff, v166
	v_lshlrev_b32_e32 v11, 16, v11
	v_lshlrev_b32_e32 v149, 16, v149
	v_perm_b32 v133, v12, v133, 0xc0c0500
	v_lshlrev_b32_e32 v14, 24, v14
	v_lshlrev_b32_e32 v145, 16, v145
	v_perm_b32 v163, v163, v42, 0xc0c0500
	v_or_b32_e32 v15, v15, v178
	v_or3_b32 v12, v177, v13, v11
	v_or3_b32 v11, v151, v149, v133
	v_or_b32_e32 v9, v9, v160
	v_and_b32_e32 v133, 0xff, v164
	v_lshlrev_b32_e32 v149, 8, v165
	v_and_b32_e32 v147, 0xff, v147
	v_lshlrev_b32_e32 v148, 8, v148
	v_or_b32_e32 v134, v146, v134
	v_or3_b32 v13, v14, v145, v163
	v_and_b32_e32 v14, 0xff, v179
	v_lshlrev_b32_e32 v15, 16, v15
	v_and_b32_e32 v145, 0xff, v161
	v_lshlrev_b32_e32 v9, 16, v9
	v_lshlrev_b32_e32 v8, 24, v8
	;; [unrolled: 1-line block ×3, first 2 shown]
	v_perm_b32 v149, v149, v176, 0xc0c0500
	v_lshlrev_b32_e32 v10, 24, v10
	v_lshlrev_b32_e32 v147, 16, v147
	v_perm_b32 v148, v148, v150, 0xc0c0500
	v_and_b32_e32 v135, 0xff, v135
	v_lshlrev_b32_e32 v134, 16, v134
	v_add_co_u32 v53, vcc_lo, v53, v116
	v_or3_b32 v14, v180, v14, v15
	v_sub_nc_u32_e32 v2, v2, v81
	v_or3_b32 v146, v162, v145, v9
	v_or3_b32 v145, v8, v133, v149
	;; [unrolled: 1-line block ×4, first 2 shown]
	v_add_co_ci_u32_e32 v54, vcc_lo, v54, v117, vcc_lo
	v_add_co_u32 v64, vcc_lo, v64, v116
	v_add_co_ci_u32_e32 v65, vcc_lo, v65, v117, vcc_lo
	s_clause 0x1
	global_store_b128 v[66:67], v[11:14], off glc slc dlc
	global_store_b128 v[66:67], v[145:148], off offset:512 glc slc dlc
	v_cmp_gt_i32_e32 vcc_lo, 1, v2
	v_add_co_u32 v66, s13, v66, v116
	s_delay_alu instid0(VALU_DEP_1) | instskip(SKIP_1) | instid1(SALU_CYCLE_1)
	v_add_co_ci_u32_e64 v67, s13, v67, v117, s13
	s_or_b32 s15, vcc_lo, s15
	s_and_not1_b32 exec_lo, exec_lo, s15
	s_cbranch_execz .LBB4_8840
.LBB4_7553:                             ;   Parent Loop BB4_51 Depth=1
                                        ;     Parent Loop BB4_4786 Depth=2
                                        ; =>    This Inner Loop Header: Depth=3
	v_cmp_gt_i16_e32 vcc_lo, 0x80, v69
	s_cbranch_vccnz .LBB4_7557
; %bb.7554:                             ;   in Loop: Header=BB4_7553 Depth=3
	v_cmp_eq_u16_e32 vcc_lo, 0x80, v69
	s_mov_b32 s13, -1
                                        ; implicit-def: $sgpr17
	s_cbranch_vccz .LBB4_7556
; %bb.7555:                             ;   in Loop: Header=BB4_7553 Depth=3
	s_mov_b32 s13, 0
	s_mov_b32 s17, 0x7f800001
.LBB4_7556:                             ;   in Loop: Header=BB4_7553 Depth=3
	s_mov_b32 vcc_lo, 0
	s_branch .LBB4_7558
.LBB4_7557:                             ;   in Loop: Header=BB4_7553 Depth=3
	s_mov_b32 vcc_lo, -1
	s_mov_b32 s13, 0
                                        ; implicit-def: $sgpr17
.LBB4_7558:                             ;   in Loop: Header=BB4_7553 Depth=3
	s_and_b32 vcc_lo, exec_lo, vcc_lo
	s_cbranch_vccz .LBB4_7560
; %bb.7559:                             ;   in Loop: Header=BB4_7553 Depth=3
	v_cmp_ne_u16_e64 s13, 0, v69
	s_mov_b32 s17, 0
.LBB4_7560:                             ;   in Loop: Header=BB4_7553 Depth=3
	s_delay_alu instid0(VALU_DEP_1)
	s_and_not1_b32 vcc_lo, exec_lo, s13
	s_cbranch_vccnz .LBB4_7562
; %bb.7561:                             ;   in Loop: Header=BB4_7553 Depth=3
	s_mov_b32 s17, s16
.LBB4_7562:                             ;   in Loop: Header=BB4_7553 Depth=3
	global_load_b128 v[8:11], v[53:54], off slc dlc
	s_mov_b32 s13, 0
	s_mov_b32 s31, exec_lo
                                        ; implicit-def: $sgpr30
	s_waitcnt vmcnt(0)
	v_and_b32_e32 v13, 0xff, v8
	s_delay_alu instid0(VALU_DEP_1)
	v_cmpx_lt_i16_e32 0x7f, v13
	s_xor_b32 s31, exec_lo, s31
	s_cbranch_execnz .LBB4_8456
; %bb.7563:                             ;   in Loop: Header=BB4_7553 Depth=3
	s_or_saveexec_b32 s31, s31
	v_mov_b32_e32 v12, s30
	s_xor_b32 exec_lo, exec_lo, s31
	s_cbranch_execnz .LBB4_8459
.LBB4_7564:                             ;   in Loop: Header=BB4_7553 Depth=3
	s_or_b32 exec_lo, exec_lo, s31
	s_and_saveexec_b32 s30, s13
	s_cbranch_execz .LBB4_7566
.LBB4_7565:                             ;   in Loop: Header=BB4_7553 Depth=3
	v_bfe_u32 v15, v8, 2, 5
	s_delay_alu instid0(VALU_DEP_1) | instskip(SKIP_1) | instid1(VALU_DEP_1)
	v_cmp_eq_u32_e32 vcc_lo, 0, v15
	v_and_b32_e32 v12, 3, v8
	v_clz_i32_u32_e32 v13, v12
	s_delay_alu instid0(VALU_DEP_1) | instskip(NEXT) | instid1(VALU_DEP_1)
	v_min_u32_e32 v13, 32, v13
	v_subrev_nc_u32_e32 v14, 29, v13
	v_sub_nc_u32_e32 v13, 30, v13
	s_delay_alu instid0(VALU_DEP_1) | instskip(NEXT) | instid1(VALU_DEP_1)
	v_dual_cndmask_b32 v13, v15, v13 :: v_dual_lshlrev_b32 v14, v14, v8
	v_and_b32_e32 v14, 3, v14
	v_lshlrev_b32_e32 v133, 24, v8
	s_delay_alu instid0(VALU_DEP_3) | instskip(NEXT) | instid1(VALU_DEP_3)
	v_lshl_add_u32 v13, v13, 23, 0x37800000
	v_cndmask_b32_e32 v12, v12, v14, vcc_lo
	s_delay_alu instid0(VALU_DEP_3) | instskip(NEXT) | instid1(VALU_DEP_2)
	v_and_b32_e32 v14, 0x80000000, v133
	v_lshlrev_b32_e32 v12, 21, v12
	s_delay_alu instid0(VALU_DEP_1)
	v_or3_b32 v12, v14, v13, v12
.LBB4_7566:                             ;   in Loop: Header=BB4_7553 Depth=3
	s_or_b32 exec_lo, exec_lo, s30
	s_delay_alu instid0(VALU_DEP_1) | instskip(SKIP_1) | instid1(VALU_DEP_1)
	v_dual_mul_f32 v12, s17, v12 :: v_dual_mov_b32 v133, 0x80
	s_mov_b32 s30, exec_lo
	v_and_b32_e32 v13, 0x7f800000, v12
	s_delay_alu instid0(VALU_DEP_1)
	v_cmpx_ne_u32_e32 0x7f800000, v13
	s_cbranch_execz .LBB4_7574
; %bb.7567:                             ;   in Loop: Header=BB4_7553 Depth=3
	v_mov_b32_e32 v133, 0
	s_mov_b32 s31, exec_lo
	v_cmpx_ne_u32_e32 0, v12
	s_cbranch_execz .LBB4_7573
; %bb.7568:                             ;   in Loop: Header=BB4_7553 Depth=3
	v_bfe_u32 v13, v12, 23, 8
	s_delay_alu instid0(VALU_DEP_1) | instskip(SKIP_1) | instid1(VALU_DEP_2)
	v_sub_nc_u32_e32 v15, 0x70, v13
	v_cmp_gt_u32_e32 vcc_lo, 0x71, v13
	v_dual_cndmask_b32 v15, 0, v15 :: v_dual_and_b32 v14, 0x7fffff, v12
	s_delay_alu instid0(VALU_DEP_1) | instskip(SKIP_2) | instid1(VALU_DEP_4)
	v_or_b32_e32 v133, 0x800000, v14
	v_cmp_eq_u32_e32 vcc_lo, 0, v13
	v_add_nc_u32_e32 v13, 0xffffff91, v13
	v_cndmask_b32_e64 v15, v15, 0x6f, vcc_lo
	s_delay_alu instid0(VALU_DEP_4) | instskip(NEXT) | instid1(VALU_DEP_3)
	v_cndmask_b32_e32 v14, v133, v14, vcc_lo
	v_cndmask_b32_e64 v13, v13, 0xffffff92, vcc_lo
	s_delay_alu instid0(VALU_DEP_3) | instskip(NEXT) | instid1(VALU_DEP_3)
	v_lshl_add_u32 v133, 0x200000, v15, -1
	v_lshrrev_b32_e32 v134, v15, v14
	v_lshlrev_b32_e64 v144, v15, 0x100000
	s_delay_alu instid0(VALU_DEP_4) | instskip(NEXT) | instid1(VALU_DEP_4)
	v_add_nc_u32_e32 v15, v15, v13
	v_and_b32_e32 v14, v133, v14
	s_delay_alu instid0(VALU_DEP_4) | instskip(NEXT) | instid1(VALU_DEP_2)
	v_bfe_u32 v135, v134, 21, 1
	v_cmp_eq_u32_e64 s13, v14, v144
	s_delay_alu instid0(VALU_DEP_2) | instskip(NEXT) | instid1(VALU_DEP_1)
	v_add_nc_u32_e32 v133, -1, v135
	v_cndmask_b32_e64 v14, 0, v133, s13
	v_lshrrev_b32_e32 v133, 23, v134
	s_mov_b32 s13, exec_lo
	s_delay_alu instid0(VALU_DEP_2) | instskip(NEXT) | instid1(VALU_DEP_2)
	v_add_nc_u32_e32 v14, v14, v134
	v_xor_b32_e32 v133, 1, v133
	s_delay_alu instid0(VALU_DEP_2) | instskip(NEXT) | instid1(VALU_DEP_1)
	v_and_b32_e32 v13, 0x1fffff, v14
	v_add_nc_u32_e32 v14, v13, v134
                                        ; implicit-def: $vgpr13
	s_delay_alu instid0(VALU_DEP_3)
	v_cmpx_ne_u32_e64 v15, v133
	s_xor_b32 s13, exec_lo, s13
; %bb.7569:                             ;   in Loop: Header=BB4_7553 Depth=3
	s_delay_alu instid0(VALU_DEP_2) | instskip(SKIP_2) | instid1(VALU_DEP_2)
	v_cmp_lt_u32_e32 vcc_lo, 0xffffff, v14
	v_sub_nc_u32_e32 v13, v15, v133
	v_cndmask_b32_e64 v15, 0, 1, vcc_lo
	v_add_co_ci_u32_e32 v13, vcc_lo, 0, v13, vcc_lo
	s_delay_alu instid0(VALU_DEP_2)
	v_lshrrev_b32_e32 v14, v15, v14
; %bb.7570:                             ;   in Loop: Header=BB4_7553 Depth=3
	s_and_not1_saveexec_b32 s13, s13
; %bb.7571:                             ;   in Loop: Header=BB4_7553 Depth=3
	s_delay_alu instid0(VALU_DEP_1)
	v_bfe_u32 v13, v14, 23, 1
; %bb.7572:                             ;   in Loop: Header=BB4_7553 Depth=3
	s_or_b32 exec_lo, exec_lo, s13
	v_lshrrev_b32_e32 v14, 21, v14
	s_delay_alu instid0(VALU_DEP_2) | instskip(SKIP_2) | instid1(VALU_DEP_4)
	v_cmp_gt_i32_e32 vcc_lo, 32, v13
	v_lshrrev_b32_e32 v12, 24, v12
	v_min_i32_e32 v15, 31, v13
	v_cndmask_b32_e32 v14, 3, v14, vcc_lo
	s_delay_alu instid0(VALU_DEP_3) | instskip(NEXT) | instid1(VALU_DEP_3)
	v_and_b32_e32 v12, 0x80, v12
	v_lshlrev_b32_e32 v15, 2, v15
	s_delay_alu instid0(VALU_DEP_3) | instskip(SKIP_1) | instid1(VALU_DEP_2)
	v_and_b32_e32 v133, 3, v14
	v_or_b32_e32 v13, v13, v14
	v_or3_b32 v12, v15, v12, v133
	s_delay_alu instid0(VALU_DEP_2) | instskip(NEXT) | instid1(VALU_DEP_2)
	v_cmp_ne_u32_e32 vcc_lo, 0, v13
	v_cndmask_b32_e32 v133, 0, v12, vcc_lo
.LBB4_7573:                             ;   in Loop: Header=BB4_7553 Depth=3
	s_or_b32 exec_lo, exec_lo, s31
.LBB4_7574:                             ;   in Loop: Header=BB4_7553 Depth=3
	s_delay_alu instid0(SALU_CYCLE_1) | instskip(SKIP_3) | instid1(VALU_DEP_1)
	s_or_b32 exec_lo, exec_lo, s30
	v_lshrrev_b16 v12, 8, v8
	s_mov_b32 s13, 0
	s_mov_b32 s31, exec_lo
                                        ; implicit-def: $sgpr30
	v_cmpx_lt_i16_e32 0x7f, v12
	s_xor_b32 s31, exec_lo, s31
	s_cbranch_execnz .LBB4_8460
; %bb.7575:                             ;   in Loop: Header=BB4_7553 Depth=3
	s_or_saveexec_b32 s31, s31
	v_mov_b32_e32 v13, s30
	s_xor_b32 exec_lo, exec_lo, s31
	s_cbranch_execnz .LBB4_8463
.LBB4_7576:                             ;   in Loop: Header=BB4_7553 Depth=3
	s_or_b32 exec_lo, exec_lo, s31
	s_and_saveexec_b32 s30, s13
	s_cbranch_execz .LBB4_7578
.LBB4_7577:                             ;   in Loop: Header=BB4_7553 Depth=3
	v_and_b32_e32 v13, 0xffff, v12
	v_lshlrev_b32_e32 v12, 24, v12
	s_delay_alu instid0(VALU_DEP_2) | instskip(NEXT) | instid1(VALU_DEP_2)
	v_and_b32_e32 v14, 3, v13
	v_and_b32_e32 v12, 0x80000000, v12
	s_delay_alu instid0(VALU_DEP_2) | instskip(NEXT) | instid1(VALU_DEP_1)
	v_clz_i32_u32_e32 v15, v14
	v_min_u32_e32 v15, 32, v15
	s_delay_alu instid0(VALU_DEP_1) | instskip(SKIP_1) | instid1(VALU_DEP_2)
	v_subrev_nc_u32_e32 v134, 29, v15
	v_sub_nc_u32_e32 v15, 30, v15
	v_lshlrev_b32_e32 v134, v134, v13
	v_bfe_u32 v13, v13, 2, 5
	s_delay_alu instid0(VALU_DEP_2) | instskip(NEXT) | instid1(VALU_DEP_2)
	v_and_b32_e32 v134, 3, v134
	v_cmp_eq_u32_e32 vcc_lo, 0, v13
	s_delay_alu instid0(VALU_DEP_2) | instskip(NEXT) | instid1(VALU_DEP_1)
	v_dual_cndmask_b32 v13, v13, v15 :: v_dual_cndmask_b32 v14, v14, v134
	v_lshl_add_u32 v13, v13, 23, 0x37800000
	s_delay_alu instid0(VALU_DEP_2) | instskip(NEXT) | instid1(VALU_DEP_1)
	v_lshlrev_b32_e32 v14, 21, v14
	v_or3_b32 v13, v12, v13, v14
.LBB4_7578:                             ;   in Loop: Header=BB4_7553 Depth=3
	s_or_b32 exec_lo, exec_lo, s30
	s_delay_alu instid0(VALU_DEP_1) | instskip(SKIP_1) | instid1(VALU_DEP_1)
	v_dual_mul_f32 v12, s17, v13 :: v_dual_mov_b32 v145, 0x80
	s_mov_b32 s30, exec_lo
	v_and_b32_e32 v13, 0x7f800000, v12
	s_delay_alu instid0(VALU_DEP_1)
	v_cmpx_ne_u32_e32 0x7f800000, v13
	s_cbranch_execz .LBB4_7586
; %bb.7579:                             ;   in Loop: Header=BB4_7553 Depth=3
	v_mov_b32_e32 v145, 0
	s_mov_b32 s31, exec_lo
	v_cmpx_ne_u32_e32 0, v12
	s_cbranch_execz .LBB4_7585
; %bb.7580:                             ;   in Loop: Header=BB4_7553 Depth=3
	v_bfe_u32 v13, v12, 23, 8
	s_delay_alu instid0(VALU_DEP_1) | instskip(SKIP_1) | instid1(VALU_DEP_2)
	v_sub_nc_u32_e32 v15, 0x70, v13
	v_cmp_gt_u32_e32 vcc_lo, 0x71, v13
	v_dual_cndmask_b32 v15, 0, v15 :: v_dual_and_b32 v14, 0x7fffff, v12
	s_delay_alu instid0(VALU_DEP_1) | instskip(SKIP_2) | instid1(VALU_DEP_4)
	v_or_b32_e32 v134, 0x800000, v14
	v_cmp_eq_u32_e32 vcc_lo, 0, v13
	v_add_nc_u32_e32 v13, 0xffffff91, v13
	v_cndmask_b32_e64 v15, v15, 0x6f, vcc_lo
	s_delay_alu instid0(VALU_DEP_4) | instskip(NEXT) | instid1(VALU_DEP_3)
	v_cndmask_b32_e32 v14, v134, v14, vcc_lo
	v_cndmask_b32_e64 v13, v13, 0xffffff92, vcc_lo
	s_delay_alu instid0(VALU_DEP_3) | instskip(NEXT) | instid1(VALU_DEP_3)
	v_lshl_add_u32 v134, 0x200000, v15, -1
	v_lshrrev_b32_e32 v135, v15, v14
	v_lshlrev_b32_e64 v145, v15, 0x100000
	s_delay_alu instid0(VALU_DEP_4) | instskip(NEXT) | instid1(VALU_DEP_4)
	v_add_nc_u32_e32 v15, v15, v13
	v_and_b32_e32 v14, v134, v14
	s_delay_alu instid0(VALU_DEP_4) | instskip(NEXT) | instid1(VALU_DEP_2)
	v_bfe_u32 v144, v135, 21, 1
	v_cmp_eq_u32_e64 s13, v14, v145
	s_delay_alu instid0(VALU_DEP_2) | instskip(NEXT) | instid1(VALU_DEP_1)
	v_add_nc_u32_e32 v134, -1, v144
	v_cndmask_b32_e64 v14, 0, v134, s13
	v_lshrrev_b32_e32 v134, 23, v135
	s_mov_b32 s13, exec_lo
	s_delay_alu instid0(VALU_DEP_2) | instskip(NEXT) | instid1(VALU_DEP_2)
	v_add_nc_u32_e32 v14, v14, v135
	v_xor_b32_e32 v134, 1, v134
	s_delay_alu instid0(VALU_DEP_2) | instskip(NEXT) | instid1(VALU_DEP_1)
	v_and_b32_e32 v13, 0x1fffff, v14
	v_add_nc_u32_e32 v14, v13, v135
                                        ; implicit-def: $vgpr13
	s_delay_alu instid0(VALU_DEP_3)
	v_cmpx_ne_u32_e64 v15, v134
	s_xor_b32 s13, exec_lo, s13
; %bb.7581:                             ;   in Loop: Header=BB4_7553 Depth=3
	s_delay_alu instid0(VALU_DEP_2) | instskip(SKIP_2) | instid1(VALU_DEP_2)
	v_cmp_lt_u32_e32 vcc_lo, 0xffffff, v14
	v_sub_nc_u32_e32 v13, v15, v134
	v_cndmask_b32_e64 v15, 0, 1, vcc_lo
	v_add_co_ci_u32_e32 v13, vcc_lo, 0, v13, vcc_lo
	s_delay_alu instid0(VALU_DEP_2)
	v_lshrrev_b32_e32 v14, v15, v14
; %bb.7582:                             ;   in Loop: Header=BB4_7553 Depth=3
	s_and_not1_saveexec_b32 s13, s13
; %bb.7583:                             ;   in Loop: Header=BB4_7553 Depth=3
	s_delay_alu instid0(VALU_DEP_1)
	v_bfe_u32 v13, v14, 23, 1
; %bb.7584:                             ;   in Loop: Header=BB4_7553 Depth=3
	s_or_b32 exec_lo, exec_lo, s13
	v_lshrrev_b32_e32 v14, 21, v14
	s_delay_alu instid0(VALU_DEP_2) | instskip(SKIP_2) | instid1(VALU_DEP_2)
	v_cmp_gt_i32_e32 vcc_lo, 32, v13
	v_min_i32_e32 v15, 31, v13
	v_lshrrev_b32_e32 v12, 24, v12
	v_dual_cndmask_b32 v14, 3, v14 :: v_dual_lshlrev_b32 v15, 2, v15
	s_delay_alu instid0(VALU_DEP_2) | instskip(NEXT) | instid1(VALU_DEP_2)
	v_and_b32_e32 v12, 0x80, v12
	v_or_b32_e32 v13, v13, v14
	s_delay_alu instid0(VALU_DEP_1) | instskip(SKIP_1) | instid1(VALU_DEP_1)
	v_cmp_ne_u32_e32 vcc_lo, 0, v13
	v_and_b32_e32 v134, 3, v14
	v_or3_b32 v12, v15, v12, v134
	s_delay_alu instid0(VALU_DEP_1)
	v_cndmask_b32_e32 v145, 0, v12, vcc_lo
.LBB4_7585:                             ;   in Loop: Header=BB4_7553 Depth=3
	s_or_b32 exec_lo, exec_lo, s31
.LBB4_7586:                             ;   in Loop: Header=BB4_7553 Depth=3
	s_delay_alu instid0(SALU_CYCLE_1) | instskip(SKIP_3) | instid1(VALU_DEP_1)
	s_or_b32 exec_lo, exec_lo, s30
	v_lshrrev_b32_e32 v12, 16, v8
	s_mov_b32 s13, 0
	s_mov_b32 s31, exec_lo
                                        ; implicit-def: $sgpr30
	v_and_b32_e32 v14, 0xff, v12
	s_delay_alu instid0(VALU_DEP_1)
	v_cmpx_lt_i16_e32 0x7f, v14
	s_xor_b32 s31, exec_lo, s31
	s_cbranch_execnz .LBB4_8464
; %bb.7587:                             ;   in Loop: Header=BB4_7553 Depth=3
	s_or_saveexec_b32 s31, s31
	v_mov_b32_e32 v13, s30
	s_xor_b32 exec_lo, exec_lo, s31
	s_cbranch_execnz .LBB4_8467
.LBB4_7588:                             ;   in Loop: Header=BB4_7553 Depth=3
	s_or_b32 exec_lo, exec_lo, s31
	s_and_saveexec_b32 s30, s13
	s_cbranch_execz .LBB4_7590
.LBB4_7589:                             ;   in Loop: Header=BB4_7553 Depth=3
	v_bfe_u32 v13, v8, 16, 2
	v_lshlrev_b32_e32 v134, 8, v8
	s_delay_alu instid0(VALU_DEP_2) | instskip(NEXT) | instid1(VALU_DEP_1)
	v_clz_i32_u32_e32 v14, v13
	v_min_u32_e32 v14, 32, v14
	s_delay_alu instid0(VALU_DEP_1) | instskip(SKIP_1) | instid1(VALU_DEP_2)
	v_subrev_nc_u32_e32 v15, 29, v14
	v_sub_nc_u32_e32 v14, 30, v14
	v_lshlrev_b32_e32 v12, v15, v12
	v_bfe_u32 v15, v8, 18, 5
	s_delay_alu instid0(VALU_DEP_2) | instskip(NEXT) | instid1(VALU_DEP_2)
	v_and_b32_e32 v12, 3, v12
	v_cmp_eq_u32_e32 vcc_lo, 0, v15
	v_cndmask_b32_e32 v14, v15, v14, vcc_lo
	s_delay_alu instid0(VALU_DEP_3) | instskip(NEXT) | instid1(VALU_DEP_2)
	v_dual_cndmask_b32 v12, v13, v12 :: v_dual_and_b32 v13, 0x80000000, v134
	v_lshl_add_u32 v14, v14, 23, 0x37800000
	s_delay_alu instid0(VALU_DEP_2) | instskip(NEXT) | instid1(VALU_DEP_1)
	v_lshlrev_b32_e32 v12, 21, v12
	v_or3_b32 v13, v13, v14, v12
.LBB4_7590:                             ;   in Loop: Header=BB4_7553 Depth=3
	s_or_b32 exec_lo, exec_lo, s30
	s_delay_alu instid0(VALU_DEP_1) | instskip(SKIP_1) | instid1(VALU_DEP_1)
	v_dual_mul_f32 v12, s17, v13 :: v_dual_mov_b32 v151, 0x80
	s_mov_b32 s30, exec_lo
	v_and_b32_e32 v13, 0x7f800000, v12
	s_delay_alu instid0(VALU_DEP_1)
	v_cmpx_ne_u32_e32 0x7f800000, v13
	s_cbranch_execz .LBB4_7598
; %bb.7591:                             ;   in Loop: Header=BB4_7553 Depth=3
	v_mov_b32_e32 v151, 0
	s_mov_b32 s31, exec_lo
	v_cmpx_ne_u32_e32 0, v12
	s_cbranch_execz .LBB4_7597
; %bb.7592:                             ;   in Loop: Header=BB4_7553 Depth=3
	v_bfe_u32 v13, v12, 23, 8
	s_delay_alu instid0(VALU_DEP_1) | instskip(SKIP_1) | instid1(VALU_DEP_2)
	v_sub_nc_u32_e32 v15, 0x70, v13
	v_cmp_gt_u32_e32 vcc_lo, 0x71, v13
	v_dual_cndmask_b32 v15, 0, v15 :: v_dual_and_b32 v14, 0x7fffff, v12
	s_delay_alu instid0(VALU_DEP_1) | instskip(SKIP_2) | instid1(VALU_DEP_4)
	v_or_b32_e32 v134, 0x800000, v14
	v_cmp_eq_u32_e32 vcc_lo, 0, v13
	v_add_nc_u32_e32 v13, 0xffffff91, v13
	v_cndmask_b32_e64 v15, v15, 0x6f, vcc_lo
	s_delay_alu instid0(VALU_DEP_4) | instskip(NEXT) | instid1(VALU_DEP_3)
	v_cndmask_b32_e32 v14, v134, v14, vcc_lo
	v_cndmask_b32_e64 v13, v13, 0xffffff92, vcc_lo
	s_delay_alu instid0(VALU_DEP_3) | instskip(NEXT) | instid1(VALU_DEP_3)
	v_lshl_add_u32 v134, 0x200000, v15, -1
	v_lshrrev_b32_e32 v135, v15, v14
	v_lshlrev_b32_e64 v146, v15, 0x100000
	s_delay_alu instid0(VALU_DEP_4) | instskip(NEXT) | instid1(VALU_DEP_4)
	v_add_nc_u32_e32 v15, v15, v13
	v_and_b32_e32 v14, v134, v14
	s_delay_alu instid0(VALU_DEP_4) | instskip(NEXT) | instid1(VALU_DEP_2)
	v_bfe_u32 v144, v135, 21, 1
	v_cmp_eq_u32_e64 s13, v14, v146
	s_delay_alu instid0(VALU_DEP_2) | instskip(NEXT) | instid1(VALU_DEP_1)
	v_add_nc_u32_e32 v134, -1, v144
	v_cndmask_b32_e64 v14, 0, v134, s13
	v_lshrrev_b32_e32 v134, 23, v135
	s_mov_b32 s13, exec_lo
	s_delay_alu instid0(VALU_DEP_2) | instskip(NEXT) | instid1(VALU_DEP_2)
	v_add_nc_u32_e32 v14, v14, v135
	v_xor_b32_e32 v134, 1, v134
	s_delay_alu instid0(VALU_DEP_2) | instskip(NEXT) | instid1(VALU_DEP_1)
	v_and_b32_e32 v13, 0x1fffff, v14
	v_add_nc_u32_e32 v14, v13, v135
                                        ; implicit-def: $vgpr13
	s_delay_alu instid0(VALU_DEP_3)
	v_cmpx_ne_u32_e64 v15, v134
	s_xor_b32 s13, exec_lo, s13
; %bb.7593:                             ;   in Loop: Header=BB4_7553 Depth=3
	s_delay_alu instid0(VALU_DEP_2) | instskip(SKIP_2) | instid1(VALU_DEP_2)
	v_cmp_lt_u32_e32 vcc_lo, 0xffffff, v14
	v_sub_nc_u32_e32 v13, v15, v134
	v_cndmask_b32_e64 v15, 0, 1, vcc_lo
	v_add_co_ci_u32_e32 v13, vcc_lo, 0, v13, vcc_lo
	s_delay_alu instid0(VALU_DEP_2)
	v_lshrrev_b32_e32 v14, v15, v14
; %bb.7594:                             ;   in Loop: Header=BB4_7553 Depth=3
	s_and_not1_saveexec_b32 s13, s13
; %bb.7595:                             ;   in Loop: Header=BB4_7553 Depth=3
	s_delay_alu instid0(VALU_DEP_1)
	v_bfe_u32 v13, v14, 23, 1
; %bb.7596:                             ;   in Loop: Header=BB4_7553 Depth=3
	s_or_b32 exec_lo, exec_lo, s13
	v_lshrrev_b32_e32 v14, 21, v14
	s_delay_alu instid0(VALU_DEP_2) | instskip(SKIP_2) | instid1(VALU_DEP_2)
	v_cmp_gt_i32_e32 vcc_lo, 32, v13
	v_min_i32_e32 v15, 31, v13
	v_lshrrev_b32_e32 v12, 24, v12
	v_dual_cndmask_b32 v14, 3, v14 :: v_dual_lshlrev_b32 v15, 2, v15
	s_delay_alu instid0(VALU_DEP_2) | instskip(NEXT) | instid1(VALU_DEP_2)
	v_and_b32_e32 v12, 0x80, v12
	v_or_b32_e32 v13, v13, v14
	s_delay_alu instid0(VALU_DEP_1) | instskip(SKIP_1) | instid1(VALU_DEP_1)
	v_cmp_ne_u32_e32 vcc_lo, 0, v13
	v_and_b32_e32 v134, 3, v14
	v_or3_b32 v12, v15, v12, v134
	s_delay_alu instid0(VALU_DEP_1)
	v_cndmask_b32_e32 v151, 0, v12, vcc_lo
.LBB4_7597:                             ;   in Loop: Header=BB4_7553 Depth=3
	s_or_b32 exec_lo, exec_lo, s31
.LBB4_7598:                             ;   in Loop: Header=BB4_7553 Depth=3
	s_delay_alu instid0(SALU_CYCLE_1) | instskip(SKIP_3) | instid1(VALU_DEP_1)
	s_or_b32 exec_lo, exec_lo, s30
	v_lshrrev_b32_e32 v12, 24, v8
	s_mov_b32 s13, 0
	s_mov_b32 s31, exec_lo
                                        ; implicit-def: $sgpr30
	v_cmpx_lt_i16_e32 0x7f, v12
	s_xor_b32 s31, exec_lo, s31
	s_cbranch_execnz .LBB4_8468
; %bb.7599:                             ;   in Loop: Header=BB4_7553 Depth=3
	s_or_saveexec_b32 s31, s31
	v_mov_b32_e32 v13, s30
	s_xor_b32 exec_lo, exec_lo, s31
	s_cbranch_execnz .LBB4_8471
.LBB4_7600:                             ;   in Loop: Header=BB4_7553 Depth=3
	s_or_b32 exec_lo, exec_lo, s31
	s_and_saveexec_b32 s30, s13
	s_cbranch_execz .LBB4_7602
.LBB4_7601:                             ;   in Loop: Header=BB4_7553 Depth=3
	v_bfe_u32 v13, v8, 24, 2
	s_delay_alu instid0(VALU_DEP_1) | instskip(NEXT) | instid1(VALU_DEP_1)
	v_clz_i32_u32_e32 v14, v13
	v_min_u32_e32 v14, 32, v14
	s_delay_alu instid0(VALU_DEP_1) | instskip(SKIP_1) | instid1(VALU_DEP_2)
	v_subrev_nc_u32_e32 v15, 29, v14
	v_sub_nc_u32_e32 v14, 30, v14
	v_lshlrev_b32_e32 v12, v15, v12
	v_bfe_u32 v15, v8, 26, 5
	v_and_b32_e32 v8, 0x80000000, v8
	s_delay_alu instid0(VALU_DEP_3) | instskip(NEXT) | instid1(VALU_DEP_3)
	v_and_b32_e32 v12, 3, v12
	v_cmp_eq_u32_e32 vcc_lo, 0, v15
	v_cndmask_b32_e32 v14, v15, v14, vcc_lo
	s_delay_alu instid0(VALU_DEP_3) | instskip(NEXT) | instid1(VALU_DEP_2)
	v_cndmask_b32_e32 v12, v13, v12, vcc_lo
	v_lshl_add_u32 v13, v14, 23, 0x37800000
	s_delay_alu instid0(VALU_DEP_2) | instskip(NEXT) | instid1(VALU_DEP_1)
	v_lshlrev_b32_e32 v12, 21, v12
	v_or3_b32 v13, v8, v13, v12
.LBB4_7602:                             ;   in Loop: Header=BB4_7553 Depth=3
	s_or_b32 exec_lo, exec_lo, s30
	s_delay_alu instid0(VALU_DEP_1) | instskip(SKIP_1) | instid1(VALU_DEP_1)
	v_dual_mul_f32 v8, s17, v13 :: v_dual_mov_b32 v177, 0x80
	s_mov_b32 s30, exec_lo
	v_and_b32_e32 v12, 0x7f800000, v8
	s_delay_alu instid0(VALU_DEP_1)
	v_cmpx_ne_u32_e32 0x7f800000, v12
	s_cbranch_execz .LBB4_7610
; %bb.7603:                             ;   in Loop: Header=BB4_7553 Depth=3
	v_mov_b32_e32 v177, 0
	s_mov_b32 s31, exec_lo
	v_cmpx_ne_u32_e32 0, v8
	s_cbranch_execz .LBB4_7609
; %bb.7604:                             ;   in Loop: Header=BB4_7553 Depth=3
	v_bfe_u32 v12, v8, 23, 8
	s_delay_alu instid0(VALU_DEP_1) | instskip(SKIP_1) | instid1(VALU_DEP_2)
	v_sub_nc_u32_e32 v14, 0x70, v12
	v_cmp_gt_u32_e32 vcc_lo, 0x71, v12
	v_dual_cndmask_b32 v14, 0, v14 :: v_dual_and_b32 v13, 0x7fffff, v8
	s_delay_alu instid0(VALU_DEP_1) | instskip(SKIP_2) | instid1(VALU_DEP_4)
	v_or_b32_e32 v15, 0x800000, v13
	v_cmp_eq_u32_e32 vcc_lo, 0, v12
	v_add_nc_u32_e32 v12, 0xffffff91, v12
	v_cndmask_b32_e64 v14, v14, 0x6f, vcc_lo
	s_delay_alu instid0(VALU_DEP_4) | instskip(NEXT) | instid1(VALU_DEP_3)
	v_cndmask_b32_e32 v13, v15, v13, vcc_lo
	v_cndmask_b32_e64 v12, v12, 0xffffff92, vcc_lo
	s_delay_alu instid0(VALU_DEP_3) | instskip(NEXT) | instid1(VALU_DEP_3)
	v_lshl_add_u32 v15, 0x200000, v14, -1
	v_lshrrev_b32_e32 v134, v14, v13
	v_lshlrev_b32_e64 v144, v14, 0x100000
	s_delay_alu instid0(VALU_DEP_4) | instskip(NEXT) | instid1(VALU_DEP_4)
	v_add_nc_u32_e32 v14, v14, v12
	v_and_b32_e32 v13, v15, v13
	s_delay_alu instid0(VALU_DEP_4) | instskip(NEXT) | instid1(VALU_DEP_2)
	v_bfe_u32 v135, v134, 21, 1
	v_cmp_eq_u32_e64 s13, v13, v144
	s_delay_alu instid0(VALU_DEP_2) | instskip(NEXT) | instid1(VALU_DEP_1)
	v_add_nc_u32_e32 v15, -1, v135
	v_cndmask_b32_e64 v13, 0, v15, s13
	v_lshrrev_b32_e32 v15, 23, v134
	s_mov_b32 s13, exec_lo
	s_delay_alu instid0(VALU_DEP_2) | instskip(NEXT) | instid1(VALU_DEP_2)
	v_add_nc_u32_e32 v13, v13, v134
	v_xor_b32_e32 v15, 1, v15
	s_delay_alu instid0(VALU_DEP_2) | instskip(NEXT) | instid1(VALU_DEP_1)
	v_and_b32_e32 v12, 0x1fffff, v13
	v_add_nc_u32_e32 v13, v12, v134
                                        ; implicit-def: $vgpr12
	s_delay_alu instid0(VALU_DEP_3)
	v_cmpx_ne_u32_e64 v14, v15
	s_xor_b32 s13, exec_lo, s13
; %bb.7605:                             ;   in Loop: Header=BB4_7553 Depth=3
	s_delay_alu instid0(VALU_DEP_2) | instskip(SKIP_2) | instid1(VALU_DEP_2)
	v_cmp_lt_u32_e32 vcc_lo, 0xffffff, v13
	v_sub_nc_u32_e32 v12, v14, v15
	v_cndmask_b32_e64 v14, 0, 1, vcc_lo
	v_add_co_ci_u32_e32 v12, vcc_lo, 0, v12, vcc_lo
	s_delay_alu instid0(VALU_DEP_2)
	v_lshrrev_b32_e32 v13, v14, v13
; %bb.7606:                             ;   in Loop: Header=BB4_7553 Depth=3
	s_and_not1_saveexec_b32 s13, s13
; %bb.7607:                             ;   in Loop: Header=BB4_7553 Depth=3
	s_delay_alu instid0(VALU_DEP_1)
	v_bfe_u32 v12, v13, 23, 1
; %bb.7608:                             ;   in Loop: Header=BB4_7553 Depth=3
	s_or_b32 exec_lo, exec_lo, s13
	v_lshrrev_b32_e32 v13, 21, v13
	s_delay_alu instid0(VALU_DEP_2) | instskip(SKIP_2) | instid1(VALU_DEP_2)
	v_cmp_gt_i32_e32 vcc_lo, 32, v12
	v_lshrrev_b32_e32 v8, 24, v8
	v_min_i32_e32 v14, 31, v12
	v_dual_cndmask_b32 v13, 3, v13 :: v_dual_and_b32 v8, 0x80, v8
	s_delay_alu instid0(VALU_DEP_1) | instskip(SKIP_1) | instid1(VALU_DEP_2)
	v_or_b32_e32 v12, v12, v13
	v_and_b32_e32 v15, 3, v13
	v_cmp_ne_u32_e32 vcc_lo, 0, v12
	v_lshlrev_b32_e32 v14, 2, v14
	s_delay_alu instid0(VALU_DEP_1) | instskip(NEXT) | instid1(VALU_DEP_1)
	v_or3_b32 v8, v14, v8, v15
	v_cndmask_b32_e32 v177, 0, v8, vcc_lo
.LBB4_7609:                             ;   in Loop: Header=BB4_7553 Depth=3
	s_or_b32 exec_lo, exec_lo, s31
.LBB4_7610:                             ;   in Loop: Header=BB4_7553 Depth=3
	s_delay_alu instid0(SALU_CYCLE_1) | instskip(SKIP_3) | instid1(VALU_DEP_1)
	s_or_b32 exec_lo, exec_lo, s30
	v_and_b32_e32 v12, 0xff, v9
	s_mov_b32 s13, 0
	s_mov_b32 s31, exec_lo
                                        ; implicit-def: $sgpr30
	v_cmpx_lt_i16_e32 0x7f, v12
	s_xor_b32 s31, exec_lo, s31
	s_cbranch_execnz .LBB4_8472
; %bb.7611:                             ;   in Loop: Header=BB4_7553 Depth=3
	s_or_saveexec_b32 s31, s31
	v_mov_b32_e32 v8, s30
	s_xor_b32 exec_lo, exec_lo, s31
	s_cbranch_execnz .LBB4_8475
.LBB4_7612:                             ;   in Loop: Header=BB4_7553 Depth=3
	s_or_b32 exec_lo, exec_lo, s31
	s_and_saveexec_b32 s30, s13
	s_cbranch_execz .LBB4_7614
.LBB4_7613:                             ;   in Loop: Header=BB4_7553 Depth=3
	v_and_b32_e32 v8, 3, v9
	v_bfe_u32 v14, v9, 2, 5
	v_lshlrev_b32_e32 v15, 24, v9
	s_delay_alu instid0(VALU_DEP_3) | instskip(NEXT) | instid1(VALU_DEP_3)
	v_clz_i32_u32_e32 v12, v8
	v_cmp_eq_u32_e32 vcc_lo, 0, v14
	s_delay_alu instid0(VALU_DEP_2) | instskip(NEXT) | instid1(VALU_DEP_1)
	v_min_u32_e32 v12, 32, v12
	v_subrev_nc_u32_e32 v13, 29, v12
	v_sub_nc_u32_e32 v12, 30, v12
	s_delay_alu instid0(VALU_DEP_1) | instskip(NEXT) | instid1(VALU_DEP_1)
	v_dual_cndmask_b32 v12, v14, v12 :: v_dual_lshlrev_b32 v13, v13, v9
	v_and_b32_e32 v13, 3, v13
	s_delay_alu instid0(VALU_DEP_2) | instskip(NEXT) | instid1(VALU_DEP_2)
	v_lshl_add_u32 v12, v12, 23, 0x37800000
	v_dual_cndmask_b32 v8, v8, v13 :: v_dual_and_b32 v13, 0x80000000, v15
	s_delay_alu instid0(VALU_DEP_1) | instskip(NEXT) | instid1(VALU_DEP_1)
	v_lshlrev_b32_e32 v8, 21, v8
	v_or3_b32 v8, v13, v12, v8
.LBB4_7614:                             ;   in Loop: Header=BB4_7553 Depth=3
	s_or_b32 exec_lo, exec_lo, s30
	s_delay_alu instid0(VALU_DEP_1) | instskip(SKIP_2) | instid1(VALU_DEP_2)
	v_mul_f32_e32 v8, s17, v8
	v_mov_b32_e32 v166, 0x80
	s_mov_b32 s30, exec_lo
	v_and_b32_e32 v12, 0x7f800000, v8
	s_delay_alu instid0(VALU_DEP_1)
	v_cmpx_ne_u32_e32 0x7f800000, v12
	s_cbranch_execz .LBB4_7622
; %bb.7615:                             ;   in Loop: Header=BB4_7553 Depth=3
	v_mov_b32_e32 v166, 0
	s_mov_b32 s31, exec_lo
	v_cmpx_ne_u32_e32 0, v8
	s_cbranch_execz .LBB4_7621
; %bb.7616:                             ;   in Loop: Header=BB4_7553 Depth=3
	v_bfe_u32 v12, v8, 23, 8
	s_delay_alu instid0(VALU_DEP_1) | instskip(SKIP_1) | instid1(VALU_DEP_2)
	v_sub_nc_u32_e32 v14, 0x70, v12
	v_cmp_gt_u32_e32 vcc_lo, 0x71, v12
	v_dual_cndmask_b32 v14, 0, v14 :: v_dual_and_b32 v13, 0x7fffff, v8
	s_delay_alu instid0(VALU_DEP_1) | instskip(SKIP_2) | instid1(VALU_DEP_4)
	v_or_b32_e32 v15, 0x800000, v13
	v_cmp_eq_u32_e32 vcc_lo, 0, v12
	v_add_nc_u32_e32 v12, 0xffffff91, v12
	v_cndmask_b32_e64 v14, v14, 0x6f, vcc_lo
	s_delay_alu instid0(VALU_DEP_4) | instskip(NEXT) | instid1(VALU_DEP_3)
	v_cndmask_b32_e32 v13, v15, v13, vcc_lo
	v_cndmask_b32_e64 v12, v12, 0xffffff92, vcc_lo
	s_delay_alu instid0(VALU_DEP_3) | instskip(NEXT) | instid1(VALU_DEP_3)
	v_lshl_add_u32 v15, 0x200000, v14, -1
	v_lshrrev_b32_e32 v134, v14, v13
	v_lshlrev_b32_e64 v144, v14, 0x100000
	s_delay_alu instid0(VALU_DEP_4) | instskip(NEXT) | instid1(VALU_DEP_4)
	v_add_nc_u32_e32 v14, v14, v12
	v_and_b32_e32 v13, v15, v13
	s_delay_alu instid0(VALU_DEP_4) | instskip(NEXT) | instid1(VALU_DEP_2)
	v_bfe_u32 v135, v134, 21, 1
	v_cmp_eq_u32_e64 s13, v13, v144
	s_delay_alu instid0(VALU_DEP_2) | instskip(NEXT) | instid1(VALU_DEP_1)
	v_add_nc_u32_e32 v15, -1, v135
	v_cndmask_b32_e64 v13, 0, v15, s13
	v_lshrrev_b32_e32 v15, 23, v134
	s_mov_b32 s13, exec_lo
	s_delay_alu instid0(VALU_DEP_2) | instskip(NEXT) | instid1(VALU_DEP_2)
	v_add_nc_u32_e32 v13, v13, v134
	v_xor_b32_e32 v15, 1, v15
	s_delay_alu instid0(VALU_DEP_2) | instskip(NEXT) | instid1(VALU_DEP_1)
	v_and_b32_e32 v12, 0x1fffff, v13
	v_add_nc_u32_e32 v13, v12, v134
                                        ; implicit-def: $vgpr12
	s_delay_alu instid0(VALU_DEP_3)
	v_cmpx_ne_u32_e64 v14, v15
	s_xor_b32 s13, exec_lo, s13
; %bb.7617:                             ;   in Loop: Header=BB4_7553 Depth=3
	s_delay_alu instid0(VALU_DEP_2) | instskip(SKIP_2) | instid1(VALU_DEP_2)
	v_cmp_lt_u32_e32 vcc_lo, 0xffffff, v13
	v_sub_nc_u32_e32 v12, v14, v15
	v_cndmask_b32_e64 v14, 0, 1, vcc_lo
	v_add_co_ci_u32_e32 v12, vcc_lo, 0, v12, vcc_lo
	s_delay_alu instid0(VALU_DEP_2)
	v_lshrrev_b32_e32 v13, v14, v13
; %bb.7618:                             ;   in Loop: Header=BB4_7553 Depth=3
	s_and_not1_saveexec_b32 s13, s13
; %bb.7619:                             ;   in Loop: Header=BB4_7553 Depth=3
	s_delay_alu instid0(VALU_DEP_1)
	v_bfe_u32 v12, v13, 23, 1
; %bb.7620:                             ;   in Loop: Header=BB4_7553 Depth=3
	s_or_b32 exec_lo, exec_lo, s13
	v_lshrrev_b32_e32 v13, 21, v13
	s_delay_alu instid0(VALU_DEP_2) | instskip(SKIP_2) | instid1(VALU_DEP_2)
	v_cmp_gt_i32_e32 vcc_lo, 32, v12
	v_min_i32_e32 v14, 31, v12
	v_lshrrev_b32_e32 v8, 24, v8
	v_dual_cndmask_b32 v13, 3, v13 :: v_dual_lshlrev_b32 v14, 2, v14
	s_delay_alu instid0(VALU_DEP_2) | instskip(NEXT) | instid1(VALU_DEP_2)
	v_and_b32_e32 v8, 0x80, v8
	v_or_b32_e32 v12, v12, v13
	s_delay_alu instid0(VALU_DEP_3) | instskip(NEXT) | instid1(VALU_DEP_2)
	v_and_b32_e32 v14, 0xfc, v14
	v_cmp_ne_u32_e32 vcc_lo, 0, v12
	v_and_b32_e32 v15, 3, v13
	s_delay_alu instid0(VALU_DEP_1) | instskip(NEXT) | instid1(VALU_DEP_1)
	v_or3_b32 v8, v14, v8, v15
	v_cndmask_b32_e32 v166, 0, v8, vcc_lo
.LBB4_7621:                             ;   in Loop: Header=BB4_7553 Depth=3
	s_or_b32 exec_lo, exec_lo, s31
.LBB4_7622:                             ;   in Loop: Header=BB4_7553 Depth=3
	s_delay_alu instid0(SALU_CYCLE_1) | instskip(SKIP_3) | instid1(VALU_DEP_1)
	s_or_b32 exec_lo, exec_lo, s30
	v_lshrrev_b16 v8, 8, v9
	s_mov_b32 s13, 0
	s_mov_b32 s31, exec_lo
                                        ; implicit-def: $sgpr30
	v_cmpx_lt_i16_e32 0x7f, v8
	s_xor_b32 s31, exec_lo, s31
	s_cbranch_execnz .LBB4_8476
; %bb.7623:                             ;   in Loop: Header=BB4_7553 Depth=3
	s_or_saveexec_b32 s31, s31
	v_mov_b32_e32 v12, s30
	s_xor_b32 exec_lo, exec_lo, s31
	s_cbranch_execnz .LBB4_8479
.LBB4_7624:                             ;   in Loop: Header=BB4_7553 Depth=3
	s_or_b32 exec_lo, exec_lo, s31
	s_and_saveexec_b32 s30, s13
	s_cbranch_execz .LBB4_7626
.LBB4_7625:                             ;   in Loop: Header=BB4_7553 Depth=3
	v_and_b32_e32 v12, 0xffff, v8
	v_lshlrev_b32_e32 v8, 24, v8
	s_delay_alu instid0(VALU_DEP_2) | instskip(NEXT) | instid1(VALU_DEP_2)
	v_and_b32_e32 v13, 3, v12
	v_and_b32_e32 v8, 0x80000000, v8
	s_delay_alu instid0(VALU_DEP_2) | instskip(NEXT) | instid1(VALU_DEP_1)
	v_clz_i32_u32_e32 v14, v13
	v_min_u32_e32 v14, 32, v14
	s_delay_alu instid0(VALU_DEP_1) | instskip(SKIP_1) | instid1(VALU_DEP_2)
	v_subrev_nc_u32_e32 v15, 29, v14
	v_sub_nc_u32_e32 v14, 30, v14
	v_lshlrev_b32_e32 v15, v15, v12
	v_bfe_u32 v12, v12, 2, 5
	s_delay_alu instid0(VALU_DEP_2) | instskip(NEXT) | instid1(VALU_DEP_2)
	v_and_b32_e32 v15, 3, v15
	v_cmp_eq_u32_e32 vcc_lo, 0, v12
	s_delay_alu instid0(VALU_DEP_2) | instskip(NEXT) | instid1(VALU_DEP_1)
	v_dual_cndmask_b32 v12, v12, v14 :: v_dual_cndmask_b32 v13, v13, v15
	v_lshl_add_u32 v12, v12, 23, 0x37800000
	s_delay_alu instid0(VALU_DEP_2) | instskip(NEXT) | instid1(VALU_DEP_1)
	v_lshlrev_b32_e32 v13, 21, v13
	v_or3_b32 v12, v8, v12, v13
.LBB4_7626:                             ;   in Loop: Header=BB4_7553 Depth=3
	s_or_b32 exec_lo, exec_lo, s30
	s_delay_alu instid0(VALU_DEP_1) | instskip(SKIP_2) | instid1(VALU_DEP_2)
	v_mul_f32_e32 v8, s17, v12
	v_mov_b32_e32 v44, 0x8000
	s_mov_b32 s30, exec_lo
	v_and_b32_e32 v12, 0x7f800000, v8
	s_delay_alu instid0(VALU_DEP_1)
	v_cmpx_ne_u32_e32 0x7f800000, v12
	s_cbranch_execz .LBB4_7634
; %bb.7627:                             ;   in Loop: Header=BB4_7553 Depth=3
	v_mov_b32_e32 v44, 0
	s_mov_b32 s31, exec_lo
	v_cmpx_ne_u32_e32 0, v8
	s_cbranch_execz .LBB4_7633
; %bb.7628:                             ;   in Loop: Header=BB4_7553 Depth=3
	v_bfe_u32 v12, v8, 23, 8
	s_delay_alu instid0(VALU_DEP_1) | instskip(SKIP_1) | instid1(VALU_DEP_2)
	v_sub_nc_u32_e32 v14, 0x70, v12
	v_cmp_gt_u32_e32 vcc_lo, 0x71, v12
	v_dual_cndmask_b32 v14, 0, v14 :: v_dual_and_b32 v13, 0x7fffff, v8
	s_delay_alu instid0(VALU_DEP_1) | instskip(SKIP_2) | instid1(VALU_DEP_4)
	v_or_b32_e32 v15, 0x800000, v13
	v_cmp_eq_u32_e32 vcc_lo, 0, v12
	v_add_nc_u32_e32 v12, 0xffffff91, v12
	v_cndmask_b32_e64 v14, v14, 0x6f, vcc_lo
	s_delay_alu instid0(VALU_DEP_4) | instskip(NEXT) | instid1(VALU_DEP_3)
	v_cndmask_b32_e32 v13, v15, v13, vcc_lo
	v_cndmask_b32_e64 v12, v12, 0xffffff92, vcc_lo
	s_delay_alu instid0(VALU_DEP_3) | instskip(NEXT) | instid1(VALU_DEP_3)
	v_lshl_add_u32 v15, 0x200000, v14, -1
	v_lshrrev_b32_e32 v134, v14, v13
	v_lshlrev_b32_e64 v144, v14, 0x100000
	s_delay_alu instid0(VALU_DEP_4) | instskip(NEXT) | instid1(VALU_DEP_4)
	v_add_nc_u32_e32 v14, v14, v12
	v_and_b32_e32 v13, v15, v13
	s_delay_alu instid0(VALU_DEP_4) | instskip(NEXT) | instid1(VALU_DEP_2)
	v_bfe_u32 v135, v134, 21, 1
	v_cmp_eq_u32_e64 s13, v13, v144
	s_delay_alu instid0(VALU_DEP_2) | instskip(NEXT) | instid1(VALU_DEP_1)
	v_add_nc_u32_e32 v15, -1, v135
	v_cndmask_b32_e64 v13, 0, v15, s13
	v_lshrrev_b32_e32 v15, 23, v134
	s_mov_b32 s13, exec_lo
	s_delay_alu instid0(VALU_DEP_2) | instskip(NEXT) | instid1(VALU_DEP_2)
	v_add_nc_u32_e32 v13, v13, v134
	v_xor_b32_e32 v15, 1, v15
	s_delay_alu instid0(VALU_DEP_2) | instskip(NEXT) | instid1(VALU_DEP_1)
	v_and_b32_e32 v12, 0x1fffff, v13
	v_add_nc_u32_e32 v13, v12, v134
                                        ; implicit-def: $vgpr12
	s_delay_alu instid0(VALU_DEP_3)
	v_cmpx_ne_u32_e64 v14, v15
	s_xor_b32 s13, exec_lo, s13
; %bb.7629:                             ;   in Loop: Header=BB4_7553 Depth=3
	s_delay_alu instid0(VALU_DEP_2) | instskip(SKIP_2) | instid1(VALU_DEP_2)
	v_cmp_lt_u32_e32 vcc_lo, 0xffffff, v13
	v_sub_nc_u32_e32 v12, v14, v15
	v_cndmask_b32_e64 v14, 0, 1, vcc_lo
	v_add_co_ci_u32_e32 v12, vcc_lo, 0, v12, vcc_lo
	s_delay_alu instid0(VALU_DEP_2)
	v_lshrrev_b32_e32 v13, v14, v13
; %bb.7630:                             ;   in Loop: Header=BB4_7553 Depth=3
	s_and_not1_saveexec_b32 s13, s13
; %bb.7631:                             ;   in Loop: Header=BB4_7553 Depth=3
	s_delay_alu instid0(VALU_DEP_1)
	v_bfe_u32 v12, v13, 23, 1
; %bb.7632:                             ;   in Loop: Header=BB4_7553 Depth=3
	s_or_b32 exec_lo, exec_lo, s13
	v_lshrrev_b32_e32 v13, 21, v13
	s_delay_alu instid0(VALU_DEP_2) | instskip(SKIP_2) | instid1(VALU_DEP_2)
	v_cmp_gt_i32_e32 vcc_lo, 32, v12
	v_min_i32_e32 v14, 31, v12
	v_lshrrev_b32_e32 v8, 24, v8
	v_dual_cndmask_b32 v13, 3, v13 :: v_dual_lshlrev_b32 v14, 2, v14
	s_delay_alu instid0(VALU_DEP_2) | instskip(NEXT) | instid1(VALU_DEP_2)
	v_and_b32_e32 v8, 0x80, v8
	v_or_b32_e32 v12, v12, v13
	s_delay_alu instid0(VALU_DEP_3) | instskip(NEXT) | instid1(VALU_DEP_2)
	v_and_b32_e32 v14, 0xfc, v14
	v_cmp_ne_u32_e32 vcc_lo, 0, v12
	v_and_b32_e32 v15, 3, v13
	s_delay_alu instid0(VALU_DEP_1) | instskip(NEXT) | instid1(VALU_DEP_1)
	v_or3_b32 v8, v8, v14, v15
	v_lshlrev_b32_e32 v8, 8, v8
	s_delay_alu instid0(VALU_DEP_1)
	v_cndmask_b32_e32 v44, 0, v8, vcc_lo
.LBB4_7633:                             ;   in Loop: Header=BB4_7553 Depth=3
	s_or_b32 exec_lo, exec_lo, s31
.LBB4_7634:                             ;   in Loop: Header=BB4_7553 Depth=3
	s_delay_alu instid0(SALU_CYCLE_1) | instskip(SKIP_3) | instid1(VALU_DEP_1)
	s_or_b32 exec_lo, exec_lo, s30
	v_lshrrev_b32_e32 v8, 16, v9
	s_mov_b32 s13, 0
	s_mov_b32 s31, exec_lo
                                        ; implicit-def: $sgpr30
	v_and_b32_e32 v13, 0xff, v8
	s_delay_alu instid0(VALU_DEP_1)
	v_cmpx_lt_i16_e32 0x7f, v13
	s_xor_b32 s31, exec_lo, s31
	s_cbranch_execnz .LBB4_8480
; %bb.7635:                             ;   in Loop: Header=BB4_7553 Depth=3
	s_or_saveexec_b32 s31, s31
	v_mov_b32_e32 v12, s30
	s_xor_b32 exec_lo, exec_lo, s31
	s_cbranch_execnz .LBB4_8483
.LBB4_7636:                             ;   in Loop: Header=BB4_7553 Depth=3
	s_or_b32 exec_lo, exec_lo, s31
	s_and_saveexec_b32 s30, s13
	s_cbranch_execz .LBB4_7638
.LBB4_7637:                             ;   in Loop: Header=BB4_7553 Depth=3
	v_bfe_u32 v12, v9, 16, 2
	s_delay_alu instid0(VALU_DEP_1) | instskip(NEXT) | instid1(VALU_DEP_1)
	v_clz_i32_u32_e32 v13, v12
	v_min_u32_e32 v13, 32, v13
	s_delay_alu instid0(VALU_DEP_1) | instskip(SKIP_1) | instid1(VALU_DEP_2)
	v_subrev_nc_u32_e32 v14, 29, v13
	v_sub_nc_u32_e32 v13, 30, v13
	v_lshlrev_b32_e32 v8, v14, v8
	v_bfe_u32 v14, v9, 18, 5
	s_delay_alu instid0(VALU_DEP_1) | instskip(NEXT) | instid1(VALU_DEP_3)
	v_cmp_eq_u32_e32 vcc_lo, 0, v14
	v_dual_cndmask_b32 v13, v14, v13 :: v_dual_and_b32 v8, 3, v8
	s_delay_alu instid0(VALU_DEP_1) | instskip(NEXT) | instid1(VALU_DEP_2)
	v_dual_cndmask_b32 v8, v12, v8 :: v_dual_lshlrev_b32 v15, 8, v9
	v_lshl_add_u32 v13, v13, 23, 0x37800000
	s_delay_alu instid0(VALU_DEP_2) | instskip(NEXT) | instid1(VALU_DEP_3)
	v_and_b32_e32 v12, 0x80000000, v15
	v_lshlrev_b32_e32 v8, 21, v8
	s_delay_alu instid0(VALU_DEP_1)
	v_or3_b32 v12, v12, v13, v8
.LBB4_7638:                             ;   in Loop: Header=BB4_7553 Depth=3
	s_or_b32 exec_lo, exec_lo, s30
	s_delay_alu instid0(VALU_DEP_1) | instskip(SKIP_2) | instid1(VALU_DEP_2)
	v_mul_f32_e32 v8, s17, v12
	v_mov_b32_e32 v182, 0x80
	s_mov_b32 s30, exec_lo
	v_and_b32_e32 v12, 0x7f800000, v8
	s_delay_alu instid0(VALU_DEP_1)
	v_cmpx_ne_u32_e32 0x7f800000, v12
	s_cbranch_execz .LBB4_7646
; %bb.7639:                             ;   in Loop: Header=BB4_7553 Depth=3
	v_mov_b32_e32 v182, 0
	s_mov_b32 s31, exec_lo
	v_cmpx_ne_u32_e32 0, v8
	s_cbranch_execz .LBB4_7645
; %bb.7640:                             ;   in Loop: Header=BB4_7553 Depth=3
	v_bfe_u32 v12, v8, 23, 8
	s_delay_alu instid0(VALU_DEP_1) | instskip(SKIP_1) | instid1(VALU_DEP_2)
	v_sub_nc_u32_e32 v14, 0x70, v12
	v_cmp_gt_u32_e32 vcc_lo, 0x71, v12
	v_dual_cndmask_b32 v14, 0, v14 :: v_dual_and_b32 v13, 0x7fffff, v8
	s_delay_alu instid0(VALU_DEP_1) | instskip(SKIP_2) | instid1(VALU_DEP_4)
	v_or_b32_e32 v15, 0x800000, v13
	v_cmp_eq_u32_e32 vcc_lo, 0, v12
	v_add_nc_u32_e32 v12, 0xffffff91, v12
	v_cndmask_b32_e64 v14, v14, 0x6f, vcc_lo
	s_delay_alu instid0(VALU_DEP_4) | instskip(NEXT) | instid1(VALU_DEP_3)
	v_cndmask_b32_e32 v13, v15, v13, vcc_lo
	v_cndmask_b32_e64 v12, v12, 0xffffff92, vcc_lo
	s_delay_alu instid0(VALU_DEP_3) | instskip(NEXT) | instid1(VALU_DEP_3)
	v_lshl_add_u32 v15, 0x200000, v14, -1
	v_lshrrev_b32_e32 v134, v14, v13
	v_lshlrev_b32_e64 v144, v14, 0x100000
	s_delay_alu instid0(VALU_DEP_4) | instskip(NEXT) | instid1(VALU_DEP_4)
	v_add_nc_u32_e32 v14, v14, v12
	v_and_b32_e32 v13, v15, v13
	s_delay_alu instid0(VALU_DEP_4) | instskip(NEXT) | instid1(VALU_DEP_2)
	v_bfe_u32 v135, v134, 21, 1
	v_cmp_eq_u32_e64 s13, v13, v144
	s_delay_alu instid0(VALU_DEP_2) | instskip(NEXT) | instid1(VALU_DEP_1)
	v_add_nc_u32_e32 v15, -1, v135
	v_cndmask_b32_e64 v13, 0, v15, s13
	v_lshrrev_b32_e32 v15, 23, v134
	s_mov_b32 s13, exec_lo
	s_delay_alu instid0(VALU_DEP_2) | instskip(NEXT) | instid1(VALU_DEP_2)
	v_add_nc_u32_e32 v13, v13, v134
	v_xor_b32_e32 v15, 1, v15
	s_delay_alu instid0(VALU_DEP_2) | instskip(NEXT) | instid1(VALU_DEP_1)
	v_and_b32_e32 v12, 0x1fffff, v13
	v_add_nc_u32_e32 v13, v12, v134
                                        ; implicit-def: $vgpr12
	s_delay_alu instid0(VALU_DEP_3)
	v_cmpx_ne_u32_e64 v14, v15
	s_xor_b32 s13, exec_lo, s13
; %bb.7641:                             ;   in Loop: Header=BB4_7553 Depth=3
	s_delay_alu instid0(VALU_DEP_2) | instskip(SKIP_2) | instid1(VALU_DEP_2)
	v_cmp_lt_u32_e32 vcc_lo, 0xffffff, v13
	v_sub_nc_u32_e32 v12, v14, v15
	v_cndmask_b32_e64 v14, 0, 1, vcc_lo
	v_add_co_ci_u32_e32 v12, vcc_lo, 0, v12, vcc_lo
	s_delay_alu instid0(VALU_DEP_2)
	v_lshrrev_b32_e32 v13, v14, v13
; %bb.7642:                             ;   in Loop: Header=BB4_7553 Depth=3
	s_and_not1_saveexec_b32 s13, s13
; %bb.7643:                             ;   in Loop: Header=BB4_7553 Depth=3
	s_delay_alu instid0(VALU_DEP_1)
	v_bfe_u32 v12, v13, 23, 1
; %bb.7644:                             ;   in Loop: Header=BB4_7553 Depth=3
	s_or_b32 exec_lo, exec_lo, s13
	v_lshrrev_b32_e32 v13, 21, v13
	s_delay_alu instid0(VALU_DEP_2) | instskip(SKIP_2) | instid1(VALU_DEP_2)
	v_cmp_gt_i32_e32 vcc_lo, 32, v12
	v_min_i32_e32 v14, 31, v12
	v_lshrrev_b32_e32 v8, 24, v8
	v_dual_cndmask_b32 v13, 3, v13 :: v_dual_lshlrev_b32 v14, 2, v14
	s_delay_alu instid0(VALU_DEP_2) | instskip(NEXT) | instid1(VALU_DEP_2)
	v_and_b32_e32 v8, 0x80, v8
	v_or_b32_e32 v12, v12, v13
	s_delay_alu instid0(VALU_DEP_3) | instskip(NEXT) | instid1(VALU_DEP_2)
	v_and_b32_e32 v14, 0xfc, v14
	v_cmp_ne_u32_e32 vcc_lo, 0, v12
	v_and_b32_e32 v15, 3, v13
	s_delay_alu instid0(VALU_DEP_1) | instskip(NEXT) | instid1(VALU_DEP_1)
	v_or3_b32 v8, v14, v8, v15
	v_cndmask_b32_e32 v182, 0, v8, vcc_lo
.LBB4_7645:                             ;   in Loop: Header=BB4_7553 Depth=3
	s_or_b32 exec_lo, exec_lo, s31
.LBB4_7646:                             ;   in Loop: Header=BB4_7553 Depth=3
	s_delay_alu instid0(SALU_CYCLE_1) | instskip(SKIP_3) | instid1(VALU_DEP_1)
	s_or_b32 exec_lo, exec_lo, s30
	v_lshrrev_b32_e32 v8, 24, v9
	s_mov_b32 s13, 0
	s_mov_b32 s31, exec_lo
                                        ; implicit-def: $sgpr30
	v_cmpx_lt_i16_e32 0x7f, v8
	s_xor_b32 s31, exec_lo, s31
	s_cbranch_execnz .LBB4_8484
; %bb.7647:                             ;   in Loop: Header=BB4_7553 Depth=3
	s_or_saveexec_b32 s31, s31
	v_mov_b32_e32 v12, s30
	s_xor_b32 exec_lo, exec_lo, s31
	s_cbranch_execnz .LBB4_8487
.LBB4_7648:                             ;   in Loop: Header=BB4_7553 Depth=3
	s_or_b32 exec_lo, exec_lo, s31
	s_and_saveexec_b32 s30, s13
	s_cbranch_execz .LBB4_7650
.LBB4_7649:                             ;   in Loop: Header=BB4_7553 Depth=3
	v_bfe_u32 v12, v9, 24, 2
	s_delay_alu instid0(VALU_DEP_1) | instskip(NEXT) | instid1(VALU_DEP_1)
	v_clz_i32_u32_e32 v13, v12
	v_min_u32_e32 v13, 32, v13
	s_delay_alu instid0(VALU_DEP_1) | instskip(SKIP_1) | instid1(VALU_DEP_2)
	v_subrev_nc_u32_e32 v14, 29, v13
	v_sub_nc_u32_e32 v13, 30, v13
	v_lshlrev_b32_e32 v8, v14, v8
	v_bfe_u32 v14, v9, 26, 5
	v_and_b32_e32 v9, 0x80000000, v9
	s_delay_alu instid0(VALU_DEP_2) | instskip(NEXT) | instid1(VALU_DEP_4)
	v_cmp_eq_u32_e32 vcc_lo, 0, v14
	v_dual_cndmask_b32 v13, v14, v13 :: v_dual_and_b32 v8, 3, v8
	s_delay_alu instid0(VALU_DEP_1) | instskip(NEXT) | instid1(VALU_DEP_2)
	v_cndmask_b32_e32 v8, v12, v8, vcc_lo
	v_lshl_add_u32 v12, v13, 23, 0x37800000
	s_delay_alu instid0(VALU_DEP_2) | instskip(NEXT) | instid1(VALU_DEP_1)
	v_lshlrev_b32_e32 v8, 21, v8
	v_or3_b32 v12, v9, v12, v8
.LBB4_7650:                             ;   in Loop: Header=BB4_7553 Depth=3
	s_or_b32 exec_lo, exec_lo, s30
	s_delay_alu instid0(VALU_DEP_1) | instskip(SKIP_1) | instid1(VALU_DEP_1)
	v_dual_mul_f32 v8, s17, v12 :: v_dual_mov_b32 v43, 0x8000
	s_mov_b32 s30, exec_lo
	v_and_b32_e32 v9, 0x7f800000, v8
	s_delay_alu instid0(VALU_DEP_1)
	v_cmpx_ne_u32_e32 0x7f800000, v9
	s_cbranch_execz .LBB4_7658
; %bb.7651:                             ;   in Loop: Header=BB4_7553 Depth=3
	v_mov_b32_e32 v43, 0
	s_mov_b32 s31, exec_lo
	v_cmpx_ne_u32_e32 0, v8
	s_cbranch_execz .LBB4_7657
; %bb.7652:                             ;   in Loop: Header=BB4_7553 Depth=3
	v_bfe_u32 v9, v8, 23, 8
	s_delay_alu instid0(VALU_DEP_1) | instskip(SKIP_1) | instid1(VALU_DEP_2)
	v_sub_nc_u32_e32 v13, 0x70, v9
	v_cmp_gt_u32_e32 vcc_lo, 0x71, v9
	v_dual_cndmask_b32 v13, 0, v13 :: v_dual_and_b32 v12, 0x7fffff, v8
	s_delay_alu instid0(VALU_DEP_1) | instskip(SKIP_2) | instid1(VALU_DEP_4)
	v_or_b32_e32 v14, 0x800000, v12
	v_cmp_eq_u32_e32 vcc_lo, 0, v9
	v_add_nc_u32_e32 v9, 0xffffff91, v9
	v_cndmask_b32_e64 v13, v13, 0x6f, vcc_lo
	s_delay_alu instid0(VALU_DEP_4) | instskip(NEXT) | instid1(VALU_DEP_3)
	v_cndmask_b32_e32 v12, v14, v12, vcc_lo
	v_cndmask_b32_e64 v9, v9, 0xffffff92, vcc_lo
	s_delay_alu instid0(VALU_DEP_3) | instskip(NEXT) | instid1(VALU_DEP_3)
	v_lshl_add_u32 v14, 0x200000, v13, -1
	v_lshrrev_b32_e32 v15, v13, v12
	v_lshlrev_b32_e64 v135, v13, 0x100000
	s_delay_alu instid0(VALU_DEP_4) | instskip(NEXT) | instid1(VALU_DEP_4)
	v_add_nc_u32_e32 v13, v13, v9
	v_and_b32_e32 v12, v14, v12
	s_delay_alu instid0(VALU_DEP_4) | instskip(NEXT) | instid1(VALU_DEP_2)
	v_bfe_u32 v134, v15, 21, 1
	v_cmp_eq_u32_e64 s13, v12, v135
	s_delay_alu instid0(VALU_DEP_2) | instskip(NEXT) | instid1(VALU_DEP_1)
	v_add_nc_u32_e32 v14, -1, v134
	v_cndmask_b32_e64 v12, 0, v14, s13
	v_lshrrev_b32_e32 v14, 23, v15
	s_mov_b32 s13, exec_lo
	s_delay_alu instid0(VALU_DEP_2) | instskip(NEXT) | instid1(VALU_DEP_2)
	v_add_nc_u32_e32 v12, v12, v15
	v_xor_b32_e32 v14, 1, v14
	s_delay_alu instid0(VALU_DEP_2) | instskip(NEXT) | instid1(VALU_DEP_1)
	v_and_b32_e32 v9, 0x1fffff, v12
	v_add_nc_u32_e32 v12, v9, v15
                                        ; implicit-def: $vgpr9
	s_delay_alu instid0(VALU_DEP_3)
	v_cmpx_ne_u32_e64 v13, v14
	s_xor_b32 s13, exec_lo, s13
; %bb.7653:                             ;   in Loop: Header=BB4_7553 Depth=3
	s_delay_alu instid0(VALU_DEP_2) | instskip(SKIP_2) | instid1(VALU_DEP_2)
	v_cmp_lt_u32_e32 vcc_lo, 0xffffff, v12
	v_sub_nc_u32_e32 v9, v13, v14
	v_cndmask_b32_e64 v13, 0, 1, vcc_lo
	v_add_co_ci_u32_e32 v9, vcc_lo, 0, v9, vcc_lo
	s_delay_alu instid0(VALU_DEP_2)
	v_lshrrev_b32_e32 v12, v13, v12
; %bb.7654:                             ;   in Loop: Header=BB4_7553 Depth=3
	s_and_not1_saveexec_b32 s13, s13
; %bb.7655:                             ;   in Loop: Header=BB4_7553 Depth=3
	s_delay_alu instid0(VALU_DEP_1)
	v_bfe_u32 v9, v12, 23, 1
; %bb.7656:                             ;   in Loop: Header=BB4_7553 Depth=3
	s_or_b32 exec_lo, exec_lo, s13
	v_lshrrev_b32_e32 v12, 21, v12
	s_delay_alu instid0(VALU_DEP_2) | instskip(SKIP_2) | instid1(VALU_DEP_3)
	v_min_i32_e32 v13, 31, v9
	v_cmp_gt_i32_e32 vcc_lo, 32, v9
	v_lshrrev_b32_e32 v8, 24, v8
	v_dual_cndmask_b32 v12, 3, v12 :: v_dual_lshlrev_b32 v13, 2, v13
	s_delay_alu instid0(VALU_DEP_2) | instskip(NEXT) | instid1(VALU_DEP_2)
	v_and_b32_e32 v8, 0x80, v8
	v_and_b32_e32 v13, 0xfc, v13
	s_delay_alu instid0(VALU_DEP_3) | instskip(SKIP_1) | instid1(VALU_DEP_2)
	v_and_b32_e32 v14, 3, v12
	v_or_b32_e32 v9, v9, v12
	v_or3_b32 v8, v8, v13, v14
	s_delay_alu instid0(VALU_DEP_2) | instskip(NEXT) | instid1(VALU_DEP_2)
	v_cmp_ne_u32_e32 vcc_lo, 0, v9
	v_lshlrev_b32_e32 v8, 8, v8
	s_delay_alu instid0(VALU_DEP_1)
	v_cndmask_b32_e32 v43, 0, v8, vcc_lo
.LBB4_7657:                             ;   in Loop: Header=BB4_7553 Depth=3
	s_or_b32 exec_lo, exec_lo, s31
.LBB4_7658:                             ;   in Loop: Header=BB4_7553 Depth=3
	s_delay_alu instid0(SALU_CYCLE_1) | instskip(SKIP_3) | instid1(VALU_DEP_1)
	s_or_b32 exec_lo, exec_lo, s30
	v_and_b32_e32 v9, 0xff, v10
	s_mov_b32 s13, 0
	s_mov_b32 s31, exec_lo
                                        ; implicit-def: $sgpr30
	v_cmpx_lt_i16_e32 0x7f, v9
	s_xor_b32 s31, exec_lo, s31
	s_cbranch_execnz .LBB4_8488
; %bb.7659:                             ;   in Loop: Header=BB4_7553 Depth=3
	s_or_saveexec_b32 s31, s31
	v_mov_b32_e32 v8, s30
	s_xor_b32 exec_lo, exec_lo, s31
	s_cbranch_execnz .LBB4_8491
.LBB4_7660:                             ;   in Loop: Header=BB4_7553 Depth=3
	s_or_b32 exec_lo, exec_lo, s31
	s_and_saveexec_b32 s30, s13
	s_cbranch_execz .LBB4_7662
.LBB4_7661:                             ;   in Loop: Header=BB4_7553 Depth=3
	v_bfe_u32 v13, v10, 2, 5
	v_lshlrev_b32_e32 v14, 24, v10
	s_delay_alu instid0(VALU_DEP_2) | instskip(SKIP_1) | instid1(VALU_DEP_1)
	v_cmp_eq_u32_e32 vcc_lo, 0, v13
	v_and_b32_e32 v8, 3, v10
	v_clz_i32_u32_e32 v9, v8
	s_delay_alu instid0(VALU_DEP_1) | instskip(NEXT) | instid1(VALU_DEP_1)
	v_min_u32_e32 v9, 32, v9
	v_subrev_nc_u32_e32 v12, 29, v9
	v_sub_nc_u32_e32 v9, 30, v9
	s_delay_alu instid0(VALU_DEP_1) | instskip(NEXT) | instid1(VALU_DEP_1)
	v_dual_cndmask_b32 v9, v13, v9 :: v_dual_lshlrev_b32 v12, v12, v10
	v_and_b32_e32 v12, 3, v12
	s_delay_alu instid0(VALU_DEP_2) | instskip(NEXT) | instid1(VALU_DEP_2)
	v_lshl_add_u32 v9, v9, 23, 0x37800000
	v_cndmask_b32_e32 v8, v8, v12, vcc_lo
	v_and_b32_e32 v12, 0x80000000, v14
	s_delay_alu instid0(VALU_DEP_2) | instskip(NEXT) | instid1(VALU_DEP_1)
	v_lshlrev_b32_e32 v8, 21, v8
	v_or3_b32 v8, v12, v9, v8
.LBB4_7662:                             ;   in Loop: Header=BB4_7553 Depth=3
	s_or_b32 exec_lo, exec_lo, s30
	s_delay_alu instid0(VALU_DEP_1) | instskip(SKIP_2) | instid1(VALU_DEP_2)
	v_mul_f32_e32 v8, s17, v8
	v_mov_b32_e32 v42, 0x80
	s_mov_b32 s30, exec_lo
	v_and_b32_e32 v9, 0x7f800000, v8
	s_delay_alu instid0(VALU_DEP_1)
	v_cmpx_ne_u32_e32 0x7f800000, v9
	s_cbranch_execz .LBB4_7670
; %bb.7663:                             ;   in Loop: Header=BB4_7553 Depth=3
	v_mov_b32_e32 v42, 0
	s_mov_b32 s31, exec_lo
	v_cmpx_ne_u32_e32 0, v8
	s_cbranch_execz .LBB4_7669
; %bb.7664:                             ;   in Loop: Header=BB4_7553 Depth=3
	v_bfe_u32 v9, v8, 23, 8
	s_delay_alu instid0(VALU_DEP_1) | instskip(SKIP_1) | instid1(VALU_DEP_2)
	v_sub_nc_u32_e32 v13, 0x70, v9
	v_cmp_gt_u32_e32 vcc_lo, 0x71, v9
	v_dual_cndmask_b32 v13, 0, v13 :: v_dual_and_b32 v12, 0x7fffff, v8
	s_delay_alu instid0(VALU_DEP_1) | instskip(SKIP_2) | instid1(VALU_DEP_4)
	v_or_b32_e32 v14, 0x800000, v12
	v_cmp_eq_u32_e32 vcc_lo, 0, v9
	v_add_nc_u32_e32 v9, 0xffffff91, v9
	v_cndmask_b32_e64 v13, v13, 0x6f, vcc_lo
	s_delay_alu instid0(VALU_DEP_4) | instskip(NEXT) | instid1(VALU_DEP_3)
	v_cndmask_b32_e32 v12, v14, v12, vcc_lo
	v_cndmask_b32_e64 v9, v9, 0xffffff92, vcc_lo
	s_delay_alu instid0(VALU_DEP_3) | instskip(NEXT) | instid1(VALU_DEP_3)
	v_lshl_add_u32 v14, 0x200000, v13, -1
	v_lshrrev_b32_e32 v15, v13, v12
	v_lshlrev_b32_e64 v135, v13, 0x100000
	s_delay_alu instid0(VALU_DEP_4) | instskip(NEXT) | instid1(VALU_DEP_4)
	v_add_nc_u32_e32 v13, v13, v9
	v_and_b32_e32 v12, v14, v12
	s_delay_alu instid0(VALU_DEP_4) | instskip(NEXT) | instid1(VALU_DEP_2)
	v_bfe_u32 v134, v15, 21, 1
	v_cmp_eq_u32_e64 s13, v12, v135
	s_delay_alu instid0(VALU_DEP_2) | instskip(NEXT) | instid1(VALU_DEP_1)
	v_add_nc_u32_e32 v14, -1, v134
	v_cndmask_b32_e64 v12, 0, v14, s13
	v_lshrrev_b32_e32 v14, 23, v15
	s_mov_b32 s13, exec_lo
	s_delay_alu instid0(VALU_DEP_2) | instskip(NEXT) | instid1(VALU_DEP_2)
	v_add_nc_u32_e32 v12, v12, v15
	v_xor_b32_e32 v14, 1, v14
	s_delay_alu instid0(VALU_DEP_2) | instskip(NEXT) | instid1(VALU_DEP_1)
	v_and_b32_e32 v9, 0x1fffff, v12
	v_add_nc_u32_e32 v12, v9, v15
                                        ; implicit-def: $vgpr9
	s_delay_alu instid0(VALU_DEP_3)
	v_cmpx_ne_u32_e64 v13, v14
	s_xor_b32 s13, exec_lo, s13
; %bb.7665:                             ;   in Loop: Header=BB4_7553 Depth=3
	s_delay_alu instid0(VALU_DEP_2) | instskip(SKIP_2) | instid1(VALU_DEP_2)
	v_cmp_lt_u32_e32 vcc_lo, 0xffffff, v12
	v_sub_nc_u32_e32 v9, v13, v14
	v_cndmask_b32_e64 v13, 0, 1, vcc_lo
	v_add_co_ci_u32_e32 v9, vcc_lo, 0, v9, vcc_lo
	s_delay_alu instid0(VALU_DEP_2)
	v_lshrrev_b32_e32 v12, v13, v12
; %bb.7666:                             ;   in Loop: Header=BB4_7553 Depth=3
	s_and_not1_saveexec_b32 s13, s13
; %bb.7667:                             ;   in Loop: Header=BB4_7553 Depth=3
	s_delay_alu instid0(VALU_DEP_1)
	v_bfe_u32 v9, v12, 23, 1
; %bb.7668:                             ;   in Loop: Header=BB4_7553 Depth=3
	s_or_b32 exec_lo, exec_lo, s13
	v_lshrrev_b32_e32 v12, 21, v12
	s_delay_alu instid0(VALU_DEP_2) | instskip(SKIP_2) | instid1(VALU_DEP_4)
	v_cmp_gt_i32_e32 vcc_lo, 32, v9
	v_lshrrev_b32_e32 v8, 24, v8
	v_min_i32_e32 v13, 31, v9
	v_cndmask_b32_e32 v12, 3, v12, vcc_lo
	s_delay_alu instid0(VALU_DEP_3) | instskip(NEXT) | instid1(VALU_DEP_3)
	v_and_b32_e32 v8, 0x80, v8
	v_lshlrev_b32_e32 v13, 2, v13
	s_delay_alu instid0(VALU_DEP_3) | instskip(SKIP_1) | instid1(VALU_DEP_2)
	v_and_b32_e32 v14, 3, v12
	v_or_b32_e32 v9, v9, v12
	v_or3_b32 v8, v13, v8, v14
	s_delay_alu instid0(VALU_DEP_2) | instskip(NEXT) | instid1(VALU_DEP_2)
	v_cmp_ne_u32_e32 vcc_lo, 0, v9
	v_cndmask_b32_e32 v42, 0, v8, vcc_lo
.LBB4_7669:                             ;   in Loop: Header=BB4_7553 Depth=3
	s_or_b32 exec_lo, exec_lo, s31
.LBB4_7670:                             ;   in Loop: Header=BB4_7553 Depth=3
	s_delay_alu instid0(SALU_CYCLE_1) | instskip(SKIP_3) | instid1(VALU_DEP_1)
	s_or_b32 exec_lo, exec_lo, s30
	v_lshrrev_b16 v8, 8, v10
	s_mov_b32 s13, 0
	s_mov_b32 s31, exec_lo
                                        ; implicit-def: $sgpr30
	v_cmpx_lt_i16_e32 0x7f, v8
	s_xor_b32 s31, exec_lo, s31
	s_cbranch_execnz .LBB4_8492
; %bb.7671:                             ;   in Loop: Header=BB4_7553 Depth=3
	s_or_saveexec_b32 s31, s31
	v_mov_b32_e32 v9, s30
	s_xor_b32 exec_lo, exec_lo, s31
	s_cbranch_execnz .LBB4_8495
.LBB4_7672:                             ;   in Loop: Header=BB4_7553 Depth=3
	s_or_b32 exec_lo, exec_lo, s31
	s_and_saveexec_b32 s30, s13
	s_cbranch_execz .LBB4_7674
.LBB4_7673:                             ;   in Loop: Header=BB4_7553 Depth=3
	v_and_b32_e32 v9, 0xffff, v8
	v_lshlrev_b32_e32 v8, 24, v8
	s_delay_alu instid0(VALU_DEP_2) | instskip(NEXT) | instid1(VALU_DEP_2)
	v_and_b32_e32 v12, 3, v9
	v_and_b32_e32 v8, 0x80000000, v8
	s_delay_alu instid0(VALU_DEP_2) | instskip(NEXT) | instid1(VALU_DEP_1)
	v_clz_i32_u32_e32 v13, v12
	v_min_u32_e32 v13, 32, v13
	s_delay_alu instid0(VALU_DEP_1) | instskip(SKIP_1) | instid1(VALU_DEP_2)
	v_subrev_nc_u32_e32 v14, 29, v13
	v_sub_nc_u32_e32 v13, 30, v13
	v_lshlrev_b32_e32 v14, v14, v9
	v_bfe_u32 v9, v9, 2, 5
	s_delay_alu instid0(VALU_DEP_1) | instskip(NEXT) | instid1(VALU_DEP_3)
	v_cmp_eq_u32_e32 vcc_lo, 0, v9
	v_dual_cndmask_b32 v9, v9, v13 :: v_dual_and_b32 v14, 3, v14
	s_delay_alu instid0(VALU_DEP_1) | instskip(NEXT) | instid1(VALU_DEP_2)
	v_cndmask_b32_e32 v12, v12, v14, vcc_lo
	v_lshl_add_u32 v9, v9, 23, 0x37800000
	s_delay_alu instid0(VALU_DEP_2) | instskip(NEXT) | instid1(VALU_DEP_1)
	v_lshlrev_b32_e32 v12, 21, v12
	v_or3_b32 v9, v8, v9, v12
.LBB4_7674:                             ;   in Loop: Header=BB4_7553 Depth=3
	s_or_b32 exec_lo, exec_lo, s30
	s_delay_alu instid0(VALU_DEP_1) | instskip(SKIP_2) | instid1(VALU_DEP_2)
	v_mul_f32_e32 v8, s17, v9
	v_mov_b32_e32 v40, 0x80
	s_mov_b32 s30, exec_lo
	v_and_b32_e32 v9, 0x7f800000, v8
	s_delay_alu instid0(VALU_DEP_1)
	v_cmpx_ne_u32_e32 0x7f800000, v9
	s_cbranch_execz .LBB4_7682
; %bb.7675:                             ;   in Loop: Header=BB4_7553 Depth=3
	v_mov_b32_e32 v40, 0
	s_mov_b32 s31, exec_lo
	v_cmpx_ne_u32_e32 0, v8
	s_cbranch_execz .LBB4_7681
; %bb.7676:                             ;   in Loop: Header=BB4_7553 Depth=3
	v_bfe_u32 v9, v8, 23, 8
	s_delay_alu instid0(VALU_DEP_1) | instskip(SKIP_1) | instid1(VALU_DEP_2)
	v_sub_nc_u32_e32 v13, 0x70, v9
	v_cmp_gt_u32_e32 vcc_lo, 0x71, v9
	v_dual_cndmask_b32 v13, 0, v13 :: v_dual_and_b32 v12, 0x7fffff, v8
	s_delay_alu instid0(VALU_DEP_1) | instskip(SKIP_2) | instid1(VALU_DEP_4)
	v_or_b32_e32 v14, 0x800000, v12
	v_cmp_eq_u32_e32 vcc_lo, 0, v9
	v_add_nc_u32_e32 v9, 0xffffff91, v9
	v_cndmask_b32_e64 v13, v13, 0x6f, vcc_lo
	s_delay_alu instid0(VALU_DEP_4) | instskip(NEXT) | instid1(VALU_DEP_3)
	v_cndmask_b32_e32 v12, v14, v12, vcc_lo
	v_cndmask_b32_e64 v9, v9, 0xffffff92, vcc_lo
	s_delay_alu instid0(VALU_DEP_3) | instskip(NEXT) | instid1(VALU_DEP_3)
	v_lshl_add_u32 v14, 0x200000, v13, -1
	v_lshrrev_b32_e32 v15, v13, v12
	v_lshlrev_b32_e64 v135, v13, 0x100000
	s_delay_alu instid0(VALU_DEP_4) | instskip(NEXT) | instid1(VALU_DEP_4)
	v_add_nc_u32_e32 v13, v13, v9
	v_and_b32_e32 v12, v14, v12
	s_delay_alu instid0(VALU_DEP_4) | instskip(NEXT) | instid1(VALU_DEP_2)
	v_bfe_u32 v134, v15, 21, 1
	v_cmp_eq_u32_e64 s13, v12, v135
	s_delay_alu instid0(VALU_DEP_2) | instskip(NEXT) | instid1(VALU_DEP_1)
	v_add_nc_u32_e32 v14, -1, v134
	v_cndmask_b32_e64 v12, 0, v14, s13
	v_lshrrev_b32_e32 v14, 23, v15
	s_mov_b32 s13, exec_lo
	s_delay_alu instid0(VALU_DEP_2) | instskip(NEXT) | instid1(VALU_DEP_2)
	v_add_nc_u32_e32 v12, v12, v15
	v_xor_b32_e32 v14, 1, v14
	s_delay_alu instid0(VALU_DEP_2) | instskip(NEXT) | instid1(VALU_DEP_1)
	v_and_b32_e32 v9, 0x1fffff, v12
	v_add_nc_u32_e32 v12, v9, v15
                                        ; implicit-def: $vgpr9
	s_delay_alu instid0(VALU_DEP_3)
	v_cmpx_ne_u32_e64 v13, v14
	s_xor_b32 s13, exec_lo, s13
; %bb.7677:                             ;   in Loop: Header=BB4_7553 Depth=3
	s_delay_alu instid0(VALU_DEP_2) | instskip(SKIP_2) | instid1(VALU_DEP_2)
	v_cmp_lt_u32_e32 vcc_lo, 0xffffff, v12
	v_sub_nc_u32_e32 v9, v13, v14
	v_cndmask_b32_e64 v13, 0, 1, vcc_lo
	v_add_co_ci_u32_e32 v9, vcc_lo, 0, v9, vcc_lo
	s_delay_alu instid0(VALU_DEP_2)
	v_lshrrev_b32_e32 v12, v13, v12
; %bb.7678:                             ;   in Loop: Header=BB4_7553 Depth=3
	s_and_not1_saveexec_b32 s13, s13
; %bb.7679:                             ;   in Loop: Header=BB4_7553 Depth=3
	s_delay_alu instid0(VALU_DEP_1)
	v_bfe_u32 v9, v12, 23, 1
; %bb.7680:                             ;   in Loop: Header=BB4_7553 Depth=3
	s_or_b32 exec_lo, exec_lo, s13
	v_lshrrev_b32_e32 v12, 21, v12
	s_delay_alu instid0(VALU_DEP_2) | instskip(SKIP_2) | instid1(VALU_DEP_4)
	v_cmp_gt_i32_e32 vcc_lo, 32, v9
	v_lshrrev_b32_e32 v8, 24, v8
	v_min_i32_e32 v13, 31, v9
	v_cndmask_b32_e32 v12, 3, v12, vcc_lo
	s_delay_alu instid0(VALU_DEP_3) | instskip(NEXT) | instid1(VALU_DEP_3)
	v_and_b32_e32 v8, 0x80, v8
	v_lshlrev_b32_e32 v13, 2, v13
	s_delay_alu instid0(VALU_DEP_3) | instskip(SKIP_1) | instid1(VALU_DEP_2)
	v_and_b32_e32 v14, 3, v12
	v_or_b32_e32 v9, v9, v12
	v_or3_b32 v8, v13, v8, v14
	s_delay_alu instid0(VALU_DEP_2) | instskip(NEXT) | instid1(VALU_DEP_2)
	v_cmp_ne_u32_e32 vcc_lo, 0, v9
	v_cndmask_b32_e32 v40, 0, v8, vcc_lo
.LBB4_7681:                             ;   in Loop: Header=BB4_7553 Depth=3
	s_or_b32 exec_lo, exec_lo, s31
.LBB4_7682:                             ;   in Loop: Header=BB4_7553 Depth=3
	s_delay_alu instid0(SALU_CYCLE_1) | instskip(SKIP_3) | instid1(VALU_DEP_1)
	s_or_b32 exec_lo, exec_lo, s30
	v_lshrrev_b32_e32 v8, 16, v10
	s_mov_b32 s13, 0
	s_mov_b32 s31, exec_lo
                                        ; implicit-def: $sgpr30
	v_and_b32_e32 v12, 0xff, v8
	s_delay_alu instid0(VALU_DEP_1)
	v_cmpx_lt_i16_e32 0x7f, v12
	s_xor_b32 s31, exec_lo, s31
	s_cbranch_execnz .LBB4_8496
; %bb.7683:                             ;   in Loop: Header=BB4_7553 Depth=3
	s_or_saveexec_b32 s31, s31
	v_mov_b32_e32 v9, s30
	s_xor_b32 exec_lo, exec_lo, s31
	s_cbranch_execnz .LBB4_8499
.LBB4_7684:                             ;   in Loop: Header=BB4_7553 Depth=3
	s_or_b32 exec_lo, exec_lo, s31
	s_and_saveexec_b32 s30, s13
	s_cbranch_execz .LBB4_7686
.LBB4_7685:                             ;   in Loop: Header=BB4_7553 Depth=3
	v_bfe_u32 v9, v10, 16, 2
	v_lshlrev_b32_e32 v14, 8, v10
	s_delay_alu instid0(VALU_DEP_2) | instskip(NEXT) | instid1(VALU_DEP_1)
	v_clz_i32_u32_e32 v12, v9
	v_min_u32_e32 v12, 32, v12
	s_delay_alu instid0(VALU_DEP_1) | instskip(SKIP_1) | instid1(VALU_DEP_2)
	v_subrev_nc_u32_e32 v13, 29, v12
	v_sub_nc_u32_e32 v12, 30, v12
	v_lshlrev_b32_e32 v8, v13, v8
	v_bfe_u32 v13, v10, 18, 5
	s_delay_alu instid0(VALU_DEP_2) | instskip(NEXT) | instid1(VALU_DEP_2)
	v_and_b32_e32 v8, 3, v8
	v_cmp_eq_u32_e32 vcc_lo, 0, v13
	v_cndmask_b32_e32 v12, v13, v12, vcc_lo
	s_delay_alu instid0(VALU_DEP_3) | instskip(NEXT) | instid1(VALU_DEP_2)
	v_dual_cndmask_b32 v8, v9, v8 :: v_dual_and_b32 v9, 0x80000000, v14
	v_lshl_add_u32 v12, v12, 23, 0x37800000
	s_delay_alu instid0(VALU_DEP_2) | instskip(NEXT) | instid1(VALU_DEP_1)
	v_lshlrev_b32_e32 v8, 21, v8
	v_or3_b32 v9, v9, v12, v8
.LBB4_7686:                             ;   in Loop: Header=BB4_7553 Depth=3
	s_or_b32 exec_lo, exec_lo, s30
	s_delay_alu instid0(VALU_DEP_1) | instskip(SKIP_1) | instid1(VALU_DEP_1)
	v_dual_mul_f32 v8, s17, v9 :: v_dual_mov_b32 v183, 0x80
	s_mov_b32 s30, exec_lo
	v_and_b32_e32 v9, 0x7f800000, v8
	s_delay_alu instid0(VALU_DEP_1)
	v_cmpx_ne_u32_e32 0x7f800000, v9
	s_cbranch_execz .LBB4_7694
; %bb.7687:                             ;   in Loop: Header=BB4_7553 Depth=3
	v_mov_b32_e32 v183, 0
	s_mov_b32 s31, exec_lo
	v_cmpx_ne_u32_e32 0, v8
	s_cbranch_execz .LBB4_7693
; %bb.7688:                             ;   in Loop: Header=BB4_7553 Depth=3
	v_bfe_u32 v9, v8, 23, 8
	s_delay_alu instid0(VALU_DEP_1) | instskip(SKIP_1) | instid1(VALU_DEP_2)
	v_sub_nc_u32_e32 v13, 0x70, v9
	v_cmp_gt_u32_e32 vcc_lo, 0x71, v9
	v_dual_cndmask_b32 v13, 0, v13 :: v_dual_and_b32 v12, 0x7fffff, v8
	s_delay_alu instid0(VALU_DEP_1) | instskip(SKIP_2) | instid1(VALU_DEP_4)
	v_or_b32_e32 v14, 0x800000, v12
	v_cmp_eq_u32_e32 vcc_lo, 0, v9
	v_add_nc_u32_e32 v9, 0xffffff91, v9
	v_cndmask_b32_e64 v13, v13, 0x6f, vcc_lo
	s_delay_alu instid0(VALU_DEP_4) | instskip(NEXT) | instid1(VALU_DEP_3)
	v_cndmask_b32_e32 v12, v14, v12, vcc_lo
	v_cndmask_b32_e64 v9, v9, 0xffffff92, vcc_lo
	s_delay_alu instid0(VALU_DEP_3) | instskip(NEXT) | instid1(VALU_DEP_3)
	v_lshl_add_u32 v14, 0x200000, v13, -1
	v_lshrrev_b32_e32 v15, v13, v12
	v_lshlrev_b32_e64 v135, v13, 0x100000
	s_delay_alu instid0(VALU_DEP_4) | instskip(NEXT) | instid1(VALU_DEP_4)
	v_add_nc_u32_e32 v13, v13, v9
	v_and_b32_e32 v12, v14, v12
	s_delay_alu instid0(VALU_DEP_4) | instskip(NEXT) | instid1(VALU_DEP_2)
	v_bfe_u32 v134, v15, 21, 1
	v_cmp_eq_u32_e64 s13, v12, v135
	s_delay_alu instid0(VALU_DEP_2) | instskip(NEXT) | instid1(VALU_DEP_1)
	v_add_nc_u32_e32 v14, -1, v134
	v_cndmask_b32_e64 v12, 0, v14, s13
	v_lshrrev_b32_e32 v14, 23, v15
	s_mov_b32 s13, exec_lo
	s_delay_alu instid0(VALU_DEP_2) | instskip(NEXT) | instid1(VALU_DEP_2)
	v_add_nc_u32_e32 v12, v12, v15
	v_xor_b32_e32 v14, 1, v14
	s_delay_alu instid0(VALU_DEP_2) | instskip(NEXT) | instid1(VALU_DEP_1)
	v_and_b32_e32 v9, 0x1fffff, v12
	v_add_nc_u32_e32 v12, v9, v15
                                        ; implicit-def: $vgpr9
	s_delay_alu instid0(VALU_DEP_3)
	v_cmpx_ne_u32_e64 v13, v14
	s_xor_b32 s13, exec_lo, s13
; %bb.7689:                             ;   in Loop: Header=BB4_7553 Depth=3
	s_delay_alu instid0(VALU_DEP_2) | instskip(SKIP_2) | instid1(VALU_DEP_2)
	v_cmp_lt_u32_e32 vcc_lo, 0xffffff, v12
	v_sub_nc_u32_e32 v9, v13, v14
	v_cndmask_b32_e64 v13, 0, 1, vcc_lo
	v_add_co_ci_u32_e32 v9, vcc_lo, 0, v9, vcc_lo
	s_delay_alu instid0(VALU_DEP_2)
	v_lshrrev_b32_e32 v12, v13, v12
; %bb.7690:                             ;   in Loop: Header=BB4_7553 Depth=3
	s_and_not1_saveexec_b32 s13, s13
; %bb.7691:                             ;   in Loop: Header=BB4_7553 Depth=3
	s_delay_alu instid0(VALU_DEP_1)
	v_bfe_u32 v9, v12, 23, 1
; %bb.7692:                             ;   in Loop: Header=BB4_7553 Depth=3
	s_or_b32 exec_lo, exec_lo, s13
	v_lshrrev_b32_e32 v12, 21, v12
	s_delay_alu instid0(VALU_DEP_2) | instskip(SKIP_2) | instid1(VALU_DEP_4)
	v_cmp_gt_i32_e32 vcc_lo, 32, v9
	v_lshrrev_b32_e32 v8, 24, v8
	v_min_i32_e32 v13, 31, v9
	v_cndmask_b32_e32 v12, 3, v12, vcc_lo
	s_delay_alu instid0(VALU_DEP_3) | instskip(NEXT) | instid1(VALU_DEP_3)
	v_and_b32_e32 v8, 0x80, v8
	v_lshlrev_b32_e32 v13, 2, v13
	s_delay_alu instid0(VALU_DEP_3) | instskip(SKIP_1) | instid1(VALU_DEP_2)
	v_and_b32_e32 v14, 3, v12
	v_or_b32_e32 v9, v9, v12
	v_or3_b32 v8, v13, v8, v14
	s_delay_alu instid0(VALU_DEP_2) | instskip(NEXT) | instid1(VALU_DEP_2)
	v_cmp_ne_u32_e32 vcc_lo, 0, v9
	v_cndmask_b32_e32 v183, 0, v8, vcc_lo
.LBB4_7693:                             ;   in Loop: Header=BB4_7553 Depth=3
	s_or_b32 exec_lo, exec_lo, s31
.LBB4_7694:                             ;   in Loop: Header=BB4_7553 Depth=3
	s_delay_alu instid0(SALU_CYCLE_1) | instskip(SKIP_3) | instid1(VALU_DEP_1)
	s_or_b32 exec_lo, exec_lo, s30
	v_lshrrev_b32_e32 v8, 24, v10
	s_mov_b32 s13, 0
	s_mov_b32 s31, exec_lo
                                        ; implicit-def: $sgpr30
	v_cmpx_lt_i16_e32 0x7f, v8
	s_xor_b32 s31, exec_lo, s31
	s_cbranch_execnz .LBB4_8500
; %bb.7695:                             ;   in Loop: Header=BB4_7553 Depth=3
	s_or_saveexec_b32 s31, s31
	v_mov_b32_e32 v9, s30
	s_xor_b32 exec_lo, exec_lo, s31
	s_cbranch_execnz .LBB4_8503
.LBB4_7696:                             ;   in Loop: Header=BB4_7553 Depth=3
	s_or_b32 exec_lo, exec_lo, s31
	s_and_saveexec_b32 s30, s13
	s_cbranch_execz .LBB4_7698
.LBB4_7697:                             ;   in Loop: Header=BB4_7553 Depth=3
	v_bfe_u32 v9, v10, 24, 2
	s_delay_alu instid0(VALU_DEP_1) | instskip(NEXT) | instid1(VALU_DEP_1)
	v_clz_i32_u32_e32 v12, v9
	v_min_u32_e32 v12, 32, v12
	s_delay_alu instid0(VALU_DEP_1) | instskip(SKIP_1) | instid1(VALU_DEP_2)
	v_subrev_nc_u32_e32 v13, 29, v12
	v_sub_nc_u32_e32 v12, 30, v12
	v_lshlrev_b32_e32 v8, v13, v8
	v_bfe_u32 v13, v10, 26, 5
	s_delay_alu instid0(VALU_DEP_2) | instskip(NEXT) | instid1(VALU_DEP_2)
	v_and_b32_e32 v8, 3, v8
	v_cmp_eq_u32_e32 vcc_lo, 0, v13
	v_cndmask_b32_e32 v12, v13, v12, vcc_lo
	s_delay_alu instid0(VALU_DEP_3) | instskip(NEXT) | instid1(VALU_DEP_2)
	v_dual_cndmask_b32 v8, v9, v8 :: v_dual_and_b32 v9, 0x80000000, v10
	v_lshl_add_u32 v10, v12, 23, 0x37800000
	s_delay_alu instid0(VALU_DEP_2) | instskip(NEXT) | instid1(VALU_DEP_1)
	v_lshlrev_b32_e32 v8, 21, v8
	v_or3_b32 v9, v9, v10, v8
.LBB4_7698:                             ;   in Loop: Header=BB4_7553 Depth=3
	s_or_b32 exec_lo, exec_lo, s30
	s_delay_alu instid0(VALU_DEP_1) | instskip(SKIP_2) | instid1(VALU_DEP_2)
	v_mul_f32_e32 v8, s17, v9
	v_mov_b32_e32 v180, 0x80
	s_mov_b32 s30, exec_lo
	v_and_b32_e32 v9, 0x7f800000, v8
	s_delay_alu instid0(VALU_DEP_1)
	v_cmpx_ne_u32_e32 0x7f800000, v9
	s_cbranch_execz .LBB4_7706
; %bb.7699:                             ;   in Loop: Header=BB4_7553 Depth=3
	v_mov_b32_e32 v180, 0
	s_mov_b32 s31, exec_lo
	v_cmpx_ne_u32_e32 0, v8
	s_cbranch_execz .LBB4_7705
; %bb.7700:                             ;   in Loop: Header=BB4_7553 Depth=3
	v_bfe_u32 v9, v8, 23, 8
	v_and_b32_e32 v10, 0x7fffff, v8
	s_delay_alu instid0(VALU_DEP_2) | instskip(SKIP_1) | instid1(VALU_DEP_3)
	v_sub_nc_u32_e32 v12, 0x70, v9
	v_cmp_gt_u32_e32 vcc_lo, 0x71, v9
	v_or_b32_e32 v13, 0x800000, v10
	s_delay_alu instid0(VALU_DEP_3) | instskip(SKIP_2) | instid1(VALU_DEP_3)
	v_cndmask_b32_e32 v12, 0, v12, vcc_lo
	v_cmp_eq_u32_e32 vcc_lo, 0, v9
	v_add_nc_u32_e32 v9, 0xffffff91, v9
	v_cndmask_b32_e64 v12, v12, 0x6f, vcc_lo
	v_cndmask_b32_e32 v10, v13, v10, vcc_lo
	s_delay_alu instid0(VALU_DEP_3) | instskip(NEXT) | instid1(VALU_DEP_3)
	v_cndmask_b32_e64 v9, v9, 0xffffff92, vcc_lo
	v_lshl_add_u32 v13, 0x200000, v12, -1
	s_delay_alu instid0(VALU_DEP_3) | instskip(SKIP_1) | instid1(VALU_DEP_4)
	v_lshrrev_b32_e32 v14, v12, v10
	v_lshlrev_b32_e64 v134, v12, 0x100000
	v_add_nc_u32_e32 v12, v12, v9
	s_delay_alu instid0(VALU_DEP_4) | instskip(NEXT) | instid1(VALU_DEP_4)
	v_and_b32_e32 v10, v13, v10
	v_bfe_u32 v15, v14, 21, 1
	s_delay_alu instid0(VALU_DEP_2) | instskip(NEXT) | instid1(VALU_DEP_2)
	v_cmp_eq_u32_e64 s13, v10, v134
	v_add_nc_u32_e32 v13, -1, v15
	s_delay_alu instid0(VALU_DEP_1) | instskip(SKIP_2) | instid1(VALU_DEP_2)
	v_cndmask_b32_e64 v10, 0, v13, s13
	v_lshrrev_b32_e32 v13, 23, v14
	s_mov_b32 s13, exec_lo
	v_add_nc_u32_e32 v10, v10, v14
	s_delay_alu instid0(VALU_DEP_2) | instskip(NEXT) | instid1(VALU_DEP_2)
	v_xor_b32_e32 v13, 1, v13
	v_and_b32_e32 v9, 0x1fffff, v10
	s_delay_alu instid0(VALU_DEP_1) | instskip(NEXT) | instid1(VALU_DEP_3)
	v_add_nc_u32_e32 v10, v9, v14
                                        ; implicit-def: $vgpr9
	v_cmpx_ne_u32_e64 v12, v13
	s_xor_b32 s13, exec_lo, s13
; %bb.7701:                             ;   in Loop: Header=BB4_7553 Depth=3
	s_delay_alu instid0(VALU_DEP_2) | instskip(SKIP_2) | instid1(VALU_DEP_2)
	v_cmp_lt_u32_e32 vcc_lo, 0xffffff, v10
	v_sub_nc_u32_e32 v9, v12, v13
	v_cndmask_b32_e64 v12, 0, 1, vcc_lo
	v_add_co_ci_u32_e32 v9, vcc_lo, 0, v9, vcc_lo
	s_delay_alu instid0(VALU_DEP_2)
	v_lshrrev_b32_e32 v10, v12, v10
; %bb.7702:                             ;   in Loop: Header=BB4_7553 Depth=3
	s_and_not1_saveexec_b32 s13, s13
; %bb.7703:                             ;   in Loop: Header=BB4_7553 Depth=3
	s_delay_alu instid0(VALU_DEP_1)
	v_bfe_u32 v9, v10, 23, 1
; %bb.7704:                             ;   in Loop: Header=BB4_7553 Depth=3
	s_or_b32 exec_lo, exec_lo, s13
	v_lshrrev_b32_e32 v10, 21, v10
	s_delay_alu instid0(VALU_DEP_2) | instskip(SKIP_2) | instid1(VALU_DEP_4)
	v_cmp_gt_i32_e32 vcc_lo, 32, v9
	v_lshrrev_b32_e32 v8, 24, v8
	v_min_i32_e32 v12, 31, v9
	v_cndmask_b32_e32 v10, 3, v10, vcc_lo
	s_delay_alu instid0(VALU_DEP_3) | instskip(NEXT) | instid1(VALU_DEP_3)
	v_and_b32_e32 v8, 0x80, v8
	v_lshlrev_b32_e32 v12, 2, v12
	s_delay_alu instid0(VALU_DEP_3) | instskip(NEXT) | instid1(VALU_DEP_1)
	v_or_b32_e32 v9, v9, v10
	v_cmp_ne_u32_e32 vcc_lo, 0, v9
	v_and_b32_e32 v13, 3, v10
	s_delay_alu instid0(VALU_DEP_1) | instskip(NEXT) | instid1(VALU_DEP_1)
	v_or3_b32 v8, v12, v8, v13
	v_cndmask_b32_e32 v180, 0, v8, vcc_lo
.LBB4_7705:                             ;   in Loop: Header=BB4_7553 Depth=3
	s_or_b32 exec_lo, exec_lo, s31
.LBB4_7706:                             ;   in Loop: Header=BB4_7553 Depth=3
	s_delay_alu instid0(SALU_CYCLE_1) | instskip(SKIP_3) | instid1(VALU_DEP_1)
	s_or_b32 exec_lo, exec_lo, s30
	v_and_b32_e32 v9, 0xff, v11
	s_mov_b32 s13, 0
	s_mov_b32 s31, exec_lo
                                        ; implicit-def: $sgpr30
	v_cmpx_lt_i16_e32 0x7f, v9
	s_xor_b32 s31, exec_lo, s31
	s_cbranch_execnz .LBB4_8504
; %bb.7707:                             ;   in Loop: Header=BB4_7553 Depth=3
	s_or_saveexec_b32 s31, s31
	v_mov_b32_e32 v8, s30
	s_xor_b32 exec_lo, exec_lo, s31
	s_cbranch_execnz .LBB4_8507
.LBB4_7708:                             ;   in Loop: Header=BB4_7553 Depth=3
	s_or_b32 exec_lo, exec_lo, s31
	s_and_saveexec_b32 s30, s13
	s_cbranch_execz .LBB4_7710
.LBB4_7709:                             ;   in Loop: Header=BB4_7553 Depth=3
	v_bfe_u32 v12, v11, 2, 5
	s_delay_alu instid0(VALU_DEP_1) | instskip(SKIP_1) | instid1(VALU_DEP_1)
	v_cmp_eq_u32_e32 vcc_lo, 0, v12
	v_and_b32_e32 v8, 3, v11
	v_clz_i32_u32_e32 v9, v8
	s_delay_alu instid0(VALU_DEP_1) | instskip(NEXT) | instid1(VALU_DEP_1)
	v_min_u32_e32 v9, 32, v9
	v_subrev_nc_u32_e32 v10, 29, v9
	v_sub_nc_u32_e32 v9, 30, v9
	s_delay_alu instid0(VALU_DEP_1) | instskip(NEXT) | instid1(VALU_DEP_1)
	v_dual_cndmask_b32 v9, v12, v9 :: v_dual_lshlrev_b32 v10, v10, v11
	v_and_b32_e32 v10, 3, v10
	v_lshlrev_b32_e32 v13, 24, v11
	s_delay_alu instid0(VALU_DEP_3) | instskip(NEXT) | instid1(VALU_DEP_3)
	v_lshl_add_u32 v9, v9, 23, 0x37800000
	v_cndmask_b32_e32 v8, v8, v10, vcc_lo
	s_delay_alu instid0(VALU_DEP_3) | instskip(NEXT) | instid1(VALU_DEP_2)
	v_and_b32_e32 v10, 0x80000000, v13
	v_lshlrev_b32_e32 v8, 21, v8
	s_delay_alu instid0(VALU_DEP_1)
	v_or3_b32 v8, v10, v9, v8
.LBB4_7710:                             ;   in Loop: Header=BB4_7553 Depth=3
	s_or_b32 exec_lo, exec_lo, s30
	s_delay_alu instid0(VALU_DEP_1) | instskip(SKIP_1) | instid1(VALU_DEP_1)
	v_dual_mul_f32 v8, s17, v8 :: v_dual_mov_b32 v179, 0x80
	s_mov_b32 s30, exec_lo
	v_and_b32_e32 v9, 0x7f800000, v8
	s_delay_alu instid0(VALU_DEP_1)
	v_cmpx_ne_u32_e32 0x7f800000, v9
	s_cbranch_execz .LBB4_7718
; %bb.7711:                             ;   in Loop: Header=BB4_7553 Depth=3
	v_mov_b32_e32 v179, 0
	s_mov_b32 s31, exec_lo
	v_cmpx_ne_u32_e32 0, v8
	s_cbranch_execz .LBB4_7717
; %bb.7712:                             ;   in Loop: Header=BB4_7553 Depth=3
	v_bfe_u32 v9, v8, 23, 8
	v_and_b32_e32 v10, 0x7fffff, v8
	s_delay_alu instid0(VALU_DEP_2) | instskip(SKIP_1) | instid1(VALU_DEP_3)
	v_sub_nc_u32_e32 v12, 0x70, v9
	v_cmp_gt_u32_e32 vcc_lo, 0x71, v9
	v_or_b32_e32 v13, 0x800000, v10
	s_delay_alu instid0(VALU_DEP_3) | instskip(SKIP_2) | instid1(VALU_DEP_3)
	v_cndmask_b32_e32 v12, 0, v12, vcc_lo
	v_cmp_eq_u32_e32 vcc_lo, 0, v9
	v_add_nc_u32_e32 v9, 0xffffff91, v9
	v_cndmask_b32_e64 v12, v12, 0x6f, vcc_lo
	v_cndmask_b32_e32 v10, v13, v10, vcc_lo
	s_delay_alu instid0(VALU_DEP_3) | instskip(NEXT) | instid1(VALU_DEP_3)
	v_cndmask_b32_e64 v9, v9, 0xffffff92, vcc_lo
	v_lshl_add_u32 v13, 0x200000, v12, -1
	s_delay_alu instid0(VALU_DEP_3) | instskip(SKIP_1) | instid1(VALU_DEP_4)
	v_lshrrev_b32_e32 v14, v12, v10
	v_lshlrev_b32_e64 v134, v12, 0x100000
	v_add_nc_u32_e32 v12, v12, v9
	s_delay_alu instid0(VALU_DEP_4) | instskip(NEXT) | instid1(VALU_DEP_4)
	v_and_b32_e32 v10, v13, v10
	v_bfe_u32 v15, v14, 21, 1
	s_delay_alu instid0(VALU_DEP_2) | instskip(NEXT) | instid1(VALU_DEP_2)
	v_cmp_eq_u32_e64 s13, v10, v134
	v_add_nc_u32_e32 v13, -1, v15
	s_delay_alu instid0(VALU_DEP_1) | instskip(SKIP_2) | instid1(VALU_DEP_2)
	v_cndmask_b32_e64 v10, 0, v13, s13
	v_lshrrev_b32_e32 v13, 23, v14
	s_mov_b32 s13, exec_lo
	v_add_nc_u32_e32 v10, v10, v14
	s_delay_alu instid0(VALU_DEP_2) | instskip(NEXT) | instid1(VALU_DEP_2)
	v_xor_b32_e32 v13, 1, v13
	v_and_b32_e32 v9, 0x1fffff, v10
	s_delay_alu instid0(VALU_DEP_1) | instskip(NEXT) | instid1(VALU_DEP_3)
	v_add_nc_u32_e32 v10, v9, v14
                                        ; implicit-def: $vgpr9
	v_cmpx_ne_u32_e64 v12, v13
	s_xor_b32 s13, exec_lo, s13
; %bb.7713:                             ;   in Loop: Header=BB4_7553 Depth=3
	s_delay_alu instid0(VALU_DEP_2) | instskip(SKIP_2) | instid1(VALU_DEP_2)
	v_cmp_lt_u32_e32 vcc_lo, 0xffffff, v10
	v_sub_nc_u32_e32 v9, v12, v13
	v_cndmask_b32_e64 v12, 0, 1, vcc_lo
	v_add_co_ci_u32_e32 v9, vcc_lo, 0, v9, vcc_lo
	s_delay_alu instid0(VALU_DEP_2)
	v_lshrrev_b32_e32 v10, v12, v10
; %bb.7714:                             ;   in Loop: Header=BB4_7553 Depth=3
	s_and_not1_saveexec_b32 s13, s13
; %bb.7715:                             ;   in Loop: Header=BB4_7553 Depth=3
	s_delay_alu instid0(VALU_DEP_1)
	v_bfe_u32 v9, v10, 23, 1
; %bb.7716:                             ;   in Loop: Header=BB4_7553 Depth=3
	s_or_b32 exec_lo, exec_lo, s13
	v_lshrrev_b32_e32 v10, 21, v10
	s_delay_alu instid0(VALU_DEP_2) | instskip(SKIP_2) | instid1(VALU_DEP_3)
	v_min_i32_e32 v12, 31, v9
	v_cmp_gt_i32_e32 vcc_lo, 32, v9
	v_lshrrev_b32_e32 v8, 24, v8
	v_lshlrev_b32_e32 v12, 2, v12
	v_cndmask_b32_e32 v10, 3, v10, vcc_lo
	s_delay_alu instid0(VALU_DEP_3) | instskip(NEXT) | instid1(VALU_DEP_3)
	v_and_b32_e32 v8, 0x80, v8
	v_and_b32_e32 v12, 0xfc, v12
	s_delay_alu instid0(VALU_DEP_3) | instskip(SKIP_1) | instid1(VALU_DEP_2)
	v_and_b32_e32 v13, 3, v10
	v_or_b32_e32 v9, v9, v10
	v_or3_b32 v8, v12, v8, v13
	s_delay_alu instid0(VALU_DEP_2) | instskip(NEXT) | instid1(VALU_DEP_2)
	v_cmp_ne_u32_e32 vcc_lo, 0, v9
	v_cndmask_b32_e32 v179, 0, v8, vcc_lo
.LBB4_7717:                             ;   in Loop: Header=BB4_7553 Depth=3
	s_or_b32 exec_lo, exec_lo, s31
.LBB4_7718:                             ;   in Loop: Header=BB4_7553 Depth=3
	s_delay_alu instid0(SALU_CYCLE_1) | instskip(SKIP_3) | instid1(VALU_DEP_1)
	s_or_b32 exec_lo, exec_lo, s30
	v_lshrrev_b16 v8, 8, v11
	s_mov_b32 s13, 0
	s_mov_b32 s31, exec_lo
                                        ; implicit-def: $sgpr30
	v_cmpx_lt_i16_e32 0x7f, v8
	s_xor_b32 s31, exec_lo, s31
	s_cbranch_execnz .LBB4_8508
; %bb.7719:                             ;   in Loop: Header=BB4_7553 Depth=3
	s_or_saveexec_b32 s31, s31
	v_mov_b32_e32 v9, s30
	s_xor_b32 exec_lo, exec_lo, s31
	s_cbranch_execnz .LBB4_8511
.LBB4_7720:                             ;   in Loop: Header=BB4_7553 Depth=3
	s_or_b32 exec_lo, exec_lo, s31
	s_and_saveexec_b32 s30, s13
	s_cbranch_execz .LBB4_7722
.LBB4_7721:                             ;   in Loop: Header=BB4_7553 Depth=3
	v_and_b32_e32 v9, 0xffff, v8
	v_lshlrev_b32_e32 v8, 24, v8
	s_delay_alu instid0(VALU_DEP_2) | instskip(NEXT) | instid1(VALU_DEP_2)
	v_and_b32_e32 v10, 3, v9
	v_and_b32_e32 v8, 0x80000000, v8
	s_delay_alu instid0(VALU_DEP_2) | instskip(NEXT) | instid1(VALU_DEP_1)
	v_clz_i32_u32_e32 v12, v10
	v_min_u32_e32 v12, 32, v12
	s_delay_alu instid0(VALU_DEP_1) | instskip(SKIP_1) | instid1(VALU_DEP_2)
	v_subrev_nc_u32_e32 v13, 29, v12
	v_sub_nc_u32_e32 v12, 30, v12
	v_lshlrev_b32_e32 v13, v13, v9
	v_bfe_u32 v9, v9, 2, 5
	s_delay_alu instid0(VALU_DEP_2) | instskip(NEXT) | instid1(VALU_DEP_2)
	v_and_b32_e32 v13, 3, v13
	v_cmp_eq_u32_e32 vcc_lo, 0, v9
	s_delay_alu instid0(VALU_DEP_2) | instskip(NEXT) | instid1(VALU_DEP_1)
	v_dual_cndmask_b32 v9, v9, v12 :: v_dual_cndmask_b32 v10, v10, v13
	v_lshl_add_u32 v9, v9, 23, 0x37800000
	s_delay_alu instid0(VALU_DEP_2) | instskip(NEXT) | instid1(VALU_DEP_1)
	v_lshlrev_b32_e32 v10, 21, v10
	v_or3_b32 v9, v8, v9, v10
.LBB4_7722:                             ;   in Loop: Header=BB4_7553 Depth=3
	s_or_b32 exec_lo, exec_lo, s30
	s_delay_alu instid0(VALU_DEP_1) | instskip(SKIP_1) | instid1(VALU_DEP_1)
	v_dual_mul_f32 v8, s17, v9 :: v_dual_mov_b32 v41, 0x8000
	s_mov_b32 s30, exec_lo
	v_and_b32_e32 v9, 0x7f800000, v8
	s_delay_alu instid0(VALU_DEP_1)
	v_cmpx_ne_u32_e32 0x7f800000, v9
	s_cbranch_execz .LBB4_7730
; %bb.7723:                             ;   in Loop: Header=BB4_7553 Depth=3
	v_mov_b32_e32 v41, 0
	s_mov_b32 s31, exec_lo
	v_cmpx_ne_u32_e32 0, v8
	s_cbranch_execz .LBB4_7729
; %bb.7724:                             ;   in Loop: Header=BB4_7553 Depth=3
	v_bfe_u32 v9, v8, 23, 8
	v_and_b32_e32 v10, 0x7fffff, v8
	s_delay_alu instid0(VALU_DEP_2) | instskip(SKIP_1) | instid1(VALU_DEP_3)
	v_sub_nc_u32_e32 v12, 0x70, v9
	v_cmp_gt_u32_e32 vcc_lo, 0x71, v9
	v_or_b32_e32 v13, 0x800000, v10
	s_delay_alu instid0(VALU_DEP_3) | instskip(SKIP_2) | instid1(VALU_DEP_3)
	v_cndmask_b32_e32 v12, 0, v12, vcc_lo
	v_cmp_eq_u32_e32 vcc_lo, 0, v9
	v_add_nc_u32_e32 v9, 0xffffff91, v9
	v_cndmask_b32_e64 v12, v12, 0x6f, vcc_lo
	v_cndmask_b32_e32 v10, v13, v10, vcc_lo
	s_delay_alu instid0(VALU_DEP_3) | instskip(NEXT) | instid1(VALU_DEP_3)
	v_cndmask_b32_e64 v9, v9, 0xffffff92, vcc_lo
	v_lshl_add_u32 v13, 0x200000, v12, -1
	s_delay_alu instid0(VALU_DEP_3) | instskip(SKIP_1) | instid1(VALU_DEP_4)
	v_lshrrev_b32_e32 v14, v12, v10
	v_lshlrev_b32_e64 v134, v12, 0x100000
	v_add_nc_u32_e32 v12, v12, v9
	s_delay_alu instid0(VALU_DEP_4) | instskip(NEXT) | instid1(VALU_DEP_4)
	v_and_b32_e32 v10, v13, v10
	v_bfe_u32 v15, v14, 21, 1
	s_delay_alu instid0(VALU_DEP_2) | instskip(NEXT) | instid1(VALU_DEP_2)
	v_cmp_eq_u32_e64 s13, v10, v134
	v_add_nc_u32_e32 v13, -1, v15
	s_delay_alu instid0(VALU_DEP_1) | instskip(SKIP_2) | instid1(VALU_DEP_2)
	v_cndmask_b32_e64 v10, 0, v13, s13
	v_lshrrev_b32_e32 v13, 23, v14
	s_mov_b32 s13, exec_lo
	v_add_nc_u32_e32 v10, v10, v14
	s_delay_alu instid0(VALU_DEP_2) | instskip(NEXT) | instid1(VALU_DEP_2)
	v_xor_b32_e32 v13, 1, v13
	v_and_b32_e32 v9, 0x1fffff, v10
	s_delay_alu instid0(VALU_DEP_1) | instskip(NEXT) | instid1(VALU_DEP_3)
	v_add_nc_u32_e32 v10, v9, v14
                                        ; implicit-def: $vgpr9
	v_cmpx_ne_u32_e64 v12, v13
	s_xor_b32 s13, exec_lo, s13
; %bb.7725:                             ;   in Loop: Header=BB4_7553 Depth=3
	s_delay_alu instid0(VALU_DEP_2) | instskip(SKIP_2) | instid1(VALU_DEP_2)
	v_cmp_lt_u32_e32 vcc_lo, 0xffffff, v10
	v_sub_nc_u32_e32 v9, v12, v13
	v_cndmask_b32_e64 v12, 0, 1, vcc_lo
	v_add_co_ci_u32_e32 v9, vcc_lo, 0, v9, vcc_lo
	s_delay_alu instid0(VALU_DEP_2)
	v_lshrrev_b32_e32 v10, v12, v10
; %bb.7726:                             ;   in Loop: Header=BB4_7553 Depth=3
	s_and_not1_saveexec_b32 s13, s13
; %bb.7727:                             ;   in Loop: Header=BB4_7553 Depth=3
	s_delay_alu instid0(VALU_DEP_1)
	v_bfe_u32 v9, v10, 23, 1
; %bb.7728:                             ;   in Loop: Header=BB4_7553 Depth=3
	s_or_b32 exec_lo, exec_lo, s13
	v_lshrrev_b32_e32 v10, 21, v10
	s_delay_alu instid0(VALU_DEP_2) | instskip(SKIP_2) | instid1(VALU_DEP_3)
	v_min_i32_e32 v12, 31, v9
	v_cmp_gt_i32_e32 vcc_lo, 32, v9
	v_lshrrev_b32_e32 v8, 24, v8
	v_lshlrev_b32_e32 v12, 2, v12
	v_cndmask_b32_e32 v10, 3, v10, vcc_lo
	s_delay_alu instid0(VALU_DEP_3) | instskip(NEXT) | instid1(VALU_DEP_3)
	v_and_b32_e32 v8, 0x80, v8
	v_and_b32_e32 v12, 0xfc, v12
	s_delay_alu instid0(VALU_DEP_3) | instskip(SKIP_1) | instid1(VALU_DEP_2)
	v_and_b32_e32 v13, 3, v10
	v_or_b32_e32 v9, v9, v10
	v_or3_b32 v8, v8, v12, v13
	s_delay_alu instid0(VALU_DEP_2) | instskip(NEXT) | instid1(VALU_DEP_2)
	v_cmp_ne_u32_e32 vcc_lo, 0, v9
	v_lshlrev_b32_e32 v8, 8, v8
	s_delay_alu instid0(VALU_DEP_1)
	v_cndmask_b32_e32 v41, 0, v8, vcc_lo
.LBB4_7729:                             ;   in Loop: Header=BB4_7553 Depth=3
	s_or_b32 exec_lo, exec_lo, s31
.LBB4_7730:                             ;   in Loop: Header=BB4_7553 Depth=3
	s_delay_alu instid0(SALU_CYCLE_1) | instskip(SKIP_3) | instid1(VALU_DEP_1)
	s_or_b32 exec_lo, exec_lo, s30
	v_lshrrev_b32_e32 v8, 16, v11
	s_mov_b32 s13, 0
	s_mov_b32 s31, exec_lo
                                        ; implicit-def: $sgpr30
	v_and_b32_e32 v10, 0xff, v8
	s_delay_alu instid0(VALU_DEP_1)
	v_cmpx_lt_i16_e32 0x7f, v10
	s_xor_b32 s31, exec_lo, s31
	s_cbranch_execnz .LBB4_8512
; %bb.7731:                             ;   in Loop: Header=BB4_7553 Depth=3
	s_or_saveexec_b32 s31, s31
	v_mov_b32_e32 v9, s30
	s_xor_b32 exec_lo, exec_lo, s31
	s_cbranch_execnz .LBB4_8515
.LBB4_7732:                             ;   in Loop: Header=BB4_7553 Depth=3
	s_or_b32 exec_lo, exec_lo, s31
	s_and_saveexec_b32 s30, s13
	s_cbranch_execz .LBB4_7734
.LBB4_7733:                             ;   in Loop: Header=BB4_7553 Depth=3
	v_bfe_u32 v9, v11, 16, 2
	s_delay_alu instid0(VALU_DEP_1) | instskip(NEXT) | instid1(VALU_DEP_1)
	v_clz_i32_u32_e32 v10, v9
	v_min_u32_e32 v10, 32, v10
	s_delay_alu instid0(VALU_DEP_1) | instskip(SKIP_1) | instid1(VALU_DEP_2)
	v_subrev_nc_u32_e32 v12, 29, v10
	v_sub_nc_u32_e32 v10, 30, v10
	v_lshlrev_b32_e32 v8, v12, v8
	v_bfe_u32 v12, v11, 18, 5
	s_delay_alu instid0(VALU_DEP_2) | instskip(NEXT) | instid1(VALU_DEP_2)
	v_and_b32_e32 v8, 3, v8
	v_cmp_eq_u32_e32 vcc_lo, 0, v12
	v_dual_cndmask_b32 v10, v12, v10 :: v_dual_lshlrev_b32 v13, 8, v11
	s_delay_alu instid0(VALU_DEP_1) | instskip(NEXT) | instid1(VALU_DEP_2)
	v_dual_cndmask_b32 v8, v9, v8 :: v_dual_and_b32 v9, 0x80000000, v13
	v_lshl_add_u32 v10, v10, 23, 0x37800000
	s_delay_alu instid0(VALU_DEP_2) | instskip(NEXT) | instid1(VALU_DEP_1)
	v_lshlrev_b32_e32 v8, 21, v8
	v_or3_b32 v9, v9, v10, v8
.LBB4_7734:                             ;   in Loop: Header=BB4_7553 Depth=3
	s_or_b32 exec_lo, exec_lo, s30
	s_delay_alu instid0(VALU_DEP_1) | instskip(SKIP_2) | instid1(VALU_DEP_2)
	v_mul_f32_e32 v8, s17, v9
	v_mov_b32_e32 v178, 0x80
	s_mov_b32 s30, exec_lo
	v_and_b32_e32 v9, 0x7f800000, v8
	s_delay_alu instid0(VALU_DEP_1)
	v_cmpx_ne_u32_e32 0x7f800000, v9
	s_cbranch_execz .LBB4_7742
; %bb.7735:                             ;   in Loop: Header=BB4_7553 Depth=3
	v_mov_b32_e32 v178, 0
	s_mov_b32 s31, exec_lo
	v_cmpx_ne_u32_e32 0, v8
	s_cbranch_execz .LBB4_7741
; %bb.7736:                             ;   in Loop: Header=BB4_7553 Depth=3
	v_bfe_u32 v9, v8, 23, 8
	v_and_b32_e32 v10, 0x7fffff, v8
	s_delay_alu instid0(VALU_DEP_2) | instskip(SKIP_1) | instid1(VALU_DEP_3)
	v_sub_nc_u32_e32 v12, 0x70, v9
	v_cmp_gt_u32_e32 vcc_lo, 0x71, v9
	v_or_b32_e32 v13, 0x800000, v10
	s_delay_alu instid0(VALU_DEP_3) | instskip(SKIP_2) | instid1(VALU_DEP_3)
	v_cndmask_b32_e32 v12, 0, v12, vcc_lo
	v_cmp_eq_u32_e32 vcc_lo, 0, v9
	v_add_nc_u32_e32 v9, 0xffffff91, v9
	v_cndmask_b32_e64 v12, v12, 0x6f, vcc_lo
	v_cndmask_b32_e32 v10, v13, v10, vcc_lo
	s_delay_alu instid0(VALU_DEP_3) | instskip(NEXT) | instid1(VALU_DEP_3)
	v_cndmask_b32_e64 v9, v9, 0xffffff92, vcc_lo
	v_lshl_add_u32 v13, 0x200000, v12, -1
	s_delay_alu instid0(VALU_DEP_3) | instskip(SKIP_1) | instid1(VALU_DEP_4)
	v_lshrrev_b32_e32 v14, v12, v10
	v_lshlrev_b32_e64 v134, v12, 0x100000
	v_add_nc_u32_e32 v12, v12, v9
	s_delay_alu instid0(VALU_DEP_4) | instskip(NEXT) | instid1(VALU_DEP_4)
	v_and_b32_e32 v10, v13, v10
	v_bfe_u32 v15, v14, 21, 1
	s_delay_alu instid0(VALU_DEP_2) | instskip(NEXT) | instid1(VALU_DEP_2)
	v_cmp_eq_u32_e64 s13, v10, v134
	v_add_nc_u32_e32 v13, -1, v15
	s_delay_alu instid0(VALU_DEP_1) | instskip(SKIP_2) | instid1(VALU_DEP_2)
	v_cndmask_b32_e64 v10, 0, v13, s13
	v_lshrrev_b32_e32 v13, 23, v14
	s_mov_b32 s13, exec_lo
	v_add_nc_u32_e32 v10, v10, v14
	s_delay_alu instid0(VALU_DEP_2) | instskip(NEXT) | instid1(VALU_DEP_2)
	v_xor_b32_e32 v13, 1, v13
	v_and_b32_e32 v9, 0x1fffff, v10
	s_delay_alu instid0(VALU_DEP_1) | instskip(NEXT) | instid1(VALU_DEP_3)
	v_add_nc_u32_e32 v10, v9, v14
                                        ; implicit-def: $vgpr9
	v_cmpx_ne_u32_e64 v12, v13
	s_xor_b32 s13, exec_lo, s13
; %bb.7737:                             ;   in Loop: Header=BB4_7553 Depth=3
	s_delay_alu instid0(VALU_DEP_2) | instskip(SKIP_2) | instid1(VALU_DEP_2)
	v_cmp_lt_u32_e32 vcc_lo, 0xffffff, v10
	v_sub_nc_u32_e32 v9, v12, v13
	v_cndmask_b32_e64 v12, 0, 1, vcc_lo
	v_add_co_ci_u32_e32 v9, vcc_lo, 0, v9, vcc_lo
	s_delay_alu instid0(VALU_DEP_2)
	v_lshrrev_b32_e32 v10, v12, v10
; %bb.7738:                             ;   in Loop: Header=BB4_7553 Depth=3
	s_and_not1_saveexec_b32 s13, s13
; %bb.7739:                             ;   in Loop: Header=BB4_7553 Depth=3
	s_delay_alu instid0(VALU_DEP_1)
	v_bfe_u32 v9, v10, 23, 1
; %bb.7740:                             ;   in Loop: Header=BB4_7553 Depth=3
	s_or_b32 exec_lo, exec_lo, s13
	v_lshrrev_b32_e32 v10, 21, v10
	s_delay_alu instid0(VALU_DEP_2) | instskip(SKIP_2) | instid1(VALU_DEP_4)
	v_cmp_gt_i32_e32 vcc_lo, 32, v9
	v_min_i32_e32 v12, 31, v9
	v_lshrrev_b32_e32 v8, 24, v8
	v_cndmask_b32_e32 v10, 3, v10, vcc_lo
	s_delay_alu instid0(VALU_DEP_3) | instskip(NEXT) | instid1(VALU_DEP_3)
	v_lshlrev_b32_e32 v12, 2, v12
	v_and_b32_e32 v8, 0x80, v8
	s_delay_alu instid0(VALU_DEP_3) | instskip(NEXT) | instid1(VALU_DEP_3)
	v_or_b32_e32 v9, v9, v10
	v_and_b32_e32 v12, 0xfc, v12
	s_delay_alu instid0(VALU_DEP_2) | instskip(SKIP_1) | instid1(VALU_DEP_1)
	v_cmp_ne_u32_e32 vcc_lo, 0, v9
	v_and_b32_e32 v13, 3, v10
	v_or3_b32 v8, v12, v8, v13
	s_delay_alu instid0(VALU_DEP_1)
	v_cndmask_b32_e32 v178, 0, v8, vcc_lo
.LBB4_7741:                             ;   in Loop: Header=BB4_7553 Depth=3
	s_or_b32 exec_lo, exec_lo, s31
.LBB4_7742:                             ;   in Loop: Header=BB4_7553 Depth=3
	s_delay_alu instid0(SALU_CYCLE_1) | instskip(SKIP_3) | instid1(VALU_DEP_1)
	s_or_b32 exec_lo, exec_lo, s30
	v_lshrrev_b32_e32 v8, 24, v11
	s_mov_b32 s13, 0
	s_mov_b32 s31, exec_lo
                                        ; implicit-def: $sgpr30
	v_cmpx_lt_i16_e32 0x7f, v8
	s_xor_b32 s31, exec_lo, s31
	s_cbranch_execnz .LBB4_8516
; %bb.7743:                             ;   in Loop: Header=BB4_7553 Depth=3
	s_or_saveexec_b32 s31, s31
	v_mov_b32_e32 v9, s30
	s_xor_b32 exec_lo, exec_lo, s31
	s_cbranch_execnz .LBB4_8519
.LBB4_7744:                             ;   in Loop: Header=BB4_7553 Depth=3
	s_or_b32 exec_lo, exec_lo, s31
	s_and_saveexec_b32 s30, s13
	s_cbranch_execz .LBB4_7746
.LBB4_7745:                             ;   in Loop: Header=BB4_7553 Depth=3
	v_bfe_u32 v9, v11, 24, 2
	s_delay_alu instid0(VALU_DEP_1) | instskip(NEXT) | instid1(VALU_DEP_1)
	v_clz_i32_u32_e32 v10, v9
	v_min_u32_e32 v10, 32, v10
	s_delay_alu instid0(VALU_DEP_1) | instskip(SKIP_1) | instid1(VALU_DEP_2)
	v_subrev_nc_u32_e32 v12, 29, v10
	v_sub_nc_u32_e32 v10, 30, v10
	v_lshlrev_b32_e32 v8, v12, v8
	v_bfe_u32 v12, v11, 26, 5
	s_delay_alu instid0(VALU_DEP_2) | instskip(NEXT) | instid1(VALU_DEP_2)
	v_and_b32_e32 v8, 3, v8
	v_cmp_eq_u32_e32 vcc_lo, 0, v12
	v_cndmask_b32_e32 v10, v12, v10, vcc_lo
	s_delay_alu instid0(VALU_DEP_3) | instskip(NEXT) | instid1(VALU_DEP_2)
	v_dual_cndmask_b32 v8, v9, v8 :: v_dual_and_b32 v9, 0x80000000, v11
	v_lshl_add_u32 v10, v10, 23, 0x37800000
	s_delay_alu instid0(VALU_DEP_2) | instskip(NEXT) | instid1(VALU_DEP_1)
	v_lshlrev_b32_e32 v8, 21, v8
	v_or3_b32 v9, v9, v10, v8
.LBB4_7746:                             ;   in Loop: Header=BB4_7553 Depth=3
	s_or_b32 exec_lo, exec_lo, s30
	s_delay_alu instid0(VALU_DEP_1) | instskip(SKIP_1) | instid1(VALU_DEP_1)
	v_dual_mul_f32 v8, s17, v9 :: v_dual_mov_b32 v181, 0x8000
	s_mov_b32 s30, exec_lo
	v_and_b32_e32 v9, 0x7f800000, v8
	s_delay_alu instid0(VALU_DEP_1)
	v_cmpx_ne_u32_e32 0x7f800000, v9
	s_cbranch_execz .LBB4_7754
; %bb.7747:                             ;   in Loop: Header=BB4_7553 Depth=3
	v_mov_b32_e32 v181, 0
	s_mov_b32 s31, exec_lo
	v_cmpx_ne_u32_e32 0, v8
	s_cbranch_execz .LBB4_7753
; %bb.7748:                             ;   in Loop: Header=BB4_7553 Depth=3
	v_bfe_u32 v9, v8, 23, 8
	s_delay_alu instid0(VALU_DEP_1) | instskip(SKIP_1) | instid1(VALU_DEP_2)
	v_sub_nc_u32_e32 v11, 0x70, v9
	v_cmp_gt_u32_e32 vcc_lo, 0x71, v9
	v_dual_cndmask_b32 v11, 0, v11 :: v_dual_and_b32 v10, 0x7fffff, v8
	s_delay_alu instid0(VALU_DEP_1) | instskip(SKIP_2) | instid1(VALU_DEP_4)
	v_or_b32_e32 v12, 0x800000, v10
	v_cmp_eq_u32_e32 vcc_lo, 0, v9
	v_add_nc_u32_e32 v9, 0xffffff91, v9
	v_cndmask_b32_e64 v11, v11, 0x6f, vcc_lo
	s_delay_alu instid0(VALU_DEP_4) | instskip(NEXT) | instid1(VALU_DEP_3)
	v_cndmask_b32_e32 v10, v12, v10, vcc_lo
	v_cndmask_b32_e64 v9, v9, 0xffffff92, vcc_lo
	s_delay_alu instid0(VALU_DEP_3) | instskip(NEXT) | instid1(VALU_DEP_3)
	v_lshl_add_u32 v12, 0x200000, v11, -1
	v_lshrrev_b32_e32 v13, v11, v10
	v_lshlrev_b32_e64 v15, v11, 0x100000
	s_delay_alu instid0(VALU_DEP_4) | instskip(NEXT) | instid1(VALU_DEP_4)
	v_add_nc_u32_e32 v11, v11, v9
	v_and_b32_e32 v10, v12, v10
	s_delay_alu instid0(VALU_DEP_4) | instskip(NEXT) | instid1(VALU_DEP_2)
	v_bfe_u32 v14, v13, 21, 1
	v_cmp_eq_u32_e64 s13, v10, v15
	s_delay_alu instid0(VALU_DEP_2) | instskip(NEXT) | instid1(VALU_DEP_1)
	v_add_nc_u32_e32 v12, -1, v14
	v_cndmask_b32_e64 v10, 0, v12, s13
	v_lshrrev_b32_e32 v12, 23, v13
	s_mov_b32 s13, exec_lo
	s_delay_alu instid0(VALU_DEP_2) | instskip(NEXT) | instid1(VALU_DEP_2)
	v_add_nc_u32_e32 v10, v10, v13
	v_xor_b32_e32 v12, 1, v12
	s_delay_alu instid0(VALU_DEP_2) | instskip(NEXT) | instid1(VALU_DEP_1)
	v_and_b32_e32 v9, 0x1fffff, v10
	v_add_nc_u32_e32 v10, v9, v13
                                        ; implicit-def: $vgpr9
	s_delay_alu instid0(VALU_DEP_3)
	v_cmpx_ne_u32_e64 v11, v12
	s_xor_b32 s13, exec_lo, s13
; %bb.7749:                             ;   in Loop: Header=BB4_7553 Depth=3
	s_delay_alu instid0(VALU_DEP_2) | instskip(SKIP_2) | instid1(VALU_DEP_2)
	v_cmp_lt_u32_e32 vcc_lo, 0xffffff, v10
	v_sub_nc_u32_e32 v9, v11, v12
	v_cndmask_b32_e64 v11, 0, 1, vcc_lo
	v_add_co_ci_u32_e32 v9, vcc_lo, 0, v9, vcc_lo
	s_delay_alu instid0(VALU_DEP_2)
	v_lshrrev_b32_e32 v10, v11, v10
; %bb.7750:                             ;   in Loop: Header=BB4_7553 Depth=3
	s_and_not1_saveexec_b32 s13, s13
; %bb.7751:                             ;   in Loop: Header=BB4_7553 Depth=3
	s_delay_alu instid0(VALU_DEP_1)
	v_bfe_u32 v9, v10, 23, 1
; %bb.7752:                             ;   in Loop: Header=BB4_7553 Depth=3
	s_or_b32 exec_lo, exec_lo, s13
	v_lshrrev_b32_e32 v10, 21, v10
	s_delay_alu instid0(VALU_DEP_2) | instskip(SKIP_2) | instid1(VALU_DEP_2)
	v_cmp_gt_i32_e32 vcc_lo, 32, v9
	v_min_i32_e32 v11, 31, v9
	v_lshrrev_b32_e32 v8, 24, v8
	v_dual_cndmask_b32 v10, 3, v10 :: v_dual_lshlrev_b32 v11, 2, v11
	s_delay_alu instid0(VALU_DEP_2) | instskip(NEXT) | instid1(VALU_DEP_2)
	v_and_b32_e32 v8, 0x80, v8
	v_or_b32_e32 v9, v9, v10
	s_delay_alu instid0(VALU_DEP_3) | instskip(NEXT) | instid1(VALU_DEP_2)
	v_and_b32_e32 v11, 0xfc, v11
	v_cmp_ne_u32_e32 vcc_lo, 0, v9
	v_and_b32_e32 v12, 3, v10
	s_delay_alu instid0(VALU_DEP_1) | instskip(NEXT) | instid1(VALU_DEP_1)
	v_or3_b32 v8, v8, v11, v12
	v_lshlrev_b32_e32 v8, 8, v8
	s_delay_alu instid0(VALU_DEP_1)
	v_cndmask_b32_e32 v181, 0, v8, vcc_lo
.LBB4_7753:                             ;   in Loop: Header=BB4_7553 Depth=3
	s_or_b32 exec_lo, exec_lo, s31
.LBB4_7754:                             ;   in Loop: Header=BB4_7553 Depth=3
	s_delay_alu instid0(SALU_CYCLE_1)
	s_or_b32 exec_lo, exec_lo, s30
	global_load_b128 v[8:11], v[53:54], off offset:512 slc dlc
	s_mov_b32 s13, 0
	s_mov_b32 s31, exec_lo
                                        ; implicit-def: $sgpr30
	s_waitcnt vmcnt(0)
	v_and_b32_e32 v13, 0xff, v8
	s_delay_alu instid0(VALU_DEP_1)
	v_cmpx_lt_i16_e32 0x7f, v13
	s_xor_b32 s31, exec_lo, s31
	s_cbranch_execnz .LBB4_8520
; %bb.7755:                             ;   in Loop: Header=BB4_7553 Depth=3
	s_or_saveexec_b32 s31, s31
	v_mov_b32_e32 v12, s30
	s_xor_b32 exec_lo, exec_lo, s31
	s_cbranch_execnz .LBB4_8523
.LBB4_7756:                             ;   in Loop: Header=BB4_7553 Depth=3
	s_or_b32 exec_lo, exec_lo, s31
	s_and_saveexec_b32 s30, s13
	s_cbranch_execz .LBB4_7758
.LBB4_7757:                             ;   in Loop: Header=BB4_7553 Depth=3
	v_bfe_u32 v15, v8, 2, 5
	v_lshlrev_b32_e32 v134, 24, v8
	s_delay_alu instid0(VALU_DEP_2) | instskip(SKIP_1) | instid1(VALU_DEP_1)
	v_cmp_eq_u32_e32 vcc_lo, 0, v15
	v_and_b32_e32 v12, 3, v8
	v_clz_i32_u32_e32 v13, v12
	s_delay_alu instid0(VALU_DEP_1) | instskip(NEXT) | instid1(VALU_DEP_1)
	v_min_u32_e32 v13, 32, v13
	v_subrev_nc_u32_e32 v14, 29, v13
	v_sub_nc_u32_e32 v13, 30, v13
	s_delay_alu instid0(VALU_DEP_1) | instskip(NEXT) | instid1(VALU_DEP_1)
	v_dual_cndmask_b32 v13, v15, v13 :: v_dual_lshlrev_b32 v14, v14, v8
	v_and_b32_e32 v14, 3, v14
	s_delay_alu instid0(VALU_DEP_2) | instskip(NEXT) | instid1(VALU_DEP_2)
	v_lshl_add_u32 v13, v13, 23, 0x37800000
	v_cndmask_b32_e32 v12, v12, v14, vcc_lo
	v_and_b32_e32 v14, 0x80000000, v134
	s_delay_alu instid0(VALU_DEP_2) | instskip(NEXT) | instid1(VALU_DEP_1)
	v_lshlrev_b32_e32 v12, 21, v12
	v_or3_b32 v12, v14, v13, v12
.LBB4_7758:                             ;   in Loop: Header=BB4_7553 Depth=3
	s_or_b32 exec_lo, exec_lo, s30
	s_delay_alu instid0(VALU_DEP_1) | instskip(SKIP_2) | instid1(VALU_DEP_2)
	v_mul_f32_e32 v12, s17, v12
	v_mov_b32_e32 v176, 0x80
	s_mov_b32 s30, exec_lo
	v_and_b32_e32 v13, 0x7f800000, v12
	s_delay_alu instid0(VALU_DEP_1)
	v_cmpx_ne_u32_e32 0x7f800000, v13
	s_cbranch_execz .LBB4_7766
; %bb.7759:                             ;   in Loop: Header=BB4_7553 Depth=3
	v_mov_b32_e32 v176, 0
	s_mov_b32 s31, exec_lo
	v_cmpx_ne_u32_e32 0, v12
	s_cbranch_execz .LBB4_7765
; %bb.7760:                             ;   in Loop: Header=BB4_7553 Depth=3
	v_bfe_u32 v13, v12, 23, 8
	s_delay_alu instid0(VALU_DEP_1) | instskip(SKIP_1) | instid1(VALU_DEP_2)
	v_sub_nc_u32_e32 v15, 0x70, v13
	v_cmp_gt_u32_e32 vcc_lo, 0x71, v13
	v_dual_cndmask_b32 v15, 0, v15 :: v_dual_and_b32 v14, 0x7fffff, v12
	s_delay_alu instid0(VALU_DEP_1) | instskip(SKIP_2) | instid1(VALU_DEP_4)
	v_or_b32_e32 v134, 0x800000, v14
	v_cmp_eq_u32_e32 vcc_lo, 0, v13
	v_add_nc_u32_e32 v13, 0xffffff91, v13
	v_cndmask_b32_e64 v15, v15, 0x6f, vcc_lo
	s_delay_alu instid0(VALU_DEP_4) | instskip(NEXT) | instid1(VALU_DEP_3)
	v_cndmask_b32_e32 v14, v134, v14, vcc_lo
	v_cndmask_b32_e64 v13, v13, 0xffffff92, vcc_lo
	s_delay_alu instid0(VALU_DEP_3) | instskip(NEXT) | instid1(VALU_DEP_3)
	v_lshl_add_u32 v134, 0x200000, v15, -1
	v_lshrrev_b32_e32 v135, v15, v14
	v_lshlrev_b32_e64 v146, v15, 0x100000
	s_delay_alu instid0(VALU_DEP_4) | instskip(NEXT) | instid1(VALU_DEP_4)
	v_add_nc_u32_e32 v15, v15, v13
	v_and_b32_e32 v14, v134, v14
	s_delay_alu instid0(VALU_DEP_4) | instskip(NEXT) | instid1(VALU_DEP_2)
	v_bfe_u32 v144, v135, 21, 1
	v_cmp_eq_u32_e64 s13, v14, v146
	s_delay_alu instid0(VALU_DEP_2) | instskip(NEXT) | instid1(VALU_DEP_1)
	v_add_nc_u32_e32 v134, -1, v144
	v_cndmask_b32_e64 v14, 0, v134, s13
	v_lshrrev_b32_e32 v134, 23, v135
	s_mov_b32 s13, exec_lo
	s_delay_alu instid0(VALU_DEP_2) | instskip(NEXT) | instid1(VALU_DEP_2)
	v_add_nc_u32_e32 v14, v14, v135
	v_xor_b32_e32 v134, 1, v134
	s_delay_alu instid0(VALU_DEP_2) | instskip(NEXT) | instid1(VALU_DEP_1)
	v_and_b32_e32 v13, 0x1fffff, v14
	v_add_nc_u32_e32 v14, v13, v135
                                        ; implicit-def: $vgpr13
	s_delay_alu instid0(VALU_DEP_3)
	v_cmpx_ne_u32_e64 v15, v134
	s_xor_b32 s13, exec_lo, s13
; %bb.7761:                             ;   in Loop: Header=BB4_7553 Depth=3
	s_delay_alu instid0(VALU_DEP_2) | instskip(SKIP_2) | instid1(VALU_DEP_2)
	v_cmp_lt_u32_e32 vcc_lo, 0xffffff, v14
	v_sub_nc_u32_e32 v13, v15, v134
	v_cndmask_b32_e64 v15, 0, 1, vcc_lo
	v_add_co_ci_u32_e32 v13, vcc_lo, 0, v13, vcc_lo
	s_delay_alu instid0(VALU_DEP_2)
	v_lshrrev_b32_e32 v14, v15, v14
; %bb.7762:                             ;   in Loop: Header=BB4_7553 Depth=3
	s_and_not1_saveexec_b32 s13, s13
; %bb.7763:                             ;   in Loop: Header=BB4_7553 Depth=3
	s_delay_alu instid0(VALU_DEP_1)
	v_bfe_u32 v13, v14, 23, 1
; %bb.7764:                             ;   in Loop: Header=BB4_7553 Depth=3
	s_or_b32 exec_lo, exec_lo, s13
	v_lshrrev_b32_e32 v14, 21, v14
	s_delay_alu instid0(VALU_DEP_2) | instskip(SKIP_2) | instid1(VALU_DEP_4)
	v_cmp_gt_i32_e32 vcc_lo, 32, v13
	v_lshrrev_b32_e32 v12, 24, v12
	v_min_i32_e32 v15, 31, v13
	v_cndmask_b32_e32 v14, 3, v14, vcc_lo
	s_delay_alu instid0(VALU_DEP_3) | instskip(NEXT) | instid1(VALU_DEP_3)
	v_and_b32_e32 v12, 0x80, v12
	v_lshlrev_b32_e32 v15, 2, v15
	s_delay_alu instid0(VALU_DEP_3) | instskip(SKIP_1) | instid1(VALU_DEP_2)
	v_and_b32_e32 v134, 3, v14
	v_or_b32_e32 v13, v13, v14
	v_or3_b32 v12, v15, v12, v134
	s_delay_alu instid0(VALU_DEP_2) | instskip(NEXT) | instid1(VALU_DEP_2)
	v_cmp_ne_u32_e32 vcc_lo, 0, v13
	v_cndmask_b32_e32 v176, 0, v12, vcc_lo
.LBB4_7765:                             ;   in Loop: Header=BB4_7553 Depth=3
	s_or_b32 exec_lo, exec_lo, s31
.LBB4_7766:                             ;   in Loop: Header=BB4_7553 Depth=3
	s_delay_alu instid0(SALU_CYCLE_1) | instskip(SKIP_3) | instid1(VALU_DEP_1)
	s_or_b32 exec_lo, exec_lo, s30
	v_lshrrev_b16 v12, 8, v8
	s_mov_b32 s13, 0
	s_mov_b32 s31, exec_lo
                                        ; implicit-def: $sgpr30
	v_cmpx_lt_i16_e32 0x7f, v12
	s_xor_b32 s31, exec_lo, s31
	s_cbranch_execnz .LBB4_8524
; %bb.7767:                             ;   in Loop: Header=BB4_7553 Depth=3
	s_or_saveexec_b32 s31, s31
	v_mov_b32_e32 v13, s30
	s_xor_b32 exec_lo, exec_lo, s31
	s_cbranch_execnz .LBB4_8527
.LBB4_7768:                             ;   in Loop: Header=BB4_7553 Depth=3
	s_or_b32 exec_lo, exec_lo, s31
	s_and_saveexec_b32 s30, s13
	s_cbranch_execz .LBB4_7770
.LBB4_7769:                             ;   in Loop: Header=BB4_7553 Depth=3
	v_and_b32_e32 v13, 0xffff, v12
	v_lshlrev_b32_e32 v12, 24, v12
	s_delay_alu instid0(VALU_DEP_2) | instskip(NEXT) | instid1(VALU_DEP_2)
	v_and_b32_e32 v14, 3, v13
	v_and_b32_e32 v12, 0x80000000, v12
	s_delay_alu instid0(VALU_DEP_2) | instskip(NEXT) | instid1(VALU_DEP_1)
	v_clz_i32_u32_e32 v15, v14
	v_min_u32_e32 v15, 32, v15
	s_delay_alu instid0(VALU_DEP_1) | instskip(SKIP_1) | instid1(VALU_DEP_2)
	v_subrev_nc_u32_e32 v134, 29, v15
	v_sub_nc_u32_e32 v15, 30, v15
	v_lshlrev_b32_e32 v134, v134, v13
	v_bfe_u32 v13, v13, 2, 5
	s_delay_alu instid0(VALU_DEP_2) | instskip(NEXT) | instid1(VALU_DEP_2)
	v_and_b32_e32 v134, 3, v134
	v_cmp_eq_u32_e32 vcc_lo, 0, v13
	s_delay_alu instid0(VALU_DEP_2) | instskip(NEXT) | instid1(VALU_DEP_1)
	v_dual_cndmask_b32 v13, v13, v15 :: v_dual_cndmask_b32 v14, v14, v134
	v_lshl_add_u32 v13, v13, 23, 0x37800000
	s_delay_alu instid0(VALU_DEP_2) | instskip(NEXT) | instid1(VALU_DEP_1)
	v_lshlrev_b32_e32 v14, 21, v14
	v_or3_b32 v13, v12, v13, v14
.LBB4_7770:                             ;   in Loop: Header=BB4_7553 Depth=3
	s_or_b32 exec_lo, exec_lo, s30
	s_delay_alu instid0(VALU_DEP_1) | instskip(SKIP_1) | instid1(VALU_DEP_1)
	v_dual_mul_f32 v12, s17, v13 :: v_dual_mov_b32 v165, 0x80
	s_mov_b32 s30, exec_lo
	v_and_b32_e32 v13, 0x7f800000, v12
	s_delay_alu instid0(VALU_DEP_1)
	v_cmpx_ne_u32_e32 0x7f800000, v13
	s_cbranch_execz .LBB4_7778
; %bb.7771:                             ;   in Loop: Header=BB4_7553 Depth=3
	v_mov_b32_e32 v165, 0
	s_mov_b32 s31, exec_lo
	v_cmpx_ne_u32_e32 0, v12
	s_cbranch_execz .LBB4_7777
; %bb.7772:                             ;   in Loop: Header=BB4_7553 Depth=3
	v_bfe_u32 v13, v12, 23, 8
	s_delay_alu instid0(VALU_DEP_1) | instskip(SKIP_1) | instid1(VALU_DEP_2)
	v_sub_nc_u32_e32 v15, 0x70, v13
	v_cmp_gt_u32_e32 vcc_lo, 0x71, v13
	v_dual_cndmask_b32 v15, 0, v15 :: v_dual_and_b32 v14, 0x7fffff, v12
	s_delay_alu instid0(VALU_DEP_1) | instskip(SKIP_2) | instid1(VALU_DEP_4)
	v_or_b32_e32 v134, 0x800000, v14
	v_cmp_eq_u32_e32 vcc_lo, 0, v13
	v_add_nc_u32_e32 v13, 0xffffff91, v13
	v_cndmask_b32_e64 v15, v15, 0x6f, vcc_lo
	s_delay_alu instid0(VALU_DEP_4) | instskip(NEXT) | instid1(VALU_DEP_3)
	v_cndmask_b32_e32 v14, v134, v14, vcc_lo
	v_cndmask_b32_e64 v13, v13, 0xffffff92, vcc_lo
	s_delay_alu instid0(VALU_DEP_3) | instskip(NEXT) | instid1(VALU_DEP_3)
	v_lshl_add_u32 v134, 0x200000, v15, -1
	v_lshrrev_b32_e32 v135, v15, v14
	v_lshlrev_b32_e64 v146, v15, 0x100000
	s_delay_alu instid0(VALU_DEP_4) | instskip(NEXT) | instid1(VALU_DEP_4)
	v_add_nc_u32_e32 v15, v15, v13
	v_and_b32_e32 v14, v134, v14
	s_delay_alu instid0(VALU_DEP_4) | instskip(NEXT) | instid1(VALU_DEP_2)
	v_bfe_u32 v144, v135, 21, 1
	v_cmp_eq_u32_e64 s13, v14, v146
	s_delay_alu instid0(VALU_DEP_2) | instskip(NEXT) | instid1(VALU_DEP_1)
	v_add_nc_u32_e32 v134, -1, v144
	v_cndmask_b32_e64 v14, 0, v134, s13
	v_lshrrev_b32_e32 v134, 23, v135
	s_mov_b32 s13, exec_lo
	s_delay_alu instid0(VALU_DEP_2) | instskip(NEXT) | instid1(VALU_DEP_2)
	v_add_nc_u32_e32 v14, v14, v135
	v_xor_b32_e32 v134, 1, v134
	s_delay_alu instid0(VALU_DEP_2) | instskip(NEXT) | instid1(VALU_DEP_1)
	v_and_b32_e32 v13, 0x1fffff, v14
	v_add_nc_u32_e32 v14, v13, v135
                                        ; implicit-def: $vgpr13
	s_delay_alu instid0(VALU_DEP_3)
	v_cmpx_ne_u32_e64 v15, v134
	s_xor_b32 s13, exec_lo, s13
; %bb.7773:                             ;   in Loop: Header=BB4_7553 Depth=3
	s_delay_alu instid0(VALU_DEP_2) | instskip(SKIP_2) | instid1(VALU_DEP_2)
	v_cmp_lt_u32_e32 vcc_lo, 0xffffff, v14
	v_sub_nc_u32_e32 v13, v15, v134
	v_cndmask_b32_e64 v15, 0, 1, vcc_lo
	v_add_co_ci_u32_e32 v13, vcc_lo, 0, v13, vcc_lo
	s_delay_alu instid0(VALU_DEP_2)
	v_lshrrev_b32_e32 v14, v15, v14
; %bb.7774:                             ;   in Loop: Header=BB4_7553 Depth=3
	s_and_not1_saveexec_b32 s13, s13
; %bb.7775:                             ;   in Loop: Header=BB4_7553 Depth=3
	s_delay_alu instid0(VALU_DEP_1)
	v_bfe_u32 v13, v14, 23, 1
; %bb.7776:                             ;   in Loop: Header=BB4_7553 Depth=3
	s_or_b32 exec_lo, exec_lo, s13
	v_lshrrev_b32_e32 v14, 21, v14
	s_delay_alu instid0(VALU_DEP_2) | instskip(SKIP_2) | instid1(VALU_DEP_2)
	v_cmp_gt_i32_e32 vcc_lo, 32, v13
	v_min_i32_e32 v15, 31, v13
	v_lshrrev_b32_e32 v12, 24, v12
	v_dual_cndmask_b32 v14, 3, v14 :: v_dual_lshlrev_b32 v15, 2, v15
	s_delay_alu instid0(VALU_DEP_2) | instskip(NEXT) | instid1(VALU_DEP_2)
	v_and_b32_e32 v12, 0x80, v12
	v_or_b32_e32 v13, v13, v14
	s_delay_alu instid0(VALU_DEP_1) | instskip(SKIP_1) | instid1(VALU_DEP_1)
	v_cmp_ne_u32_e32 vcc_lo, 0, v13
	v_and_b32_e32 v134, 3, v14
	v_or3_b32 v12, v15, v12, v134
	s_delay_alu instid0(VALU_DEP_1)
	v_cndmask_b32_e32 v165, 0, v12, vcc_lo
.LBB4_7777:                             ;   in Loop: Header=BB4_7553 Depth=3
	s_or_b32 exec_lo, exec_lo, s31
.LBB4_7778:                             ;   in Loop: Header=BB4_7553 Depth=3
	s_delay_alu instid0(SALU_CYCLE_1) | instskip(SKIP_3) | instid1(VALU_DEP_1)
	s_or_b32 exec_lo, exec_lo, s30
	v_lshrrev_b32_e32 v12, 16, v8
	s_mov_b32 s13, 0
	s_mov_b32 s31, exec_lo
                                        ; implicit-def: $sgpr30
	v_and_b32_e32 v14, 0xff, v12
	s_delay_alu instid0(VALU_DEP_1)
	v_cmpx_lt_i16_e32 0x7f, v14
	s_xor_b32 s31, exec_lo, s31
	s_cbranch_execnz .LBB4_8528
; %bb.7779:                             ;   in Loop: Header=BB4_7553 Depth=3
	s_or_saveexec_b32 s31, s31
	v_mov_b32_e32 v13, s30
	s_xor_b32 exec_lo, exec_lo, s31
	s_cbranch_execnz .LBB4_8531
.LBB4_7780:                             ;   in Loop: Header=BB4_7553 Depth=3
	s_or_b32 exec_lo, exec_lo, s31
	s_and_saveexec_b32 s30, s13
	s_cbranch_execz .LBB4_7782
.LBB4_7781:                             ;   in Loop: Header=BB4_7553 Depth=3
	v_bfe_u32 v13, v8, 16, 2
	v_lshlrev_b32_e32 v134, 8, v8
	s_delay_alu instid0(VALU_DEP_2) | instskip(NEXT) | instid1(VALU_DEP_1)
	v_clz_i32_u32_e32 v14, v13
	v_min_u32_e32 v14, 32, v14
	s_delay_alu instid0(VALU_DEP_1) | instskip(SKIP_1) | instid1(VALU_DEP_2)
	v_subrev_nc_u32_e32 v15, 29, v14
	v_sub_nc_u32_e32 v14, 30, v14
	v_lshlrev_b32_e32 v12, v15, v12
	v_bfe_u32 v15, v8, 18, 5
	s_delay_alu instid0(VALU_DEP_2) | instskip(NEXT) | instid1(VALU_DEP_2)
	v_and_b32_e32 v12, 3, v12
	v_cmp_eq_u32_e32 vcc_lo, 0, v15
	v_cndmask_b32_e32 v14, v15, v14, vcc_lo
	s_delay_alu instid0(VALU_DEP_3) | instskip(NEXT) | instid1(VALU_DEP_2)
	v_dual_cndmask_b32 v12, v13, v12 :: v_dual_and_b32 v13, 0x80000000, v134
	v_lshl_add_u32 v14, v14, 23, 0x37800000
	s_delay_alu instid0(VALU_DEP_2) | instskip(NEXT) | instid1(VALU_DEP_1)
	v_lshlrev_b32_e32 v12, 21, v12
	v_or3_b32 v13, v13, v14, v12
.LBB4_7782:                             ;   in Loop: Header=BB4_7553 Depth=3
	s_or_b32 exec_lo, exec_lo, s30
	s_delay_alu instid0(VALU_DEP_1) | instskip(SKIP_2) | instid1(VALU_DEP_2)
	v_mul_f32_e32 v12, s17, v13
	v_mov_b32_e32 v164, 0x80
	s_mov_b32 s30, exec_lo
	v_and_b32_e32 v13, 0x7f800000, v12
	s_delay_alu instid0(VALU_DEP_1)
	v_cmpx_ne_u32_e32 0x7f800000, v13
	s_cbranch_execz .LBB4_7790
; %bb.7783:                             ;   in Loop: Header=BB4_7553 Depth=3
	v_mov_b32_e32 v164, 0
	s_mov_b32 s31, exec_lo
	v_cmpx_ne_u32_e32 0, v12
	s_cbranch_execz .LBB4_7789
; %bb.7784:                             ;   in Loop: Header=BB4_7553 Depth=3
	v_bfe_u32 v13, v12, 23, 8
	s_delay_alu instid0(VALU_DEP_1) | instskip(SKIP_1) | instid1(VALU_DEP_2)
	v_sub_nc_u32_e32 v15, 0x70, v13
	v_cmp_gt_u32_e32 vcc_lo, 0x71, v13
	v_dual_cndmask_b32 v15, 0, v15 :: v_dual_and_b32 v14, 0x7fffff, v12
	s_delay_alu instid0(VALU_DEP_1) | instskip(SKIP_2) | instid1(VALU_DEP_4)
	v_or_b32_e32 v134, 0x800000, v14
	v_cmp_eq_u32_e32 vcc_lo, 0, v13
	v_add_nc_u32_e32 v13, 0xffffff91, v13
	v_cndmask_b32_e64 v15, v15, 0x6f, vcc_lo
	s_delay_alu instid0(VALU_DEP_4) | instskip(NEXT) | instid1(VALU_DEP_3)
	v_cndmask_b32_e32 v14, v134, v14, vcc_lo
	v_cndmask_b32_e64 v13, v13, 0xffffff92, vcc_lo
	s_delay_alu instid0(VALU_DEP_3) | instskip(NEXT) | instid1(VALU_DEP_3)
	v_lshl_add_u32 v134, 0x200000, v15, -1
	v_lshrrev_b32_e32 v135, v15, v14
	v_lshlrev_b32_e64 v146, v15, 0x100000
	s_delay_alu instid0(VALU_DEP_4) | instskip(NEXT) | instid1(VALU_DEP_4)
	v_add_nc_u32_e32 v15, v15, v13
	v_and_b32_e32 v14, v134, v14
	s_delay_alu instid0(VALU_DEP_4) | instskip(NEXT) | instid1(VALU_DEP_2)
	v_bfe_u32 v144, v135, 21, 1
	v_cmp_eq_u32_e64 s13, v14, v146
	s_delay_alu instid0(VALU_DEP_2) | instskip(NEXT) | instid1(VALU_DEP_1)
	v_add_nc_u32_e32 v134, -1, v144
	v_cndmask_b32_e64 v14, 0, v134, s13
	v_lshrrev_b32_e32 v134, 23, v135
	s_mov_b32 s13, exec_lo
	s_delay_alu instid0(VALU_DEP_2) | instskip(NEXT) | instid1(VALU_DEP_2)
	v_add_nc_u32_e32 v14, v14, v135
	v_xor_b32_e32 v134, 1, v134
	s_delay_alu instid0(VALU_DEP_2) | instskip(NEXT) | instid1(VALU_DEP_1)
	v_and_b32_e32 v13, 0x1fffff, v14
	v_add_nc_u32_e32 v14, v13, v135
                                        ; implicit-def: $vgpr13
	s_delay_alu instid0(VALU_DEP_3)
	v_cmpx_ne_u32_e64 v15, v134
	s_xor_b32 s13, exec_lo, s13
; %bb.7785:                             ;   in Loop: Header=BB4_7553 Depth=3
	s_delay_alu instid0(VALU_DEP_2) | instskip(SKIP_2) | instid1(VALU_DEP_2)
	v_cmp_lt_u32_e32 vcc_lo, 0xffffff, v14
	v_sub_nc_u32_e32 v13, v15, v134
	v_cndmask_b32_e64 v15, 0, 1, vcc_lo
	v_add_co_ci_u32_e32 v13, vcc_lo, 0, v13, vcc_lo
	s_delay_alu instid0(VALU_DEP_2)
	v_lshrrev_b32_e32 v14, v15, v14
; %bb.7786:                             ;   in Loop: Header=BB4_7553 Depth=3
	s_and_not1_saveexec_b32 s13, s13
; %bb.7787:                             ;   in Loop: Header=BB4_7553 Depth=3
	s_delay_alu instid0(VALU_DEP_1)
	v_bfe_u32 v13, v14, 23, 1
; %bb.7788:                             ;   in Loop: Header=BB4_7553 Depth=3
	s_or_b32 exec_lo, exec_lo, s13
	v_lshrrev_b32_e32 v14, 21, v14
	s_delay_alu instid0(VALU_DEP_2) | instskip(SKIP_2) | instid1(VALU_DEP_4)
	v_cmp_gt_i32_e32 vcc_lo, 32, v13
	v_lshrrev_b32_e32 v12, 24, v12
	v_min_i32_e32 v15, 31, v13
	v_cndmask_b32_e32 v14, 3, v14, vcc_lo
	s_delay_alu instid0(VALU_DEP_3) | instskip(NEXT) | instid1(VALU_DEP_3)
	v_and_b32_e32 v12, 0x80, v12
	v_lshlrev_b32_e32 v15, 2, v15
	s_delay_alu instid0(VALU_DEP_3) | instskip(SKIP_1) | instid1(VALU_DEP_2)
	v_and_b32_e32 v134, 3, v14
	v_or_b32_e32 v13, v13, v14
	v_or3_b32 v12, v15, v12, v134
	s_delay_alu instid0(VALU_DEP_2) | instskip(NEXT) | instid1(VALU_DEP_2)
	v_cmp_ne_u32_e32 vcc_lo, 0, v13
	v_cndmask_b32_e32 v164, 0, v12, vcc_lo
.LBB4_7789:                             ;   in Loop: Header=BB4_7553 Depth=3
	s_or_b32 exec_lo, exec_lo, s31
.LBB4_7790:                             ;   in Loop: Header=BB4_7553 Depth=3
	s_delay_alu instid0(SALU_CYCLE_1) | instskip(SKIP_3) | instid1(VALU_DEP_1)
	s_or_b32 exec_lo, exec_lo, s30
	v_lshrrev_b32_e32 v12, 24, v8
	s_mov_b32 s13, 0
	s_mov_b32 s31, exec_lo
                                        ; implicit-def: $sgpr30
	v_cmpx_lt_i16_e32 0x7f, v12
	s_xor_b32 s31, exec_lo, s31
	s_cbranch_execnz .LBB4_8532
; %bb.7791:                             ;   in Loop: Header=BB4_7553 Depth=3
	s_or_saveexec_b32 s31, s31
	v_mov_b32_e32 v13, s30
	s_xor_b32 exec_lo, exec_lo, s31
	s_cbranch_execnz .LBB4_8535
.LBB4_7792:                             ;   in Loop: Header=BB4_7553 Depth=3
	s_or_b32 exec_lo, exec_lo, s31
	s_and_saveexec_b32 s30, s13
	s_cbranch_execz .LBB4_7794
.LBB4_7793:                             ;   in Loop: Header=BB4_7553 Depth=3
	v_bfe_u32 v13, v8, 24, 2
	s_delay_alu instid0(VALU_DEP_1) | instskip(NEXT) | instid1(VALU_DEP_1)
	v_clz_i32_u32_e32 v14, v13
	v_min_u32_e32 v14, 32, v14
	s_delay_alu instid0(VALU_DEP_1) | instskip(SKIP_1) | instid1(VALU_DEP_2)
	v_subrev_nc_u32_e32 v15, 29, v14
	v_sub_nc_u32_e32 v14, 30, v14
	v_lshlrev_b32_e32 v12, v15, v12
	v_bfe_u32 v15, v8, 26, 5
	v_and_b32_e32 v8, 0x80000000, v8
	s_delay_alu instid0(VALU_DEP_3) | instskip(NEXT) | instid1(VALU_DEP_3)
	v_and_b32_e32 v12, 3, v12
	v_cmp_eq_u32_e32 vcc_lo, 0, v15
	v_cndmask_b32_e32 v14, v15, v14, vcc_lo
	s_delay_alu instid0(VALU_DEP_3) | instskip(NEXT) | instid1(VALU_DEP_2)
	v_cndmask_b32_e32 v12, v13, v12, vcc_lo
	v_lshl_add_u32 v13, v14, 23, 0x37800000
	s_delay_alu instid0(VALU_DEP_2) | instskip(NEXT) | instid1(VALU_DEP_1)
	v_lshlrev_b32_e32 v12, 21, v12
	v_or3_b32 v13, v8, v13, v12
.LBB4_7794:                             ;   in Loop: Header=BB4_7553 Depth=3
	s_or_b32 exec_lo, exec_lo, s30
	s_delay_alu instid0(VALU_DEP_1) | instskip(SKIP_2) | instid1(VALU_DEP_2)
	v_mul_f32_e32 v8, s17, v13
	v_mov_b32_e32 v162, 0x80
	s_mov_b32 s30, exec_lo
	v_and_b32_e32 v12, 0x7f800000, v8
	s_delay_alu instid0(VALU_DEP_1)
	v_cmpx_ne_u32_e32 0x7f800000, v12
	s_cbranch_execz .LBB4_7802
; %bb.7795:                             ;   in Loop: Header=BB4_7553 Depth=3
	v_mov_b32_e32 v162, 0
	s_mov_b32 s31, exec_lo
	v_cmpx_ne_u32_e32 0, v8
	s_cbranch_execz .LBB4_7801
; %bb.7796:                             ;   in Loop: Header=BB4_7553 Depth=3
	v_bfe_u32 v12, v8, 23, 8
	s_delay_alu instid0(VALU_DEP_1) | instskip(SKIP_1) | instid1(VALU_DEP_2)
	v_sub_nc_u32_e32 v14, 0x70, v12
	v_cmp_gt_u32_e32 vcc_lo, 0x71, v12
	v_dual_cndmask_b32 v14, 0, v14 :: v_dual_and_b32 v13, 0x7fffff, v8
	s_delay_alu instid0(VALU_DEP_1) | instskip(SKIP_2) | instid1(VALU_DEP_4)
	v_or_b32_e32 v15, 0x800000, v13
	v_cmp_eq_u32_e32 vcc_lo, 0, v12
	v_add_nc_u32_e32 v12, 0xffffff91, v12
	v_cndmask_b32_e64 v14, v14, 0x6f, vcc_lo
	s_delay_alu instid0(VALU_DEP_4) | instskip(NEXT) | instid1(VALU_DEP_3)
	v_cndmask_b32_e32 v13, v15, v13, vcc_lo
	v_cndmask_b32_e64 v12, v12, 0xffffff92, vcc_lo
	s_delay_alu instid0(VALU_DEP_3) | instskip(NEXT) | instid1(VALU_DEP_3)
	v_lshl_add_u32 v15, 0x200000, v14, -1
	v_lshrrev_b32_e32 v134, v14, v13
	v_lshlrev_b32_e64 v144, v14, 0x100000
	s_delay_alu instid0(VALU_DEP_4) | instskip(NEXT) | instid1(VALU_DEP_4)
	v_add_nc_u32_e32 v14, v14, v12
	v_and_b32_e32 v13, v15, v13
	s_delay_alu instid0(VALU_DEP_4) | instskip(NEXT) | instid1(VALU_DEP_2)
	v_bfe_u32 v135, v134, 21, 1
	v_cmp_eq_u32_e64 s13, v13, v144
	s_delay_alu instid0(VALU_DEP_2) | instskip(NEXT) | instid1(VALU_DEP_1)
	v_add_nc_u32_e32 v15, -1, v135
	v_cndmask_b32_e64 v13, 0, v15, s13
	v_lshrrev_b32_e32 v15, 23, v134
	s_mov_b32 s13, exec_lo
	s_delay_alu instid0(VALU_DEP_2) | instskip(NEXT) | instid1(VALU_DEP_2)
	v_add_nc_u32_e32 v13, v13, v134
	v_xor_b32_e32 v15, 1, v15
	s_delay_alu instid0(VALU_DEP_2) | instskip(NEXT) | instid1(VALU_DEP_1)
	v_and_b32_e32 v12, 0x1fffff, v13
	v_add_nc_u32_e32 v13, v12, v134
                                        ; implicit-def: $vgpr12
	s_delay_alu instid0(VALU_DEP_3)
	v_cmpx_ne_u32_e64 v14, v15
	s_xor_b32 s13, exec_lo, s13
; %bb.7797:                             ;   in Loop: Header=BB4_7553 Depth=3
	s_delay_alu instid0(VALU_DEP_2) | instskip(SKIP_2) | instid1(VALU_DEP_2)
	v_cmp_lt_u32_e32 vcc_lo, 0xffffff, v13
	v_sub_nc_u32_e32 v12, v14, v15
	v_cndmask_b32_e64 v14, 0, 1, vcc_lo
	v_add_co_ci_u32_e32 v12, vcc_lo, 0, v12, vcc_lo
	s_delay_alu instid0(VALU_DEP_2)
	v_lshrrev_b32_e32 v13, v14, v13
; %bb.7798:                             ;   in Loop: Header=BB4_7553 Depth=3
	s_and_not1_saveexec_b32 s13, s13
; %bb.7799:                             ;   in Loop: Header=BB4_7553 Depth=3
	s_delay_alu instid0(VALU_DEP_1)
	v_bfe_u32 v12, v13, 23, 1
; %bb.7800:                             ;   in Loop: Header=BB4_7553 Depth=3
	s_or_b32 exec_lo, exec_lo, s13
	v_lshrrev_b32_e32 v13, 21, v13
	s_delay_alu instid0(VALU_DEP_2) | instskip(SKIP_2) | instid1(VALU_DEP_2)
	v_cmp_gt_i32_e32 vcc_lo, 32, v12
	v_lshrrev_b32_e32 v8, 24, v8
	v_min_i32_e32 v14, 31, v12
	v_dual_cndmask_b32 v13, 3, v13 :: v_dual_and_b32 v8, 0x80, v8
	s_delay_alu instid0(VALU_DEP_2) | instskip(NEXT) | instid1(VALU_DEP_2)
	v_lshlrev_b32_e32 v14, 2, v14
	v_or_b32_e32 v12, v12, v13
	s_delay_alu instid0(VALU_DEP_1) | instskip(SKIP_1) | instid1(VALU_DEP_1)
	v_cmp_ne_u32_e32 vcc_lo, 0, v12
	v_and_b32_e32 v15, 3, v13
	v_or3_b32 v8, v14, v8, v15
	s_delay_alu instid0(VALU_DEP_1)
	v_cndmask_b32_e32 v162, 0, v8, vcc_lo
.LBB4_7801:                             ;   in Loop: Header=BB4_7553 Depth=3
	s_or_b32 exec_lo, exec_lo, s31
.LBB4_7802:                             ;   in Loop: Header=BB4_7553 Depth=3
	s_delay_alu instid0(SALU_CYCLE_1) | instskip(SKIP_3) | instid1(VALU_DEP_1)
	s_or_b32 exec_lo, exec_lo, s30
	v_and_b32_e32 v12, 0xff, v9
	s_mov_b32 s13, 0
	s_mov_b32 s31, exec_lo
                                        ; implicit-def: $sgpr30
	v_cmpx_lt_i16_e32 0x7f, v12
	s_xor_b32 s31, exec_lo, s31
	s_cbranch_execnz .LBB4_8536
; %bb.7803:                             ;   in Loop: Header=BB4_7553 Depth=3
	s_or_saveexec_b32 s31, s31
	v_mov_b32_e32 v8, s30
	s_xor_b32 exec_lo, exec_lo, s31
	s_cbranch_execnz .LBB4_8539
.LBB4_7804:                             ;   in Loop: Header=BB4_7553 Depth=3
	s_or_b32 exec_lo, exec_lo, s31
	s_and_saveexec_b32 s30, s13
	s_cbranch_execz .LBB4_7806
.LBB4_7805:                             ;   in Loop: Header=BB4_7553 Depth=3
	v_and_b32_e32 v8, 3, v9
	v_bfe_u32 v14, v9, 2, 5
	v_lshlrev_b32_e32 v15, 24, v9
	s_delay_alu instid0(VALU_DEP_3) | instskip(NEXT) | instid1(VALU_DEP_3)
	v_clz_i32_u32_e32 v12, v8
	v_cmp_eq_u32_e32 vcc_lo, 0, v14
	s_delay_alu instid0(VALU_DEP_2) | instskip(NEXT) | instid1(VALU_DEP_1)
	v_min_u32_e32 v12, 32, v12
	v_subrev_nc_u32_e32 v13, 29, v12
	v_sub_nc_u32_e32 v12, 30, v12
	s_delay_alu instid0(VALU_DEP_1) | instskip(NEXT) | instid1(VALU_DEP_1)
	v_dual_cndmask_b32 v12, v14, v12 :: v_dual_lshlrev_b32 v13, v13, v9
	v_and_b32_e32 v13, 3, v13
	s_delay_alu instid0(VALU_DEP_2) | instskip(NEXT) | instid1(VALU_DEP_2)
	v_lshl_add_u32 v12, v12, 23, 0x37800000
	v_dual_cndmask_b32 v8, v8, v13 :: v_dual_and_b32 v13, 0x80000000, v15
	s_delay_alu instid0(VALU_DEP_1) | instskip(NEXT) | instid1(VALU_DEP_1)
	v_lshlrev_b32_e32 v8, 21, v8
	v_or3_b32 v8, v13, v12, v8
.LBB4_7806:                             ;   in Loop: Header=BB4_7553 Depth=3
	s_or_b32 exec_lo, exec_lo, s30
	s_delay_alu instid0(VALU_DEP_1) | instskip(SKIP_1) | instid1(VALU_DEP_1)
	v_dual_mul_f32 v8, s17, v8 :: v_dual_mov_b32 v161, 0x80
	s_mov_b32 s30, exec_lo
	v_and_b32_e32 v12, 0x7f800000, v8
	s_delay_alu instid0(VALU_DEP_1)
	v_cmpx_ne_u32_e32 0x7f800000, v12
	s_cbranch_execz .LBB4_7814
; %bb.7807:                             ;   in Loop: Header=BB4_7553 Depth=3
	v_mov_b32_e32 v161, 0
	s_mov_b32 s31, exec_lo
	v_cmpx_ne_u32_e32 0, v8
	s_cbranch_execz .LBB4_7813
; %bb.7808:                             ;   in Loop: Header=BB4_7553 Depth=3
	v_bfe_u32 v12, v8, 23, 8
	s_delay_alu instid0(VALU_DEP_1) | instskip(SKIP_1) | instid1(VALU_DEP_2)
	v_sub_nc_u32_e32 v14, 0x70, v12
	v_cmp_gt_u32_e32 vcc_lo, 0x71, v12
	v_dual_cndmask_b32 v14, 0, v14 :: v_dual_and_b32 v13, 0x7fffff, v8
	s_delay_alu instid0(VALU_DEP_1) | instskip(SKIP_2) | instid1(VALU_DEP_4)
	v_or_b32_e32 v15, 0x800000, v13
	v_cmp_eq_u32_e32 vcc_lo, 0, v12
	v_add_nc_u32_e32 v12, 0xffffff91, v12
	v_cndmask_b32_e64 v14, v14, 0x6f, vcc_lo
	s_delay_alu instid0(VALU_DEP_4) | instskip(NEXT) | instid1(VALU_DEP_3)
	v_cndmask_b32_e32 v13, v15, v13, vcc_lo
	v_cndmask_b32_e64 v12, v12, 0xffffff92, vcc_lo
	s_delay_alu instid0(VALU_DEP_3) | instskip(NEXT) | instid1(VALU_DEP_3)
	v_lshl_add_u32 v15, 0x200000, v14, -1
	v_lshrrev_b32_e32 v134, v14, v13
	v_lshlrev_b32_e64 v144, v14, 0x100000
	s_delay_alu instid0(VALU_DEP_4) | instskip(NEXT) | instid1(VALU_DEP_4)
	v_add_nc_u32_e32 v14, v14, v12
	v_and_b32_e32 v13, v15, v13
	s_delay_alu instid0(VALU_DEP_4) | instskip(NEXT) | instid1(VALU_DEP_2)
	v_bfe_u32 v135, v134, 21, 1
	v_cmp_eq_u32_e64 s13, v13, v144
	s_delay_alu instid0(VALU_DEP_2) | instskip(NEXT) | instid1(VALU_DEP_1)
	v_add_nc_u32_e32 v15, -1, v135
	v_cndmask_b32_e64 v13, 0, v15, s13
	v_lshrrev_b32_e32 v15, 23, v134
	s_mov_b32 s13, exec_lo
	s_delay_alu instid0(VALU_DEP_2) | instskip(NEXT) | instid1(VALU_DEP_2)
	v_add_nc_u32_e32 v13, v13, v134
	v_xor_b32_e32 v15, 1, v15
	s_delay_alu instid0(VALU_DEP_2) | instskip(NEXT) | instid1(VALU_DEP_1)
	v_and_b32_e32 v12, 0x1fffff, v13
	v_add_nc_u32_e32 v13, v12, v134
                                        ; implicit-def: $vgpr12
	s_delay_alu instid0(VALU_DEP_3)
	v_cmpx_ne_u32_e64 v14, v15
	s_xor_b32 s13, exec_lo, s13
; %bb.7809:                             ;   in Loop: Header=BB4_7553 Depth=3
	s_delay_alu instid0(VALU_DEP_2) | instskip(SKIP_2) | instid1(VALU_DEP_2)
	v_cmp_lt_u32_e32 vcc_lo, 0xffffff, v13
	v_sub_nc_u32_e32 v12, v14, v15
	v_cndmask_b32_e64 v14, 0, 1, vcc_lo
	v_add_co_ci_u32_e32 v12, vcc_lo, 0, v12, vcc_lo
	s_delay_alu instid0(VALU_DEP_2)
	v_lshrrev_b32_e32 v13, v14, v13
; %bb.7810:                             ;   in Loop: Header=BB4_7553 Depth=3
	s_and_not1_saveexec_b32 s13, s13
; %bb.7811:                             ;   in Loop: Header=BB4_7553 Depth=3
	s_delay_alu instid0(VALU_DEP_1)
	v_bfe_u32 v12, v13, 23, 1
; %bb.7812:                             ;   in Loop: Header=BB4_7553 Depth=3
	s_or_b32 exec_lo, exec_lo, s13
	v_lshrrev_b32_e32 v13, 21, v13
	s_delay_alu instid0(VALU_DEP_2) | instskip(SKIP_2) | instid1(VALU_DEP_2)
	v_cmp_gt_i32_e32 vcc_lo, 32, v12
	v_min_i32_e32 v14, 31, v12
	v_lshrrev_b32_e32 v8, 24, v8
	v_dual_cndmask_b32 v13, 3, v13 :: v_dual_lshlrev_b32 v14, 2, v14
	s_delay_alu instid0(VALU_DEP_2) | instskip(NEXT) | instid1(VALU_DEP_2)
	v_and_b32_e32 v8, 0x80, v8
	v_or_b32_e32 v12, v12, v13
	v_and_b32_e32 v15, 3, v13
	s_delay_alu instid0(VALU_DEP_2) | instskip(SKIP_1) | instid1(VALU_DEP_1)
	v_cmp_ne_u32_e32 vcc_lo, 0, v12
	v_and_b32_e32 v14, 0xfc, v14
	v_or3_b32 v8, v14, v8, v15
	s_delay_alu instid0(VALU_DEP_1)
	v_cndmask_b32_e32 v161, 0, v8, vcc_lo
.LBB4_7813:                             ;   in Loop: Header=BB4_7553 Depth=3
	s_or_b32 exec_lo, exec_lo, s31
.LBB4_7814:                             ;   in Loop: Header=BB4_7553 Depth=3
	s_delay_alu instid0(SALU_CYCLE_1) | instskip(SKIP_3) | instid1(VALU_DEP_1)
	s_or_b32 exec_lo, exec_lo, s30
	v_lshrrev_b16 v8, 8, v9
	s_mov_b32 s13, 0
	s_mov_b32 s31, exec_lo
                                        ; implicit-def: $sgpr30
	v_cmpx_lt_i16_e32 0x7f, v8
	s_xor_b32 s31, exec_lo, s31
	s_cbranch_execnz .LBB4_8540
; %bb.7815:                             ;   in Loop: Header=BB4_7553 Depth=3
	s_or_saveexec_b32 s31, s31
	v_mov_b32_e32 v12, s30
	s_xor_b32 exec_lo, exec_lo, s31
	s_cbranch_execnz .LBB4_8543
.LBB4_7816:                             ;   in Loop: Header=BB4_7553 Depth=3
	s_or_b32 exec_lo, exec_lo, s31
	s_and_saveexec_b32 s30, s13
	s_cbranch_execz .LBB4_7818
.LBB4_7817:                             ;   in Loop: Header=BB4_7553 Depth=3
	v_and_b32_e32 v12, 0xffff, v8
	v_lshlrev_b32_e32 v8, 24, v8
	s_delay_alu instid0(VALU_DEP_2) | instskip(NEXT) | instid1(VALU_DEP_2)
	v_and_b32_e32 v13, 3, v12
	v_and_b32_e32 v8, 0x80000000, v8
	s_delay_alu instid0(VALU_DEP_2) | instskip(NEXT) | instid1(VALU_DEP_1)
	v_clz_i32_u32_e32 v14, v13
	v_min_u32_e32 v14, 32, v14
	s_delay_alu instid0(VALU_DEP_1) | instskip(SKIP_1) | instid1(VALU_DEP_2)
	v_subrev_nc_u32_e32 v15, 29, v14
	v_sub_nc_u32_e32 v14, 30, v14
	v_lshlrev_b32_e32 v15, v15, v12
	v_bfe_u32 v12, v12, 2, 5
	s_delay_alu instid0(VALU_DEP_2) | instskip(NEXT) | instid1(VALU_DEP_2)
	v_and_b32_e32 v15, 3, v15
	v_cmp_eq_u32_e32 vcc_lo, 0, v12
	s_delay_alu instid0(VALU_DEP_2) | instskip(NEXT) | instid1(VALU_DEP_1)
	v_dual_cndmask_b32 v12, v12, v14 :: v_dual_cndmask_b32 v13, v13, v15
	v_lshl_add_u32 v12, v12, 23, 0x37800000
	s_delay_alu instid0(VALU_DEP_2) | instskip(NEXT) | instid1(VALU_DEP_1)
	v_lshlrev_b32_e32 v13, 21, v13
	v_or3_b32 v12, v8, v12, v13
.LBB4_7818:                             ;   in Loop: Header=BB4_7553 Depth=3
	s_or_b32 exec_lo, exec_lo, s30
	s_delay_alu instid0(VALU_DEP_1) | instskip(SKIP_1) | instid1(VALU_DEP_1)
	v_dual_mul_f32 v8, s17, v12 :: v_dual_mov_b32 v167, 0x8000
	s_mov_b32 s30, exec_lo
	v_and_b32_e32 v12, 0x7f800000, v8
	s_delay_alu instid0(VALU_DEP_1)
	v_cmpx_ne_u32_e32 0x7f800000, v12
	s_cbranch_execz .LBB4_7826
; %bb.7819:                             ;   in Loop: Header=BB4_7553 Depth=3
	v_mov_b32_e32 v167, 0
	s_mov_b32 s31, exec_lo
	v_cmpx_ne_u32_e32 0, v8
	s_cbranch_execz .LBB4_7825
; %bb.7820:                             ;   in Loop: Header=BB4_7553 Depth=3
	v_bfe_u32 v12, v8, 23, 8
	s_delay_alu instid0(VALU_DEP_1) | instskip(SKIP_1) | instid1(VALU_DEP_2)
	v_sub_nc_u32_e32 v14, 0x70, v12
	v_cmp_gt_u32_e32 vcc_lo, 0x71, v12
	v_dual_cndmask_b32 v14, 0, v14 :: v_dual_and_b32 v13, 0x7fffff, v8
	s_delay_alu instid0(VALU_DEP_1) | instskip(SKIP_2) | instid1(VALU_DEP_4)
	v_or_b32_e32 v15, 0x800000, v13
	v_cmp_eq_u32_e32 vcc_lo, 0, v12
	v_add_nc_u32_e32 v12, 0xffffff91, v12
	v_cndmask_b32_e64 v14, v14, 0x6f, vcc_lo
	s_delay_alu instid0(VALU_DEP_4) | instskip(NEXT) | instid1(VALU_DEP_3)
	v_cndmask_b32_e32 v13, v15, v13, vcc_lo
	v_cndmask_b32_e64 v12, v12, 0xffffff92, vcc_lo
	s_delay_alu instid0(VALU_DEP_3) | instskip(NEXT) | instid1(VALU_DEP_3)
	v_lshl_add_u32 v15, 0x200000, v14, -1
	v_lshrrev_b32_e32 v134, v14, v13
	v_lshlrev_b32_e64 v144, v14, 0x100000
	s_delay_alu instid0(VALU_DEP_4) | instskip(NEXT) | instid1(VALU_DEP_4)
	v_add_nc_u32_e32 v14, v14, v12
	v_and_b32_e32 v13, v15, v13
	s_delay_alu instid0(VALU_DEP_4) | instskip(NEXT) | instid1(VALU_DEP_2)
	v_bfe_u32 v135, v134, 21, 1
	v_cmp_eq_u32_e64 s13, v13, v144
	s_delay_alu instid0(VALU_DEP_2) | instskip(NEXT) | instid1(VALU_DEP_1)
	v_add_nc_u32_e32 v15, -1, v135
	v_cndmask_b32_e64 v13, 0, v15, s13
	v_lshrrev_b32_e32 v15, 23, v134
	s_mov_b32 s13, exec_lo
	s_delay_alu instid0(VALU_DEP_2) | instskip(NEXT) | instid1(VALU_DEP_2)
	v_add_nc_u32_e32 v13, v13, v134
	v_xor_b32_e32 v15, 1, v15
	s_delay_alu instid0(VALU_DEP_2) | instskip(NEXT) | instid1(VALU_DEP_1)
	v_and_b32_e32 v12, 0x1fffff, v13
	v_add_nc_u32_e32 v13, v12, v134
                                        ; implicit-def: $vgpr12
	s_delay_alu instid0(VALU_DEP_3)
	v_cmpx_ne_u32_e64 v14, v15
	s_xor_b32 s13, exec_lo, s13
; %bb.7821:                             ;   in Loop: Header=BB4_7553 Depth=3
	s_delay_alu instid0(VALU_DEP_2) | instskip(SKIP_2) | instid1(VALU_DEP_2)
	v_cmp_lt_u32_e32 vcc_lo, 0xffffff, v13
	v_sub_nc_u32_e32 v12, v14, v15
	v_cndmask_b32_e64 v14, 0, 1, vcc_lo
	v_add_co_ci_u32_e32 v12, vcc_lo, 0, v12, vcc_lo
	s_delay_alu instid0(VALU_DEP_2)
	v_lshrrev_b32_e32 v13, v14, v13
; %bb.7822:                             ;   in Loop: Header=BB4_7553 Depth=3
	s_and_not1_saveexec_b32 s13, s13
; %bb.7823:                             ;   in Loop: Header=BB4_7553 Depth=3
	s_delay_alu instid0(VALU_DEP_1)
	v_bfe_u32 v12, v13, 23, 1
; %bb.7824:                             ;   in Loop: Header=BB4_7553 Depth=3
	s_or_b32 exec_lo, exec_lo, s13
	v_lshrrev_b32_e32 v13, 21, v13
	s_delay_alu instid0(VALU_DEP_2) | instskip(SKIP_2) | instid1(VALU_DEP_2)
	v_cmp_gt_i32_e32 vcc_lo, 32, v12
	v_min_i32_e32 v14, 31, v12
	v_lshrrev_b32_e32 v8, 24, v8
	v_dual_cndmask_b32 v13, 3, v13 :: v_dual_lshlrev_b32 v14, 2, v14
	s_delay_alu instid0(VALU_DEP_2) | instskip(NEXT) | instid1(VALU_DEP_2)
	v_and_b32_e32 v8, 0x80, v8
	v_or_b32_e32 v12, v12, v13
	v_and_b32_e32 v15, 3, v13
	s_delay_alu instid0(VALU_DEP_2) | instskip(SKIP_1) | instid1(VALU_DEP_1)
	v_cmp_ne_u32_e32 vcc_lo, 0, v12
	v_and_b32_e32 v14, 0xfc, v14
	v_or3_b32 v8, v8, v14, v15
	s_delay_alu instid0(VALU_DEP_1) | instskip(NEXT) | instid1(VALU_DEP_1)
	v_lshlrev_b32_e32 v8, 8, v8
	v_cndmask_b32_e32 v167, 0, v8, vcc_lo
.LBB4_7825:                             ;   in Loop: Header=BB4_7553 Depth=3
	s_or_b32 exec_lo, exec_lo, s31
.LBB4_7826:                             ;   in Loop: Header=BB4_7553 Depth=3
	s_delay_alu instid0(SALU_CYCLE_1) | instskip(SKIP_3) | instid1(VALU_DEP_1)
	s_or_b32 exec_lo, exec_lo, s30
	v_lshrrev_b32_e32 v8, 16, v9
	s_mov_b32 s13, 0
	s_mov_b32 s31, exec_lo
                                        ; implicit-def: $sgpr30
	v_and_b32_e32 v13, 0xff, v8
	s_delay_alu instid0(VALU_DEP_1)
	v_cmpx_lt_i16_e32 0x7f, v13
	s_xor_b32 s31, exec_lo, s31
	s_cbranch_execnz .LBB4_8544
; %bb.7827:                             ;   in Loop: Header=BB4_7553 Depth=3
	s_or_saveexec_b32 s31, s31
	v_mov_b32_e32 v12, s30
	s_xor_b32 exec_lo, exec_lo, s31
	s_cbranch_execnz .LBB4_8547
.LBB4_7828:                             ;   in Loop: Header=BB4_7553 Depth=3
	s_or_b32 exec_lo, exec_lo, s31
	s_and_saveexec_b32 s30, s13
	s_cbranch_execz .LBB4_7830
.LBB4_7829:                             ;   in Loop: Header=BB4_7553 Depth=3
	v_bfe_u32 v12, v9, 16, 2
	s_delay_alu instid0(VALU_DEP_1) | instskip(NEXT) | instid1(VALU_DEP_1)
	v_clz_i32_u32_e32 v13, v12
	v_min_u32_e32 v13, 32, v13
	s_delay_alu instid0(VALU_DEP_1) | instskip(SKIP_1) | instid1(VALU_DEP_2)
	v_subrev_nc_u32_e32 v14, 29, v13
	v_sub_nc_u32_e32 v13, 30, v13
	v_lshlrev_b32_e32 v8, v14, v8
	v_bfe_u32 v14, v9, 18, 5
	s_delay_alu instid0(VALU_DEP_1) | instskip(NEXT) | instid1(VALU_DEP_3)
	v_cmp_eq_u32_e32 vcc_lo, 0, v14
	v_dual_cndmask_b32 v13, v14, v13 :: v_dual_and_b32 v8, 3, v8
	s_delay_alu instid0(VALU_DEP_1) | instskip(NEXT) | instid1(VALU_DEP_2)
	v_dual_cndmask_b32 v8, v12, v8 :: v_dual_lshlrev_b32 v15, 8, v9
	v_lshl_add_u32 v13, v13, 23, 0x37800000
	s_delay_alu instid0(VALU_DEP_2) | instskip(NEXT) | instid1(VALU_DEP_3)
	v_and_b32_e32 v12, 0x80000000, v15
	v_lshlrev_b32_e32 v8, 21, v8
	s_delay_alu instid0(VALU_DEP_1)
	v_or3_b32 v12, v12, v13, v8
.LBB4_7830:                             ;   in Loop: Header=BB4_7553 Depth=3
	s_or_b32 exec_lo, exec_lo, s30
	s_delay_alu instid0(VALU_DEP_1) | instskip(SKIP_2) | instid1(VALU_DEP_2)
	v_mul_f32_e32 v8, s17, v12
	v_mov_b32_e32 v160, 0x80
	s_mov_b32 s30, exec_lo
	v_and_b32_e32 v12, 0x7f800000, v8
	s_delay_alu instid0(VALU_DEP_1)
	v_cmpx_ne_u32_e32 0x7f800000, v12
	s_cbranch_execz .LBB4_7838
; %bb.7831:                             ;   in Loop: Header=BB4_7553 Depth=3
	v_mov_b32_e32 v160, 0
	s_mov_b32 s31, exec_lo
	v_cmpx_ne_u32_e32 0, v8
	s_cbranch_execz .LBB4_7837
; %bb.7832:                             ;   in Loop: Header=BB4_7553 Depth=3
	v_bfe_u32 v12, v8, 23, 8
	s_delay_alu instid0(VALU_DEP_1) | instskip(SKIP_1) | instid1(VALU_DEP_2)
	v_sub_nc_u32_e32 v14, 0x70, v12
	v_cmp_gt_u32_e32 vcc_lo, 0x71, v12
	v_dual_cndmask_b32 v14, 0, v14 :: v_dual_and_b32 v13, 0x7fffff, v8
	s_delay_alu instid0(VALU_DEP_1) | instskip(SKIP_2) | instid1(VALU_DEP_4)
	v_or_b32_e32 v15, 0x800000, v13
	v_cmp_eq_u32_e32 vcc_lo, 0, v12
	v_add_nc_u32_e32 v12, 0xffffff91, v12
	v_cndmask_b32_e64 v14, v14, 0x6f, vcc_lo
	s_delay_alu instid0(VALU_DEP_4) | instskip(NEXT) | instid1(VALU_DEP_3)
	v_cndmask_b32_e32 v13, v15, v13, vcc_lo
	v_cndmask_b32_e64 v12, v12, 0xffffff92, vcc_lo
	s_delay_alu instid0(VALU_DEP_3) | instskip(NEXT) | instid1(VALU_DEP_3)
	v_lshl_add_u32 v15, 0x200000, v14, -1
	v_lshrrev_b32_e32 v134, v14, v13
	v_lshlrev_b32_e64 v144, v14, 0x100000
	s_delay_alu instid0(VALU_DEP_4) | instskip(NEXT) | instid1(VALU_DEP_4)
	v_add_nc_u32_e32 v14, v14, v12
	v_and_b32_e32 v13, v15, v13
	s_delay_alu instid0(VALU_DEP_4) | instskip(NEXT) | instid1(VALU_DEP_2)
	v_bfe_u32 v135, v134, 21, 1
	v_cmp_eq_u32_e64 s13, v13, v144
	s_delay_alu instid0(VALU_DEP_2) | instskip(NEXT) | instid1(VALU_DEP_1)
	v_add_nc_u32_e32 v15, -1, v135
	v_cndmask_b32_e64 v13, 0, v15, s13
	v_lshrrev_b32_e32 v15, 23, v134
	s_mov_b32 s13, exec_lo
	s_delay_alu instid0(VALU_DEP_2) | instskip(NEXT) | instid1(VALU_DEP_2)
	v_add_nc_u32_e32 v13, v13, v134
	v_xor_b32_e32 v15, 1, v15
	s_delay_alu instid0(VALU_DEP_2) | instskip(NEXT) | instid1(VALU_DEP_1)
	v_and_b32_e32 v12, 0x1fffff, v13
	v_add_nc_u32_e32 v13, v12, v134
                                        ; implicit-def: $vgpr12
	s_delay_alu instid0(VALU_DEP_3)
	v_cmpx_ne_u32_e64 v14, v15
	s_xor_b32 s13, exec_lo, s13
; %bb.7833:                             ;   in Loop: Header=BB4_7553 Depth=3
	s_delay_alu instid0(VALU_DEP_2) | instskip(SKIP_2) | instid1(VALU_DEP_2)
	v_cmp_lt_u32_e32 vcc_lo, 0xffffff, v13
	v_sub_nc_u32_e32 v12, v14, v15
	v_cndmask_b32_e64 v14, 0, 1, vcc_lo
	v_add_co_ci_u32_e32 v12, vcc_lo, 0, v12, vcc_lo
	s_delay_alu instid0(VALU_DEP_2)
	v_lshrrev_b32_e32 v13, v14, v13
; %bb.7834:                             ;   in Loop: Header=BB4_7553 Depth=3
	s_and_not1_saveexec_b32 s13, s13
; %bb.7835:                             ;   in Loop: Header=BB4_7553 Depth=3
	s_delay_alu instid0(VALU_DEP_1)
	v_bfe_u32 v12, v13, 23, 1
; %bb.7836:                             ;   in Loop: Header=BB4_7553 Depth=3
	s_or_b32 exec_lo, exec_lo, s13
	v_lshrrev_b32_e32 v13, 21, v13
	s_delay_alu instid0(VALU_DEP_2) | instskip(SKIP_2) | instid1(VALU_DEP_2)
	v_cmp_gt_i32_e32 vcc_lo, 32, v12
	v_min_i32_e32 v14, 31, v12
	v_lshrrev_b32_e32 v8, 24, v8
	v_dual_cndmask_b32 v13, 3, v13 :: v_dual_lshlrev_b32 v14, 2, v14
	s_delay_alu instid0(VALU_DEP_2) | instskip(NEXT) | instid1(VALU_DEP_2)
	v_and_b32_e32 v8, 0x80, v8
	v_or_b32_e32 v12, v12, v13
	s_delay_alu instid0(VALU_DEP_3) | instskip(NEXT) | instid1(VALU_DEP_2)
	v_and_b32_e32 v14, 0xfc, v14
	v_cmp_ne_u32_e32 vcc_lo, 0, v12
	v_and_b32_e32 v15, 3, v13
	s_delay_alu instid0(VALU_DEP_1) | instskip(NEXT) | instid1(VALU_DEP_1)
	v_or3_b32 v8, v14, v8, v15
	v_cndmask_b32_e32 v160, 0, v8, vcc_lo
.LBB4_7837:                             ;   in Loop: Header=BB4_7553 Depth=3
	s_or_b32 exec_lo, exec_lo, s31
.LBB4_7838:                             ;   in Loop: Header=BB4_7553 Depth=3
	s_delay_alu instid0(SALU_CYCLE_1) | instskip(SKIP_3) | instid1(VALU_DEP_1)
	s_or_b32 exec_lo, exec_lo, s30
	v_lshrrev_b32_e32 v8, 24, v9
	s_mov_b32 s13, 0
	s_mov_b32 s31, exec_lo
                                        ; implicit-def: $sgpr30
	v_cmpx_lt_i16_e32 0x7f, v8
	s_xor_b32 s31, exec_lo, s31
	s_cbranch_execnz .LBB4_8548
; %bb.7839:                             ;   in Loop: Header=BB4_7553 Depth=3
	s_or_saveexec_b32 s31, s31
	v_mov_b32_e32 v12, s30
	s_xor_b32 exec_lo, exec_lo, s31
	s_cbranch_execnz .LBB4_8551
.LBB4_7840:                             ;   in Loop: Header=BB4_7553 Depth=3
	s_or_b32 exec_lo, exec_lo, s31
	s_and_saveexec_b32 s30, s13
	s_cbranch_execz .LBB4_7842
.LBB4_7841:                             ;   in Loop: Header=BB4_7553 Depth=3
	v_bfe_u32 v12, v9, 24, 2
	s_delay_alu instid0(VALU_DEP_1) | instskip(NEXT) | instid1(VALU_DEP_1)
	v_clz_i32_u32_e32 v13, v12
	v_min_u32_e32 v13, 32, v13
	s_delay_alu instid0(VALU_DEP_1) | instskip(SKIP_1) | instid1(VALU_DEP_2)
	v_subrev_nc_u32_e32 v14, 29, v13
	v_sub_nc_u32_e32 v13, 30, v13
	v_lshlrev_b32_e32 v8, v14, v8
	v_bfe_u32 v14, v9, 26, 5
	v_and_b32_e32 v9, 0x80000000, v9
	s_delay_alu instid0(VALU_DEP_2) | instskip(NEXT) | instid1(VALU_DEP_4)
	v_cmp_eq_u32_e32 vcc_lo, 0, v14
	v_dual_cndmask_b32 v13, v14, v13 :: v_dual_and_b32 v8, 3, v8
	s_delay_alu instid0(VALU_DEP_1) | instskip(NEXT) | instid1(VALU_DEP_2)
	v_cndmask_b32_e32 v8, v12, v8, vcc_lo
	v_lshl_add_u32 v12, v13, 23, 0x37800000
	s_delay_alu instid0(VALU_DEP_2) | instskip(NEXT) | instid1(VALU_DEP_1)
	v_lshlrev_b32_e32 v8, 21, v8
	v_or3_b32 v12, v9, v12, v8
.LBB4_7842:                             ;   in Loop: Header=BB4_7553 Depth=3
	s_or_b32 exec_lo, exec_lo, s30
	s_delay_alu instid0(VALU_DEP_1) | instskip(SKIP_1) | instid1(VALU_DEP_1)
	v_dual_mul_f32 v8, s17, v12 :: v_dual_mov_b32 v163, 0x8000
	s_mov_b32 s30, exec_lo
	v_and_b32_e32 v9, 0x7f800000, v8
	s_delay_alu instid0(VALU_DEP_1)
	v_cmpx_ne_u32_e32 0x7f800000, v9
	s_cbranch_execz .LBB4_7850
; %bb.7843:                             ;   in Loop: Header=BB4_7553 Depth=3
	v_mov_b32_e32 v163, 0
	s_mov_b32 s31, exec_lo
	v_cmpx_ne_u32_e32 0, v8
	s_cbranch_execz .LBB4_7849
; %bb.7844:                             ;   in Loop: Header=BB4_7553 Depth=3
	v_bfe_u32 v9, v8, 23, 8
	s_delay_alu instid0(VALU_DEP_1) | instskip(SKIP_1) | instid1(VALU_DEP_2)
	v_sub_nc_u32_e32 v13, 0x70, v9
	v_cmp_gt_u32_e32 vcc_lo, 0x71, v9
	v_dual_cndmask_b32 v13, 0, v13 :: v_dual_and_b32 v12, 0x7fffff, v8
	s_delay_alu instid0(VALU_DEP_1) | instskip(SKIP_2) | instid1(VALU_DEP_4)
	v_or_b32_e32 v14, 0x800000, v12
	v_cmp_eq_u32_e32 vcc_lo, 0, v9
	v_add_nc_u32_e32 v9, 0xffffff91, v9
	v_cndmask_b32_e64 v13, v13, 0x6f, vcc_lo
	s_delay_alu instid0(VALU_DEP_4) | instskip(NEXT) | instid1(VALU_DEP_3)
	v_cndmask_b32_e32 v12, v14, v12, vcc_lo
	v_cndmask_b32_e64 v9, v9, 0xffffff92, vcc_lo
	s_delay_alu instid0(VALU_DEP_3) | instskip(NEXT) | instid1(VALU_DEP_3)
	v_lshl_add_u32 v14, 0x200000, v13, -1
	v_lshrrev_b32_e32 v15, v13, v12
	v_lshlrev_b32_e64 v135, v13, 0x100000
	s_delay_alu instid0(VALU_DEP_4) | instskip(NEXT) | instid1(VALU_DEP_4)
	v_add_nc_u32_e32 v13, v13, v9
	v_and_b32_e32 v12, v14, v12
	s_delay_alu instid0(VALU_DEP_4) | instskip(NEXT) | instid1(VALU_DEP_2)
	v_bfe_u32 v134, v15, 21, 1
	v_cmp_eq_u32_e64 s13, v12, v135
	s_delay_alu instid0(VALU_DEP_2) | instskip(NEXT) | instid1(VALU_DEP_1)
	v_add_nc_u32_e32 v14, -1, v134
	v_cndmask_b32_e64 v12, 0, v14, s13
	v_lshrrev_b32_e32 v14, 23, v15
	s_mov_b32 s13, exec_lo
	s_delay_alu instid0(VALU_DEP_2) | instskip(NEXT) | instid1(VALU_DEP_2)
	v_add_nc_u32_e32 v12, v12, v15
	v_xor_b32_e32 v14, 1, v14
	s_delay_alu instid0(VALU_DEP_2) | instskip(NEXT) | instid1(VALU_DEP_1)
	v_and_b32_e32 v9, 0x1fffff, v12
	v_add_nc_u32_e32 v12, v9, v15
                                        ; implicit-def: $vgpr9
	s_delay_alu instid0(VALU_DEP_3)
	v_cmpx_ne_u32_e64 v13, v14
	s_xor_b32 s13, exec_lo, s13
; %bb.7845:                             ;   in Loop: Header=BB4_7553 Depth=3
	s_delay_alu instid0(VALU_DEP_2) | instskip(SKIP_2) | instid1(VALU_DEP_2)
	v_cmp_lt_u32_e32 vcc_lo, 0xffffff, v12
	v_sub_nc_u32_e32 v9, v13, v14
	v_cndmask_b32_e64 v13, 0, 1, vcc_lo
	v_add_co_ci_u32_e32 v9, vcc_lo, 0, v9, vcc_lo
	s_delay_alu instid0(VALU_DEP_2)
	v_lshrrev_b32_e32 v12, v13, v12
; %bb.7846:                             ;   in Loop: Header=BB4_7553 Depth=3
	s_and_not1_saveexec_b32 s13, s13
; %bb.7847:                             ;   in Loop: Header=BB4_7553 Depth=3
	s_delay_alu instid0(VALU_DEP_1)
	v_bfe_u32 v9, v12, 23, 1
; %bb.7848:                             ;   in Loop: Header=BB4_7553 Depth=3
	s_or_b32 exec_lo, exec_lo, s13
	v_lshrrev_b32_e32 v12, 21, v12
	s_delay_alu instid0(VALU_DEP_2) | instskip(SKIP_2) | instid1(VALU_DEP_3)
	v_min_i32_e32 v13, 31, v9
	v_cmp_gt_i32_e32 vcc_lo, 32, v9
	v_lshrrev_b32_e32 v8, 24, v8
	v_dual_cndmask_b32 v12, 3, v12 :: v_dual_lshlrev_b32 v13, 2, v13
	s_delay_alu instid0(VALU_DEP_2) | instskip(NEXT) | instid1(VALU_DEP_2)
	v_and_b32_e32 v8, 0x80, v8
	v_and_b32_e32 v13, 0xfc, v13
	s_delay_alu instid0(VALU_DEP_3) | instskip(SKIP_1) | instid1(VALU_DEP_2)
	v_and_b32_e32 v14, 3, v12
	v_or_b32_e32 v9, v9, v12
	v_or3_b32 v8, v8, v13, v14
	s_delay_alu instid0(VALU_DEP_2) | instskip(NEXT) | instid1(VALU_DEP_2)
	v_cmp_ne_u32_e32 vcc_lo, 0, v9
	v_lshlrev_b32_e32 v8, 8, v8
	s_delay_alu instid0(VALU_DEP_1)
	v_cndmask_b32_e32 v163, 0, v8, vcc_lo
.LBB4_7849:                             ;   in Loop: Header=BB4_7553 Depth=3
	s_or_b32 exec_lo, exec_lo, s31
.LBB4_7850:                             ;   in Loop: Header=BB4_7553 Depth=3
	s_delay_alu instid0(SALU_CYCLE_1) | instskip(SKIP_3) | instid1(VALU_DEP_1)
	s_or_b32 exec_lo, exec_lo, s30
	v_and_b32_e32 v9, 0xff, v10
	s_mov_b32 s13, 0
	s_mov_b32 s31, exec_lo
                                        ; implicit-def: $sgpr30
	v_cmpx_lt_i16_e32 0x7f, v9
	s_xor_b32 s31, exec_lo, s31
	s_cbranch_execnz .LBB4_8552
; %bb.7851:                             ;   in Loop: Header=BB4_7553 Depth=3
	s_or_saveexec_b32 s31, s31
	v_mov_b32_e32 v8, s30
	s_xor_b32 exec_lo, exec_lo, s31
	s_cbranch_execnz .LBB4_8555
.LBB4_7852:                             ;   in Loop: Header=BB4_7553 Depth=3
	s_or_b32 exec_lo, exec_lo, s31
	s_and_saveexec_b32 s30, s13
	s_cbranch_execz .LBB4_7854
.LBB4_7853:                             ;   in Loop: Header=BB4_7553 Depth=3
	v_bfe_u32 v13, v10, 2, 5
	v_lshlrev_b32_e32 v14, 24, v10
	s_delay_alu instid0(VALU_DEP_2) | instskip(SKIP_1) | instid1(VALU_DEP_1)
	v_cmp_eq_u32_e32 vcc_lo, 0, v13
	v_and_b32_e32 v8, 3, v10
	v_clz_i32_u32_e32 v9, v8
	s_delay_alu instid0(VALU_DEP_1) | instskip(NEXT) | instid1(VALU_DEP_1)
	v_min_u32_e32 v9, 32, v9
	v_subrev_nc_u32_e32 v12, 29, v9
	v_sub_nc_u32_e32 v9, 30, v9
	s_delay_alu instid0(VALU_DEP_1) | instskip(NEXT) | instid1(VALU_DEP_1)
	v_dual_cndmask_b32 v9, v13, v9 :: v_dual_lshlrev_b32 v12, v12, v10
	v_and_b32_e32 v12, 3, v12
	s_delay_alu instid0(VALU_DEP_2) | instskip(NEXT) | instid1(VALU_DEP_2)
	v_lshl_add_u32 v9, v9, 23, 0x37800000
	v_cndmask_b32_e32 v8, v8, v12, vcc_lo
	v_and_b32_e32 v12, 0x80000000, v14
	s_delay_alu instid0(VALU_DEP_2) | instskip(NEXT) | instid1(VALU_DEP_1)
	v_lshlrev_b32_e32 v8, 21, v8
	v_or3_b32 v8, v12, v9, v8
.LBB4_7854:                             ;   in Loop: Header=BB4_7553 Depth=3
	s_or_b32 exec_lo, exec_lo, s30
	s_delay_alu instid0(VALU_DEP_1) | instskip(SKIP_2) | instid1(VALU_DEP_2)
	v_mul_f32_e32 v8, s17, v8
	v_mov_b32_e32 v150, 0x80
	s_mov_b32 s30, exec_lo
	v_and_b32_e32 v9, 0x7f800000, v8
	s_delay_alu instid0(VALU_DEP_1)
	v_cmpx_ne_u32_e32 0x7f800000, v9
	s_cbranch_execz .LBB4_7862
; %bb.7855:                             ;   in Loop: Header=BB4_7553 Depth=3
	v_mov_b32_e32 v150, 0
	s_mov_b32 s31, exec_lo
	v_cmpx_ne_u32_e32 0, v8
	s_cbranch_execz .LBB4_7861
; %bb.7856:                             ;   in Loop: Header=BB4_7553 Depth=3
	v_bfe_u32 v9, v8, 23, 8
	s_delay_alu instid0(VALU_DEP_1) | instskip(SKIP_1) | instid1(VALU_DEP_2)
	v_sub_nc_u32_e32 v13, 0x70, v9
	v_cmp_gt_u32_e32 vcc_lo, 0x71, v9
	v_dual_cndmask_b32 v13, 0, v13 :: v_dual_and_b32 v12, 0x7fffff, v8
	s_delay_alu instid0(VALU_DEP_1) | instskip(SKIP_2) | instid1(VALU_DEP_4)
	v_or_b32_e32 v14, 0x800000, v12
	v_cmp_eq_u32_e32 vcc_lo, 0, v9
	v_add_nc_u32_e32 v9, 0xffffff91, v9
	v_cndmask_b32_e64 v13, v13, 0x6f, vcc_lo
	s_delay_alu instid0(VALU_DEP_4) | instskip(NEXT) | instid1(VALU_DEP_3)
	v_cndmask_b32_e32 v12, v14, v12, vcc_lo
	v_cndmask_b32_e64 v9, v9, 0xffffff92, vcc_lo
	s_delay_alu instid0(VALU_DEP_3) | instskip(NEXT) | instid1(VALU_DEP_3)
	v_lshl_add_u32 v14, 0x200000, v13, -1
	v_lshrrev_b32_e32 v15, v13, v12
	v_lshlrev_b32_e64 v135, v13, 0x100000
	s_delay_alu instid0(VALU_DEP_4) | instskip(NEXT) | instid1(VALU_DEP_4)
	v_add_nc_u32_e32 v13, v13, v9
	v_and_b32_e32 v12, v14, v12
	s_delay_alu instid0(VALU_DEP_4) | instskip(NEXT) | instid1(VALU_DEP_2)
	v_bfe_u32 v134, v15, 21, 1
	v_cmp_eq_u32_e64 s13, v12, v135
	s_delay_alu instid0(VALU_DEP_2) | instskip(NEXT) | instid1(VALU_DEP_1)
	v_add_nc_u32_e32 v14, -1, v134
	v_cndmask_b32_e64 v12, 0, v14, s13
	v_lshrrev_b32_e32 v14, 23, v15
	s_mov_b32 s13, exec_lo
	s_delay_alu instid0(VALU_DEP_2) | instskip(NEXT) | instid1(VALU_DEP_2)
	v_add_nc_u32_e32 v12, v12, v15
	v_xor_b32_e32 v14, 1, v14
	s_delay_alu instid0(VALU_DEP_2) | instskip(NEXT) | instid1(VALU_DEP_1)
	v_and_b32_e32 v9, 0x1fffff, v12
	v_add_nc_u32_e32 v12, v9, v15
                                        ; implicit-def: $vgpr9
	s_delay_alu instid0(VALU_DEP_3)
	v_cmpx_ne_u32_e64 v13, v14
	s_xor_b32 s13, exec_lo, s13
; %bb.7857:                             ;   in Loop: Header=BB4_7553 Depth=3
	s_delay_alu instid0(VALU_DEP_2) | instskip(SKIP_2) | instid1(VALU_DEP_2)
	v_cmp_lt_u32_e32 vcc_lo, 0xffffff, v12
	v_sub_nc_u32_e32 v9, v13, v14
	v_cndmask_b32_e64 v13, 0, 1, vcc_lo
	v_add_co_ci_u32_e32 v9, vcc_lo, 0, v9, vcc_lo
	s_delay_alu instid0(VALU_DEP_2)
	v_lshrrev_b32_e32 v12, v13, v12
; %bb.7858:                             ;   in Loop: Header=BB4_7553 Depth=3
	s_and_not1_saveexec_b32 s13, s13
; %bb.7859:                             ;   in Loop: Header=BB4_7553 Depth=3
	s_delay_alu instid0(VALU_DEP_1)
	v_bfe_u32 v9, v12, 23, 1
; %bb.7860:                             ;   in Loop: Header=BB4_7553 Depth=3
	s_or_b32 exec_lo, exec_lo, s13
	v_lshrrev_b32_e32 v12, 21, v12
	s_delay_alu instid0(VALU_DEP_2) | instskip(SKIP_2) | instid1(VALU_DEP_4)
	v_cmp_gt_i32_e32 vcc_lo, 32, v9
	v_lshrrev_b32_e32 v8, 24, v8
	v_min_i32_e32 v13, 31, v9
	v_cndmask_b32_e32 v12, 3, v12, vcc_lo
	s_delay_alu instid0(VALU_DEP_3) | instskip(NEXT) | instid1(VALU_DEP_3)
	v_and_b32_e32 v8, 0x80, v8
	v_lshlrev_b32_e32 v13, 2, v13
	s_delay_alu instid0(VALU_DEP_3) | instskip(SKIP_1) | instid1(VALU_DEP_2)
	v_and_b32_e32 v14, 3, v12
	v_or_b32_e32 v9, v9, v12
	v_or3_b32 v8, v13, v8, v14
	s_delay_alu instid0(VALU_DEP_2) | instskip(NEXT) | instid1(VALU_DEP_2)
	v_cmp_ne_u32_e32 vcc_lo, 0, v9
	v_cndmask_b32_e32 v150, 0, v8, vcc_lo
.LBB4_7861:                             ;   in Loop: Header=BB4_7553 Depth=3
	s_or_b32 exec_lo, exec_lo, s31
.LBB4_7862:                             ;   in Loop: Header=BB4_7553 Depth=3
	s_delay_alu instid0(SALU_CYCLE_1) | instskip(SKIP_3) | instid1(VALU_DEP_1)
	s_or_b32 exec_lo, exec_lo, s30
	v_lshrrev_b16 v8, 8, v10
	s_mov_b32 s13, 0
	s_mov_b32 s31, exec_lo
                                        ; implicit-def: $sgpr30
	v_cmpx_lt_i16_e32 0x7f, v8
	s_xor_b32 s31, exec_lo, s31
	s_cbranch_execnz .LBB4_8556
; %bb.7863:                             ;   in Loop: Header=BB4_7553 Depth=3
	s_or_saveexec_b32 s31, s31
	v_mov_b32_e32 v9, s30
	s_xor_b32 exec_lo, exec_lo, s31
	s_cbranch_execnz .LBB4_8559
.LBB4_7864:                             ;   in Loop: Header=BB4_7553 Depth=3
	s_or_b32 exec_lo, exec_lo, s31
	s_and_saveexec_b32 s30, s13
	s_cbranch_execz .LBB4_7866
.LBB4_7865:                             ;   in Loop: Header=BB4_7553 Depth=3
	v_and_b32_e32 v9, 0xffff, v8
	v_lshlrev_b32_e32 v8, 24, v8
	s_delay_alu instid0(VALU_DEP_2) | instskip(NEXT) | instid1(VALU_DEP_2)
	v_and_b32_e32 v12, 3, v9
	v_and_b32_e32 v8, 0x80000000, v8
	s_delay_alu instid0(VALU_DEP_2) | instskip(NEXT) | instid1(VALU_DEP_1)
	v_clz_i32_u32_e32 v13, v12
	v_min_u32_e32 v13, 32, v13
	s_delay_alu instid0(VALU_DEP_1) | instskip(SKIP_1) | instid1(VALU_DEP_2)
	v_subrev_nc_u32_e32 v14, 29, v13
	v_sub_nc_u32_e32 v13, 30, v13
	v_lshlrev_b32_e32 v14, v14, v9
	v_bfe_u32 v9, v9, 2, 5
	s_delay_alu instid0(VALU_DEP_1) | instskip(NEXT) | instid1(VALU_DEP_3)
	v_cmp_eq_u32_e32 vcc_lo, 0, v9
	v_dual_cndmask_b32 v9, v9, v13 :: v_dual_and_b32 v14, 3, v14
	s_delay_alu instid0(VALU_DEP_1) | instskip(NEXT) | instid1(VALU_DEP_2)
	v_cndmask_b32_e32 v12, v12, v14, vcc_lo
	v_lshl_add_u32 v9, v9, 23, 0x37800000
	s_delay_alu instid0(VALU_DEP_2) | instskip(NEXT) | instid1(VALU_DEP_1)
	v_lshlrev_b32_e32 v12, 21, v12
	v_or3_b32 v9, v8, v9, v12
.LBB4_7866:                             ;   in Loop: Header=BB4_7553 Depth=3
	s_or_b32 exec_lo, exec_lo, s30
	s_delay_alu instid0(VALU_DEP_1) | instskip(SKIP_2) | instid1(VALU_DEP_2)
	v_mul_f32_e32 v8, s17, v9
	v_mov_b32_e32 v148, 0x80
	s_mov_b32 s30, exec_lo
	v_and_b32_e32 v9, 0x7f800000, v8
	s_delay_alu instid0(VALU_DEP_1)
	v_cmpx_ne_u32_e32 0x7f800000, v9
	s_cbranch_execz .LBB4_7874
; %bb.7867:                             ;   in Loop: Header=BB4_7553 Depth=3
	v_mov_b32_e32 v148, 0
	s_mov_b32 s31, exec_lo
	v_cmpx_ne_u32_e32 0, v8
	s_cbranch_execz .LBB4_7873
; %bb.7868:                             ;   in Loop: Header=BB4_7553 Depth=3
	v_bfe_u32 v9, v8, 23, 8
	s_delay_alu instid0(VALU_DEP_1) | instskip(SKIP_1) | instid1(VALU_DEP_2)
	v_sub_nc_u32_e32 v13, 0x70, v9
	v_cmp_gt_u32_e32 vcc_lo, 0x71, v9
	v_dual_cndmask_b32 v13, 0, v13 :: v_dual_and_b32 v12, 0x7fffff, v8
	s_delay_alu instid0(VALU_DEP_1) | instskip(SKIP_2) | instid1(VALU_DEP_4)
	v_or_b32_e32 v14, 0x800000, v12
	v_cmp_eq_u32_e32 vcc_lo, 0, v9
	v_add_nc_u32_e32 v9, 0xffffff91, v9
	v_cndmask_b32_e64 v13, v13, 0x6f, vcc_lo
	s_delay_alu instid0(VALU_DEP_4) | instskip(NEXT) | instid1(VALU_DEP_3)
	v_cndmask_b32_e32 v12, v14, v12, vcc_lo
	v_cndmask_b32_e64 v9, v9, 0xffffff92, vcc_lo
	s_delay_alu instid0(VALU_DEP_3) | instskip(NEXT) | instid1(VALU_DEP_3)
	v_lshl_add_u32 v14, 0x200000, v13, -1
	v_lshrrev_b32_e32 v15, v13, v12
	v_lshlrev_b32_e64 v135, v13, 0x100000
	s_delay_alu instid0(VALU_DEP_4) | instskip(NEXT) | instid1(VALU_DEP_4)
	v_add_nc_u32_e32 v13, v13, v9
	v_and_b32_e32 v12, v14, v12
	s_delay_alu instid0(VALU_DEP_4) | instskip(NEXT) | instid1(VALU_DEP_2)
	v_bfe_u32 v134, v15, 21, 1
	v_cmp_eq_u32_e64 s13, v12, v135
	s_delay_alu instid0(VALU_DEP_2) | instskip(NEXT) | instid1(VALU_DEP_1)
	v_add_nc_u32_e32 v14, -1, v134
	v_cndmask_b32_e64 v12, 0, v14, s13
	v_lshrrev_b32_e32 v14, 23, v15
	s_mov_b32 s13, exec_lo
	s_delay_alu instid0(VALU_DEP_2) | instskip(NEXT) | instid1(VALU_DEP_2)
	v_add_nc_u32_e32 v12, v12, v15
	v_xor_b32_e32 v14, 1, v14
	s_delay_alu instid0(VALU_DEP_2) | instskip(NEXT) | instid1(VALU_DEP_1)
	v_and_b32_e32 v9, 0x1fffff, v12
	v_add_nc_u32_e32 v12, v9, v15
                                        ; implicit-def: $vgpr9
	s_delay_alu instid0(VALU_DEP_3)
	v_cmpx_ne_u32_e64 v13, v14
	s_xor_b32 s13, exec_lo, s13
; %bb.7869:                             ;   in Loop: Header=BB4_7553 Depth=3
	s_delay_alu instid0(VALU_DEP_2) | instskip(SKIP_2) | instid1(VALU_DEP_2)
	v_cmp_lt_u32_e32 vcc_lo, 0xffffff, v12
	v_sub_nc_u32_e32 v9, v13, v14
	v_cndmask_b32_e64 v13, 0, 1, vcc_lo
	v_add_co_ci_u32_e32 v9, vcc_lo, 0, v9, vcc_lo
	s_delay_alu instid0(VALU_DEP_2)
	v_lshrrev_b32_e32 v12, v13, v12
; %bb.7870:                             ;   in Loop: Header=BB4_7553 Depth=3
	s_and_not1_saveexec_b32 s13, s13
; %bb.7871:                             ;   in Loop: Header=BB4_7553 Depth=3
	s_delay_alu instid0(VALU_DEP_1)
	v_bfe_u32 v9, v12, 23, 1
; %bb.7872:                             ;   in Loop: Header=BB4_7553 Depth=3
	s_or_b32 exec_lo, exec_lo, s13
	v_lshrrev_b32_e32 v12, 21, v12
	s_delay_alu instid0(VALU_DEP_2) | instskip(SKIP_2) | instid1(VALU_DEP_4)
	v_cmp_gt_i32_e32 vcc_lo, 32, v9
	v_lshrrev_b32_e32 v8, 24, v8
	v_min_i32_e32 v13, 31, v9
	v_cndmask_b32_e32 v12, 3, v12, vcc_lo
	s_delay_alu instid0(VALU_DEP_3) | instskip(NEXT) | instid1(VALU_DEP_3)
	v_and_b32_e32 v8, 0x80, v8
	v_lshlrev_b32_e32 v13, 2, v13
	s_delay_alu instid0(VALU_DEP_3) | instskip(SKIP_1) | instid1(VALU_DEP_2)
	v_and_b32_e32 v14, 3, v12
	v_or_b32_e32 v9, v9, v12
	v_or3_b32 v8, v13, v8, v14
	s_delay_alu instid0(VALU_DEP_2) | instskip(NEXT) | instid1(VALU_DEP_2)
	v_cmp_ne_u32_e32 vcc_lo, 0, v9
	v_cndmask_b32_e32 v148, 0, v8, vcc_lo
.LBB4_7873:                             ;   in Loop: Header=BB4_7553 Depth=3
	s_or_b32 exec_lo, exec_lo, s31
.LBB4_7874:                             ;   in Loop: Header=BB4_7553 Depth=3
	s_delay_alu instid0(SALU_CYCLE_1) | instskip(SKIP_3) | instid1(VALU_DEP_1)
	s_or_b32 exec_lo, exec_lo, s30
	v_lshrrev_b32_e32 v8, 16, v10
	s_mov_b32 s13, 0
	s_mov_b32 s31, exec_lo
                                        ; implicit-def: $sgpr30
	v_and_b32_e32 v12, 0xff, v8
	s_delay_alu instid0(VALU_DEP_1)
	v_cmpx_lt_i16_e32 0x7f, v12
	s_xor_b32 s31, exec_lo, s31
	s_cbranch_execnz .LBB4_8560
; %bb.7875:                             ;   in Loop: Header=BB4_7553 Depth=3
	s_or_saveexec_b32 s31, s31
	v_mov_b32_e32 v9, s30
	s_xor_b32 exec_lo, exec_lo, s31
	s_cbranch_execnz .LBB4_8563
.LBB4_7876:                             ;   in Loop: Header=BB4_7553 Depth=3
	s_or_b32 exec_lo, exec_lo, s31
	s_and_saveexec_b32 s30, s13
	s_cbranch_execz .LBB4_7878
.LBB4_7877:                             ;   in Loop: Header=BB4_7553 Depth=3
	v_bfe_u32 v9, v10, 16, 2
	v_lshlrev_b32_e32 v14, 8, v10
	s_delay_alu instid0(VALU_DEP_2) | instskip(NEXT) | instid1(VALU_DEP_1)
	v_clz_i32_u32_e32 v12, v9
	v_min_u32_e32 v12, 32, v12
	s_delay_alu instid0(VALU_DEP_1) | instskip(SKIP_1) | instid1(VALU_DEP_2)
	v_subrev_nc_u32_e32 v13, 29, v12
	v_sub_nc_u32_e32 v12, 30, v12
	v_lshlrev_b32_e32 v8, v13, v8
	v_bfe_u32 v13, v10, 18, 5
	s_delay_alu instid0(VALU_DEP_2) | instskip(NEXT) | instid1(VALU_DEP_2)
	v_and_b32_e32 v8, 3, v8
	v_cmp_eq_u32_e32 vcc_lo, 0, v13
	v_cndmask_b32_e32 v12, v13, v12, vcc_lo
	s_delay_alu instid0(VALU_DEP_3) | instskip(NEXT) | instid1(VALU_DEP_2)
	v_dual_cndmask_b32 v8, v9, v8 :: v_dual_and_b32 v9, 0x80000000, v14
	v_lshl_add_u32 v12, v12, 23, 0x37800000
	s_delay_alu instid0(VALU_DEP_2) | instskip(NEXT) | instid1(VALU_DEP_1)
	v_lshlrev_b32_e32 v8, 21, v8
	v_or3_b32 v9, v9, v12, v8
.LBB4_7878:                             ;   in Loop: Header=BB4_7553 Depth=3
	s_or_b32 exec_lo, exec_lo, s30
	s_delay_alu instid0(VALU_DEP_1) | instskip(SKIP_1) | instid1(VALU_DEP_1)
	v_dual_mul_f32 v8, s17, v9 :: v_dual_mov_b32 v147, 0x80
	s_mov_b32 s30, exec_lo
	v_and_b32_e32 v9, 0x7f800000, v8
	s_delay_alu instid0(VALU_DEP_1)
	v_cmpx_ne_u32_e32 0x7f800000, v9
	s_cbranch_execz .LBB4_7886
; %bb.7879:                             ;   in Loop: Header=BB4_7553 Depth=3
	v_mov_b32_e32 v147, 0
	s_mov_b32 s31, exec_lo
	v_cmpx_ne_u32_e32 0, v8
	s_cbranch_execz .LBB4_7885
; %bb.7880:                             ;   in Loop: Header=BB4_7553 Depth=3
	v_bfe_u32 v9, v8, 23, 8
	s_delay_alu instid0(VALU_DEP_1) | instskip(SKIP_1) | instid1(VALU_DEP_2)
	v_sub_nc_u32_e32 v13, 0x70, v9
	v_cmp_gt_u32_e32 vcc_lo, 0x71, v9
	v_dual_cndmask_b32 v13, 0, v13 :: v_dual_and_b32 v12, 0x7fffff, v8
	s_delay_alu instid0(VALU_DEP_1) | instskip(SKIP_2) | instid1(VALU_DEP_4)
	v_or_b32_e32 v14, 0x800000, v12
	v_cmp_eq_u32_e32 vcc_lo, 0, v9
	v_add_nc_u32_e32 v9, 0xffffff91, v9
	v_cndmask_b32_e64 v13, v13, 0x6f, vcc_lo
	s_delay_alu instid0(VALU_DEP_4) | instskip(NEXT) | instid1(VALU_DEP_3)
	v_cndmask_b32_e32 v12, v14, v12, vcc_lo
	v_cndmask_b32_e64 v9, v9, 0xffffff92, vcc_lo
	s_delay_alu instid0(VALU_DEP_3) | instskip(NEXT) | instid1(VALU_DEP_3)
	v_lshl_add_u32 v14, 0x200000, v13, -1
	v_lshrrev_b32_e32 v15, v13, v12
	v_lshlrev_b32_e64 v135, v13, 0x100000
	s_delay_alu instid0(VALU_DEP_4) | instskip(NEXT) | instid1(VALU_DEP_4)
	v_add_nc_u32_e32 v13, v13, v9
	v_and_b32_e32 v12, v14, v12
	s_delay_alu instid0(VALU_DEP_4) | instskip(NEXT) | instid1(VALU_DEP_2)
	v_bfe_u32 v134, v15, 21, 1
	v_cmp_eq_u32_e64 s13, v12, v135
	s_delay_alu instid0(VALU_DEP_2) | instskip(NEXT) | instid1(VALU_DEP_1)
	v_add_nc_u32_e32 v14, -1, v134
	v_cndmask_b32_e64 v12, 0, v14, s13
	v_lshrrev_b32_e32 v14, 23, v15
	s_mov_b32 s13, exec_lo
	s_delay_alu instid0(VALU_DEP_2) | instskip(NEXT) | instid1(VALU_DEP_2)
	v_add_nc_u32_e32 v12, v12, v15
	v_xor_b32_e32 v14, 1, v14
	s_delay_alu instid0(VALU_DEP_2) | instskip(NEXT) | instid1(VALU_DEP_1)
	v_and_b32_e32 v9, 0x1fffff, v12
	v_add_nc_u32_e32 v12, v9, v15
                                        ; implicit-def: $vgpr9
	s_delay_alu instid0(VALU_DEP_3)
	v_cmpx_ne_u32_e64 v13, v14
	s_xor_b32 s13, exec_lo, s13
; %bb.7881:                             ;   in Loop: Header=BB4_7553 Depth=3
	s_delay_alu instid0(VALU_DEP_2) | instskip(SKIP_2) | instid1(VALU_DEP_2)
	v_cmp_lt_u32_e32 vcc_lo, 0xffffff, v12
	v_sub_nc_u32_e32 v9, v13, v14
	v_cndmask_b32_e64 v13, 0, 1, vcc_lo
	v_add_co_ci_u32_e32 v9, vcc_lo, 0, v9, vcc_lo
	s_delay_alu instid0(VALU_DEP_2)
	v_lshrrev_b32_e32 v12, v13, v12
; %bb.7882:                             ;   in Loop: Header=BB4_7553 Depth=3
	s_and_not1_saveexec_b32 s13, s13
; %bb.7883:                             ;   in Loop: Header=BB4_7553 Depth=3
	s_delay_alu instid0(VALU_DEP_1)
	v_bfe_u32 v9, v12, 23, 1
; %bb.7884:                             ;   in Loop: Header=BB4_7553 Depth=3
	s_or_b32 exec_lo, exec_lo, s13
	v_lshrrev_b32_e32 v12, 21, v12
	s_delay_alu instid0(VALU_DEP_2) | instskip(SKIP_2) | instid1(VALU_DEP_4)
	v_cmp_gt_i32_e32 vcc_lo, 32, v9
	v_lshrrev_b32_e32 v8, 24, v8
	v_min_i32_e32 v13, 31, v9
	v_cndmask_b32_e32 v12, 3, v12, vcc_lo
	s_delay_alu instid0(VALU_DEP_3) | instskip(NEXT) | instid1(VALU_DEP_3)
	v_and_b32_e32 v8, 0x80, v8
	v_lshlrev_b32_e32 v13, 2, v13
	s_delay_alu instid0(VALU_DEP_3) | instskip(SKIP_1) | instid1(VALU_DEP_2)
	v_and_b32_e32 v14, 3, v12
	v_or_b32_e32 v9, v9, v12
	v_or3_b32 v8, v13, v8, v14
	s_delay_alu instid0(VALU_DEP_2) | instskip(NEXT) | instid1(VALU_DEP_2)
	v_cmp_ne_u32_e32 vcc_lo, 0, v9
	v_cndmask_b32_e32 v147, 0, v8, vcc_lo
.LBB4_7885:                             ;   in Loop: Header=BB4_7553 Depth=3
	s_or_b32 exec_lo, exec_lo, s31
.LBB4_7886:                             ;   in Loop: Header=BB4_7553 Depth=3
	s_delay_alu instid0(SALU_CYCLE_1) | instskip(SKIP_3) | instid1(VALU_DEP_1)
	s_or_b32 exec_lo, exec_lo, s30
	v_lshrrev_b32_e32 v8, 24, v10
	s_mov_b32 s13, 0
	s_mov_b32 s31, exec_lo
                                        ; implicit-def: $sgpr30
	v_cmpx_lt_i16_e32 0x7f, v8
	s_xor_b32 s31, exec_lo, s31
	s_cbranch_execnz .LBB4_8564
; %bb.7887:                             ;   in Loop: Header=BB4_7553 Depth=3
	s_or_saveexec_b32 s31, s31
	v_mov_b32_e32 v9, s30
	s_xor_b32 exec_lo, exec_lo, s31
	s_cbranch_execnz .LBB4_8567
.LBB4_7888:                             ;   in Loop: Header=BB4_7553 Depth=3
	s_or_b32 exec_lo, exec_lo, s31
	s_and_saveexec_b32 s30, s13
	s_cbranch_execz .LBB4_7890
.LBB4_7889:                             ;   in Loop: Header=BB4_7553 Depth=3
	v_bfe_u32 v9, v10, 24, 2
	s_delay_alu instid0(VALU_DEP_1) | instskip(NEXT) | instid1(VALU_DEP_1)
	v_clz_i32_u32_e32 v12, v9
	v_min_u32_e32 v12, 32, v12
	s_delay_alu instid0(VALU_DEP_1) | instskip(SKIP_1) | instid1(VALU_DEP_2)
	v_subrev_nc_u32_e32 v13, 29, v12
	v_sub_nc_u32_e32 v12, 30, v12
	v_lshlrev_b32_e32 v8, v13, v8
	v_bfe_u32 v13, v10, 26, 5
	s_delay_alu instid0(VALU_DEP_2) | instskip(NEXT) | instid1(VALU_DEP_2)
	v_and_b32_e32 v8, 3, v8
	v_cmp_eq_u32_e32 vcc_lo, 0, v13
	v_cndmask_b32_e32 v12, v13, v12, vcc_lo
	s_delay_alu instid0(VALU_DEP_3) | instskip(NEXT) | instid1(VALU_DEP_2)
	v_dual_cndmask_b32 v8, v9, v8 :: v_dual_and_b32 v9, 0x80000000, v10
	v_lshl_add_u32 v10, v12, 23, 0x37800000
	s_delay_alu instid0(VALU_DEP_2) | instskip(NEXT) | instid1(VALU_DEP_1)
	v_lshlrev_b32_e32 v8, 21, v8
	v_or3_b32 v9, v9, v10, v8
.LBB4_7890:                             ;   in Loop: Header=BB4_7553 Depth=3
	s_or_b32 exec_lo, exec_lo, s30
	s_delay_alu instid0(VALU_DEP_1) | instskip(SKIP_2) | instid1(VALU_DEP_2)
	v_mul_f32_e32 v8, s17, v9
	v_mov_b32_e32 v144, 0x80
	s_mov_b32 s30, exec_lo
	v_and_b32_e32 v9, 0x7f800000, v8
	s_delay_alu instid0(VALU_DEP_1)
	v_cmpx_ne_u32_e32 0x7f800000, v9
	s_cbranch_execz .LBB4_7898
; %bb.7891:                             ;   in Loop: Header=BB4_7553 Depth=3
	v_mov_b32_e32 v144, 0
	s_mov_b32 s31, exec_lo
	v_cmpx_ne_u32_e32 0, v8
	s_cbranch_execz .LBB4_7897
; %bb.7892:                             ;   in Loop: Header=BB4_7553 Depth=3
	v_bfe_u32 v9, v8, 23, 8
	v_and_b32_e32 v10, 0x7fffff, v8
	s_delay_alu instid0(VALU_DEP_2) | instskip(SKIP_1) | instid1(VALU_DEP_3)
	v_sub_nc_u32_e32 v12, 0x70, v9
	v_cmp_gt_u32_e32 vcc_lo, 0x71, v9
	v_or_b32_e32 v13, 0x800000, v10
	s_delay_alu instid0(VALU_DEP_3) | instskip(SKIP_2) | instid1(VALU_DEP_3)
	v_cndmask_b32_e32 v12, 0, v12, vcc_lo
	v_cmp_eq_u32_e32 vcc_lo, 0, v9
	v_add_nc_u32_e32 v9, 0xffffff91, v9
	v_cndmask_b32_e64 v12, v12, 0x6f, vcc_lo
	v_cndmask_b32_e32 v10, v13, v10, vcc_lo
	s_delay_alu instid0(VALU_DEP_3) | instskip(NEXT) | instid1(VALU_DEP_3)
	v_cndmask_b32_e64 v9, v9, 0xffffff92, vcc_lo
	v_lshl_add_u32 v13, 0x200000, v12, -1
	s_delay_alu instid0(VALU_DEP_3) | instskip(SKIP_1) | instid1(VALU_DEP_4)
	v_lshrrev_b32_e32 v14, v12, v10
	v_lshlrev_b32_e64 v134, v12, 0x100000
	v_add_nc_u32_e32 v12, v12, v9
	s_delay_alu instid0(VALU_DEP_4) | instskip(NEXT) | instid1(VALU_DEP_4)
	v_and_b32_e32 v10, v13, v10
	v_bfe_u32 v15, v14, 21, 1
	s_delay_alu instid0(VALU_DEP_2) | instskip(NEXT) | instid1(VALU_DEP_2)
	v_cmp_eq_u32_e64 s13, v10, v134
	v_add_nc_u32_e32 v13, -1, v15
	s_delay_alu instid0(VALU_DEP_1) | instskip(SKIP_2) | instid1(VALU_DEP_2)
	v_cndmask_b32_e64 v10, 0, v13, s13
	v_lshrrev_b32_e32 v13, 23, v14
	s_mov_b32 s13, exec_lo
	v_add_nc_u32_e32 v10, v10, v14
	s_delay_alu instid0(VALU_DEP_2) | instskip(NEXT) | instid1(VALU_DEP_2)
	v_xor_b32_e32 v13, 1, v13
	v_and_b32_e32 v9, 0x1fffff, v10
	s_delay_alu instid0(VALU_DEP_1) | instskip(NEXT) | instid1(VALU_DEP_3)
	v_add_nc_u32_e32 v10, v9, v14
                                        ; implicit-def: $vgpr9
	v_cmpx_ne_u32_e64 v12, v13
	s_xor_b32 s13, exec_lo, s13
; %bb.7893:                             ;   in Loop: Header=BB4_7553 Depth=3
	s_delay_alu instid0(VALU_DEP_2) | instskip(SKIP_2) | instid1(VALU_DEP_2)
	v_cmp_lt_u32_e32 vcc_lo, 0xffffff, v10
	v_sub_nc_u32_e32 v9, v12, v13
	v_cndmask_b32_e64 v12, 0, 1, vcc_lo
	v_add_co_ci_u32_e32 v9, vcc_lo, 0, v9, vcc_lo
	s_delay_alu instid0(VALU_DEP_2)
	v_lshrrev_b32_e32 v10, v12, v10
; %bb.7894:                             ;   in Loop: Header=BB4_7553 Depth=3
	s_and_not1_saveexec_b32 s13, s13
; %bb.7895:                             ;   in Loop: Header=BB4_7553 Depth=3
	s_delay_alu instid0(VALU_DEP_1)
	v_bfe_u32 v9, v10, 23, 1
; %bb.7896:                             ;   in Loop: Header=BB4_7553 Depth=3
	s_or_b32 exec_lo, exec_lo, s13
	v_lshrrev_b32_e32 v10, 21, v10
	s_delay_alu instid0(VALU_DEP_2) | instskip(SKIP_2) | instid1(VALU_DEP_4)
	v_cmp_gt_i32_e32 vcc_lo, 32, v9
	v_lshrrev_b32_e32 v8, 24, v8
	v_min_i32_e32 v12, 31, v9
	v_cndmask_b32_e32 v10, 3, v10, vcc_lo
	s_delay_alu instid0(VALU_DEP_3) | instskip(NEXT) | instid1(VALU_DEP_3)
	v_and_b32_e32 v8, 0x80, v8
	v_lshlrev_b32_e32 v12, 2, v12
	s_delay_alu instid0(VALU_DEP_3) | instskip(NEXT) | instid1(VALU_DEP_1)
	v_or_b32_e32 v9, v9, v10
	v_cmp_ne_u32_e32 vcc_lo, 0, v9
	v_and_b32_e32 v13, 3, v10
	s_delay_alu instid0(VALU_DEP_1) | instskip(NEXT) | instid1(VALU_DEP_1)
	v_or3_b32 v8, v12, v8, v13
	v_cndmask_b32_e32 v144, 0, v8, vcc_lo
.LBB4_7897:                             ;   in Loop: Header=BB4_7553 Depth=3
	s_or_b32 exec_lo, exec_lo, s31
.LBB4_7898:                             ;   in Loop: Header=BB4_7553 Depth=3
	s_delay_alu instid0(SALU_CYCLE_1) | instskip(SKIP_3) | instid1(VALU_DEP_1)
	s_or_b32 exec_lo, exec_lo, s30
	v_and_b32_e32 v9, 0xff, v11
	s_mov_b32 s13, 0
	s_mov_b32 s31, exec_lo
                                        ; implicit-def: $sgpr30
	v_cmpx_lt_i16_e32 0x7f, v9
	s_xor_b32 s31, exec_lo, s31
	s_cbranch_execnz .LBB4_8568
; %bb.7899:                             ;   in Loop: Header=BB4_7553 Depth=3
	s_or_saveexec_b32 s31, s31
	v_mov_b32_e32 v8, s30
	s_xor_b32 exec_lo, exec_lo, s31
	s_cbranch_execnz .LBB4_8571
.LBB4_7900:                             ;   in Loop: Header=BB4_7553 Depth=3
	s_or_b32 exec_lo, exec_lo, s31
	s_and_saveexec_b32 s30, s13
	s_cbranch_execz .LBB4_7902
.LBB4_7901:                             ;   in Loop: Header=BB4_7553 Depth=3
	v_bfe_u32 v12, v11, 2, 5
	s_delay_alu instid0(VALU_DEP_1) | instskip(SKIP_1) | instid1(VALU_DEP_1)
	v_cmp_eq_u32_e32 vcc_lo, 0, v12
	v_and_b32_e32 v8, 3, v11
	v_clz_i32_u32_e32 v9, v8
	s_delay_alu instid0(VALU_DEP_1) | instskip(NEXT) | instid1(VALU_DEP_1)
	v_min_u32_e32 v9, 32, v9
	v_subrev_nc_u32_e32 v10, 29, v9
	v_sub_nc_u32_e32 v9, 30, v9
	s_delay_alu instid0(VALU_DEP_1) | instskip(NEXT) | instid1(VALU_DEP_1)
	v_dual_cndmask_b32 v9, v12, v9 :: v_dual_lshlrev_b32 v10, v10, v11
	v_and_b32_e32 v10, 3, v10
	v_lshlrev_b32_e32 v13, 24, v11
	s_delay_alu instid0(VALU_DEP_3) | instskip(NEXT) | instid1(VALU_DEP_3)
	v_lshl_add_u32 v9, v9, 23, 0x37800000
	v_cndmask_b32_e32 v8, v8, v10, vcc_lo
	s_delay_alu instid0(VALU_DEP_3) | instskip(NEXT) | instid1(VALU_DEP_2)
	v_and_b32_e32 v10, 0x80000000, v13
	v_lshlrev_b32_e32 v8, 21, v8
	s_delay_alu instid0(VALU_DEP_1)
	v_or3_b32 v8, v10, v9, v8
.LBB4_7902:                             ;   in Loop: Header=BB4_7553 Depth=3
	s_or_b32 exec_lo, exec_lo, s30
	s_delay_alu instid0(VALU_DEP_1) | instskip(SKIP_1) | instid1(VALU_DEP_1)
	v_dual_mul_f32 v8, s17, v8 :: v_dual_mov_b32 v135, 0x80
	s_mov_b32 s30, exec_lo
	v_and_b32_e32 v9, 0x7f800000, v8
	s_delay_alu instid0(VALU_DEP_1)
	v_cmpx_ne_u32_e32 0x7f800000, v9
	s_cbranch_execz .LBB4_7910
; %bb.7903:                             ;   in Loop: Header=BB4_7553 Depth=3
	v_mov_b32_e32 v135, 0
	s_mov_b32 s31, exec_lo
	v_cmpx_ne_u32_e32 0, v8
	s_cbranch_execz .LBB4_7909
; %bb.7904:                             ;   in Loop: Header=BB4_7553 Depth=3
	v_bfe_u32 v9, v8, 23, 8
	v_and_b32_e32 v10, 0x7fffff, v8
	s_delay_alu instid0(VALU_DEP_2) | instskip(SKIP_1) | instid1(VALU_DEP_3)
	v_sub_nc_u32_e32 v12, 0x70, v9
	v_cmp_gt_u32_e32 vcc_lo, 0x71, v9
	v_or_b32_e32 v13, 0x800000, v10
	s_delay_alu instid0(VALU_DEP_3) | instskip(SKIP_2) | instid1(VALU_DEP_3)
	v_cndmask_b32_e32 v12, 0, v12, vcc_lo
	v_cmp_eq_u32_e32 vcc_lo, 0, v9
	v_add_nc_u32_e32 v9, 0xffffff91, v9
	v_cndmask_b32_e64 v12, v12, 0x6f, vcc_lo
	v_cndmask_b32_e32 v10, v13, v10, vcc_lo
	s_delay_alu instid0(VALU_DEP_3) | instskip(NEXT) | instid1(VALU_DEP_3)
	v_cndmask_b32_e64 v9, v9, 0xffffff92, vcc_lo
	v_lshl_add_u32 v13, 0x200000, v12, -1
	s_delay_alu instid0(VALU_DEP_3) | instskip(SKIP_1) | instid1(VALU_DEP_4)
	v_lshrrev_b32_e32 v14, v12, v10
	v_lshlrev_b32_e64 v134, v12, 0x100000
	v_add_nc_u32_e32 v12, v12, v9
	s_delay_alu instid0(VALU_DEP_4) | instskip(NEXT) | instid1(VALU_DEP_4)
	v_and_b32_e32 v10, v13, v10
	v_bfe_u32 v15, v14, 21, 1
	s_delay_alu instid0(VALU_DEP_2) | instskip(NEXT) | instid1(VALU_DEP_2)
	v_cmp_eq_u32_e64 s13, v10, v134
	v_add_nc_u32_e32 v13, -1, v15
	s_delay_alu instid0(VALU_DEP_1) | instskip(SKIP_2) | instid1(VALU_DEP_2)
	v_cndmask_b32_e64 v10, 0, v13, s13
	v_lshrrev_b32_e32 v13, 23, v14
	s_mov_b32 s13, exec_lo
	v_add_nc_u32_e32 v10, v10, v14
	s_delay_alu instid0(VALU_DEP_2) | instskip(NEXT) | instid1(VALU_DEP_2)
	v_xor_b32_e32 v13, 1, v13
	v_and_b32_e32 v9, 0x1fffff, v10
	s_delay_alu instid0(VALU_DEP_1) | instskip(NEXT) | instid1(VALU_DEP_3)
	v_add_nc_u32_e32 v10, v9, v14
                                        ; implicit-def: $vgpr9
	v_cmpx_ne_u32_e64 v12, v13
	s_xor_b32 s13, exec_lo, s13
; %bb.7905:                             ;   in Loop: Header=BB4_7553 Depth=3
	s_delay_alu instid0(VALU_DEP_2) | instskip(SKIP_2) | instid1(VALU_DEP_2)
	v_cmp_lt_u32_e32 vcc_lo, 0xffffff, v10
	v_sub_nc_u32_e32 v9, v12, v13
	v_cndmask_b32_e64 v12, 0, 1, vcc_lo
	v_add_co_ci_u32_e32 v9, vcc_lo, 0, v9, vcc_lo
	s_delay_alu instid0(VALU_DEP_2)
	v_lshrrev_b32_e32 v10, v12, v10
; %bb.7906:                             ;   in Loop: Header=BB4_7553 Depth=3
	s_and_not1_saveexec_b32 s13, s13
; %bb.7907:                             ;   in Loop: Header=BB4_7553 Depth=3
	s_delay_alu instid0(VALU_DEP_1)
	v_bfe_u32 v9, v10, 23, 1
; %bb.7908:                             ;   in Loop: Header=BB4_7553 Depth=3
	s_or_b32 exec_lo, exec_lo, s13
	v_lshrrev_b32_e32 v10, 21, v10
	s_delay_alu instid0(VALU_DEP_2) | instskip(SKIP_2) | instid1(VALU_DEP_3)
	v_min_i32_e32 v12, 31, v9
	v_cmp_gt_i32_e32 vcc_lo, 32, v9
	v_lshrrev_b32_e32 v8, 24, v8
	v_lshlrev_b32_e32 v12, 2, v12
	v_cndmask_b32_e32 v10, 3, v10, vcc_lo
	s_delay_alu instid0(VALU_DEP_3) | instskip(NEXT) | instid1(VALU_DEP_3)
	v_and_b32_e32 v8, 0x80, v8
	v_and_b32_e32 v12, 0xfc, v12
	s_delay_alu instid0(VALU_DEP_3) | instskip(SKIP_1) | instid1(VALU_DEP_2)
	v_and_b32_e32 v13, 3, v10
	v_or_b32_e32 v9, v9, v10
	v_or3_b32 v8, v12, v8, v13
	s_delay_alu instid0(VALU_DEP_2) | instskip(NEXT) | instid1(VALU_DEP_2)
	v_cmp_ne_u32_e32 vcc_lo, 0, v9
	v_cndmask_b32_e32 v135, 0, v8, vcc_lo
.LBB4_7909:                             ;   in Loop: Header=BB4_7553 Depth=3
	s_or_b32 exec_lo, exec_lo, s31
.LBB4_7910:                             ;   in Loop: Header=BB4_7553 Depth=3
	s_delay_alu instid0(SALU_CYCLE_1) | instskip(SKIP_3) | instid1(VALU_DEP_1)
	s_or_b32 exec_lo, exec_lo, s30
	v_lshrrev_b16 v8, 8, v11
	s_mov_b32 s13, 0
	s_mov_b32 s31, exec_lo
                                        ; implicit-def: $sgpr30
	v_cmpx_lt_i16_e32 0x7f, v8
	s_xor_b32 s31, exec_lo, s31
	s_cbranch_execnz .LBB4_8572
; %bb.7911:                             ;   in Loop: Header=BB4_7553 Depth=3
	s_or_saveexec_b32 s31, s31
	v_mov_b32_e32 v9, s30
	s_xor_b32 exec_lo, exec_lo, s31
	s_cbranch_execnz .LBB4_8575
.LBB4_7912:                             ;   in Loop: Header=BB4_7553 Depth=3
	s_or_b32 exec_lo, exec_lo, s31
	s_and_saveexec_b32 s30, s13
	s_cbranch_execz .LBB4_7914
.LBB4_7913:                             ;   in Loop: Header=BB4_7553 Depth=3
	v_and_b32_e32 v9, 0xffff, v8
	v_lshlrev_b32_e32 v8, 24, v8
	s_delay_alu instid0(VALU_DEP_2) | instskip(NEXT) | instid1(VALU_DEP_2)
	v_and_b32_e32 v10, 3, v9
	v_and_b32_e32 v8, 0x80000000, v8
	s_delay_alu instid0(VALU_DEP_2) | instskip(NEXT) | instid1(VALU_DEP_1)
	v_clz_i32_u32_e32 v12, v10
	v_min_u32_e32 v12, 32, v12
	s_delay_alu instid0(VALU_DEP_1) | instskip(SKIP_1) | instid1(VALU_DEP_2)
	v_subrev_nc_u32_e32 v13, 29, v12
	v_sub_nc_u32_e32 v12, 30, v12
	v_lshlrev_b32_e32 v13, v13, v9
	v_bfe_u32 v9, v9, 2, 5
	s_delay_alu instid0(VALU_DEP_2) | instskip(NEXT) | instid1(VALU_DEP_2)
	v_and_b32_e32 v13, 3, v13
	v_cmp_eq_u32_e32 vcc_lo, 0, v9
	s_delay_alu instid0(VALU_DEP_2) | instskip(NEXT) | instid1(VALU_DEP_1)
	v_dual_cndmask_b32 v9, v9, v12 :: v_dual_cndmask_b32 v10, v10, v13
	v_lshl_add_u32 v9, v9, 23, 0x37800000
	s_delay_alu instid0(VALU_DEP_2) | instskip(NEXT) | instid1(VALU_DEP_1)
	v_lshlrev_b32_e32 v10, 21, v10
	v_or3_b32 v9, v8, v9, v10
.LBB4_7914:                             ;   in Loop: Header=BB4_7553 Depth=3
	s_or_b32 exec_lo, exec_lo, s30
	s_delay_alu instid0(VALU_DEP_1) | instskip(SKIP_1) | instid1(VALU_DEP_1)
	v_dual_mul_f32 v8, s17, v9 :: v_dual_mov_b32 v149, 0x8000
	s_mov_b32 s30, exec_lo
	v_and_b32_e32 v9, 0x7f800000, v8
	s_delay_alu instid0(VALU_DEP_1)
	v_cmpx_ne_u32_e32 0x7f800000, v9
	s_cbranch_execz .LBB4_7922
; %bb.7915:                             ;   in Loop: Header=BB4_7553 Depth=3
	v_mov_b32_e32 v149, 0
	s_mov_b32 s31, exec_lo
	v_cmpx_ne_u32_e32 0, v8
	s_cbranch_execz .LBB4_7921
; %bb.7916:                             ;   in Loop: Header=BB4_7553 Depth=3
	v_bfe_u32 v9, v8, 23, 8
	v_and_b32_e32 v10, 0x7fffff, v8
	s_delay_alu instid0(VALU_DEP_2) | instskip(SKIP_1) | instid1(VALU_DEP_3)
	v_sub_nc_u32_e32 v12, 0x70, v9
	v_cmp_gt_u32_e32 vcc_lo, 0x71, v9
	v_or_b32_e32 v13, 0x800000, v10
	s_delay_alu instid0(VALU_DEP_3) | instskip(SKIP_2) | instid1(VALU_DEP_3)
	v_cndmask_b32_e32 v12, 0, v12, vcc_lo
	v_cmp_eq_u32_e32 vcc_lo, 0, v9
	v_add_nc_u32_e32 v9, 0xffffff91, v9
	v_cndmask_b32_e64 v12, v12, 0x6f, vcc_lo
	v_cndmask_b32_e32 v10, v13, v10, vcc_lo
	s_delay_alu instid0(VALU_DEP_3) | instskip(NEXT) | instid1(VALU_DEP_3)
	v_cndmask_b32_e64 v9, v9, 0xffffff92, vcc_lo
	v_lshl_add_u32 v13, 0x200000, v12, -1
	s_delay_alu instid0(VALU_DEP_3) | instskip(SKIP_1) | instid1(VALU_DEP_4)
	v_lshrrev_b32_e32 v14, v12, v10
	v_lshlrev_b32_e64 v134, v12, 0x100000
	v_add_nc_u32_e32 v12, v12, v9
	s_delay_alu instid0(VALU_DEP_4) | instskip(NEXT) | instid1(VALU_DEP_4)
	v_and_b32_e32 v10, v13, v10
	v_bfe_u32 v15, v14, 21, 1
	s_delay_alu instid0(VALU_DEP_2) | instskip(NEXT) | instid1(VALU_DEP_2)
	v_cmp_eq_u32_e64 s13, v10, v134
	v_add_nc_u32_e32 v13, -1, v15
	s_delay_alu instid0(VALU_DEP_1) | instskip(SKIP_2) | instid1(VALU_DEP_2)
	v_cndmask_b32_e64 v10, 0, v13, s13
	v_lshrrev_b32_e32 v13, 23, v14
	s_mov_b32 s13, exec_lo
	v_add_nc_u32_e32 v10, v10, v14
	s_delay_alu instid0(VALU_DEP_2) | instskip(NEXT) | instid1(VALU_DEP_2)
	v_xor_b32_e32 v13, 1, v13
	v_and_b32_e32 v9, 0x1fffff, v10
	s_delay_alu instid0(VALU_DEP_1) | instskip(NEXT) | instid1(VALU_DEP_3)
	v_add_nc_u32_e32 v10, v9, v14
                                        ; implicit-def: $vgpr9
	v_cmpx_ne_u32_e64 v12, v13
	s_xor_b32 s13, exec_lo, s13
; %bb.7917:                             ;   in Loop: Header=BB4_7553 Depth=3
	s_delay_alu instid0(VALU_DEP_2) | instskip(SKIP_2) | instid1(VALU_DEP_2)
	v_cmp_lt_u32_e32 vcc_lo, 0xffffff, v10
	v_sub_nc_u32_e32 v9, v12, v13
	v_cndmask_b32_e64 v12, 0, 1, vcc_lo
	v_add_co_ci_u32_e32 v9, vcc_lo, 0, v9, vcc_lo
	s_delay_alu instid0(VALU_DEP_2)
	v_lshrrev_b32_e32 v10, v12, v10
; %bb.7918:                             ;   in Loop: Header=BB4_7553 Depth=3
	s_and_not1_saveexec_b32 s13, s13
; %bb.7919:                             ;   in Loop: Header=BB4_7553 Depth=3
	s_delay_alu instid0(VALU_DEP_1)
	v_bfe_u32 v9, v10, 23, 1
; %bb.7920:                             ;   in Loop: Header=BB4_7553 Depth=3
	s_or_b32 exec_lo, exec_lo, s13
	v_lshrrev_b32_e32 v10, 21, v10
	s_delay_alu instid0(VALU_DEP_2) | instskip(SKIP_2) | instid1(VALU_DEP_3)
	v_min_i32_e32 v12, 31, v9
	v_cmp_gt_i32_e32 vcc_lo, 32, v9
	v_lshrrev_b32_e32 v8, 24, v8
	v_lshlrev_b32_e32 v12, 2, v12
	v_cndmask_b32_e32 v10, 3, v10, vcc_lo
	s_delay_alu instid0(VALU_DEP_3) | instskip(NEXT) | instid1(VALU_DEP_3)
	v_and_b32_e32 v8, 0x80, v8
	v_and_b32_e32 v12, 0xfc, v12
	s_delay_alu instid0(VALU_DEP_3) | instskip(SKIP_1) | instid1(VALU_DEP_2)
	v_and_b32_e32 v13, 3, v10
	v_or_b32_e32 v9, v9, v10
	v_or3_b32 v8, v8, v12, v13
	s_delay_alu instid0(VALU_DEP_2) | instskip(NEXT) | instid1(VALU_DEP_2)
	v_cmp_ne_u32_e32 vcc_lo, 0, v9
	v_lshlrev_b32_e32 v8, 8, v8
	s_delay_alu instid0(VALU_DEP_1)
	v_cndmask_b32_e32 v149, 0, v8, vcc_lo
.LBB4_7921:                             ;   in Loop: Header=BB4_7553 Depth=3
	s_or_b32 exec_lo, exec_lo, s31
.LBB4_7922:                             ;   in Loop: Header=BB4_7553 Depth=3
	s_delay_alu instid0(SALU_CYCLE_1) | instskip(SKIP_3) | instid1(VALU_DEP_1)
	s_or_b32 exec_lo, exec_lo, s30
	v_lshrrev_b32_e32 v8, 16, v11
	s_mov_b32 s13, 0
	s_mov_b32 s31, exec_lo
                                        ; implicit-def: $sgpr30
	v_and_b32_e32 v10, 0xff, v8
	s_delay_alu instid0(VALU_DEP_1)
	v_cmpx_lt_i16_e32 0x7f, v10
	s_xor_b32 s31, exec_lo, s31
	s_cbranch_execnz .LBB4_8576
; %bb.7923:                             ;   in Loop: Header=BB4_7553 Depth=3
	s_or_saveexec_b32 s31, s31
	v_mov_b32_e32 v9, s30
	s_xor_b32 exec_lo, exec_lo, s31
	s_cbranch_execnz .LBB4_8579
.LBB4_7924:                             ;   in Loop: Header=BB4_7553 Depth=3
	s_or_b32 exec_lo, exec_lo, s31
	s_and_saveexec_b32 s30, s13
	s_cbranch_execz .LBB4_7926
.LBB4_7925:                             ;   in Loop: Header=BB4_7553 Depth=3
	v_bfe_u32 v9, v11, 16, 2
	s_delay_alu instid0(VALU_DEP_1) | instskip(NEXT) | instid1(VALU_DEP_1)
	v_clz_i32_u32_e32 v10, v9
	v_min_u32_e32 v10, 32, v10
	s_delay_alu instid0(VALU_DEP_1) | instskip(SKIP_1) | instid1(VALU_DEP_2)
	v_subrev_nc_u32_e32 v12, 29, v10
	v_sub_nc_u32_e32 v10, 30, v10
	v_lshlrev_b32_e32 v8, v12, v8
	v_bfe_u32 v12, v11, 18, 5
	s_delay_alu instid0(VALU_DEP_2) | instskip(NEXT) | instid1(VALU_DEP_2)
	v_and_b32_e32 v8, 3, v8
	v_cmp_eq_u32_e32 vcc_lo, 0, v12
	v_dual_cndmask_b32 v10, v12, v10 :: v_dual_lshlrev_b32 v13, 8, v11
	s_delay_alu instid0(VALU_DEP_1) | instskip(NEXT) | instid1(VALU_DEP_2)
	v_dual_cndmask_b32 v8, v9, v8 :: v_dual_and_b32 v9, 0x80000000, v13
	v_lshl_add_u32 v10, v10, 23, 0x37800000
	s_delay_alu instid0(VALU_DEP_2) | instskip(NEXT) | instid1(VALU_DEP_1)
	v_lshlrev_b32_e32 v8, 21, v8
	v_or3_b32 v9, v9, v10, v8
.LBB4_7926:                             ;   in Loop: Header=BB4_7553 Depth=3
	s_or_b32 exec_lo, exec_lo, s30
	s_delay_alu instid0(VALU_DEP_1) | instskip(SKIP_2) | instid1(VALU_DEP_2)
	v_mul_f32_e32 v8, s17, v9
	v_mov_b32_e32 v134, 0x80
	s_mov_b32 s30, exec_lo
	v_and_b32_e32 v9, 0x7f800000, v8
	s_delay_alu instid0(VALU_DEP_1)
	v_cmpx_ne_u32_e32 0x7f800000, v9
	s_cbranch_execz .LBB4_7934
; %bb.7927:                             ;   in Loop: Header=BB4_7553 Depth=3
	v_mov_b32_e32 v134, 0
	s_mov_b32 s31, exec_lo
	v_cmpx_ne_u32_e32 0, v8
	s_cbranch_execz .LBB4_7933
; %bb.7928:                             ;   in Loop: Header=BB4_7553 Depth=3
	v_bfe_u32 v9, v8, 23, 8
	v_and_b32_e32 v10, 0x7fffff, v8
	s_delay_alu instid0(VALU_DEP_2) | instskip(SKIP_1) | instid1(VALU_DEP_3)
	v_sub_nc_u32_e32 v12, 0x70, v9
	v_cmp_gt_u32_e32 vcc_lo, 0x71, v9
	v_or_b32_e32 v13, 0x800000, v10
	s_delay_alu instid0(VALU_DEP_3) | instskip(SKIP_2) | instid1(VALU_DEP_3)
	v_cndmask_b32_e32 v12, 0, v12, vcc_lo
	v_cmp_eq_u32_e32 vcc_lo, 0, v9
	v_add_nc_u32_e32 v9, 0xffffff91, v9
	v_cndmask_b32_e64 v12, v12, 0x6f, vcc_lo
	v_cndmask_b32_e32 v10, v13, v10, vcc_lo
	s_delay_alu instid0(VALU_DEP_3) | instskip(NEXT) | instid1(VALU_DEP_3)
	v_cndmask_b32_e64 v9, v9, 0xffffff92, vcc_lo
	v_lshl_add_u32 v13, 0x200000, v12, -1
	s_delay_alu instid0(VALU_DEP_3) | instskip(SKIP_1) | instid1(VALU_DEP_4)
	v_lshrrev_b32_e32 v14, v12, v10
	v_lshlrev_b32_e64 v134, v12, 0x100000
	v_add_nc_u32_e32 v12, v12, v9
	s_delay_alu instid0(VALU_DEP_4) | instskip(NEXT) | instid1(VALU_DEP_4)
	v_and_b32_e32 v10, v13, v10
	v_bfe_u32 v15, v14, 21, 1
	s_delay_alu instid0(VALU_DEP_2) | instskip(NEXT) | instid1(VALU_DEP_2)
	v_cmp_eq_u32_e64 s13, v10, v134
	v_add_nc_u32_e32 v13, -1, v15
	s_delay_alu instid0(VALU_DEP_1) | instskip(SKIP_2) | instid1(VALU_DEP_2)
	v_cndmask_b32_e64 v10, 0, v13, s13
	v_lshrrev_b32_e32 v13, 23, v14
	s_mov_b32 s13, exec_lo
	v_add_nc_u32_e32 v10, v10, v14
	s_delay_alu instid0(VALU_DEP_2) | instskip(NEXT) | instid1(VALU_DEP_2)
	v_xor_b32_e32 v13, 1, v13
	v_and_b32_e32 v9, 0x1fffff, v10
	s_delay_alu instid0(VALU_DEP_1) | instskip(NEXT) | instid1(VALU_DEP_3)
	v_add_nc_u32_e32 v10, v9, v14
                                        ; implicit-def: $vgpr9
	v_cmpx_ne_u32_e64 v12, v13
	s_xor_b32 s13, exec_lo, s13
; %bb.7929:                             ;   in Loop: Header=BB4_7553 Depth=3
	s_delay_alu instid0(VALU_DEP_2) | instskip(SKIP_2) | instid1(VALU_DEP_2)
	v_cmp_lt_u32_e32 vcc_lo, 0xffffff, v10
	v_sub_nc_u32_e32 v9, v12, v13
	v_cndmask_b32_e64 v12, 0, 1, vcc_lo
	v_add_co_ci_u32_e32 v9, vcc_lo, 0, v9, vcc_lo
	s_delay_alu instid0(VALU_DEP_2)
	v_lshrrev_b32_e32 v10, v12, v10
; %bb.7930:                             ;   in Loop: Header=BB4_7553 Depth=3
	s_and_not1_saveexec_b32 s13, s13
; %bb.7931:                             ;   in Loop: Header=BB4_7553 Depth=3
	s_delay_alu instid0(VALU_DEP_1)
	v_bfe_u32 v9, v10, 23, 1
; %bb.7932:                             ;   in Loop: Header=BB4_7553 Depth=3
	s_or_b32 exec_lo, exec_lo, s13
	v_lshrrev_b32_e32 v10, 21, v10
	s_delay_alu instid0(VALU_DEP_2) | instskip(SKIP_2) | instid1(VALU_DEP_4)
	v_cmp_gt_i32_e32 vcc_lo, 32, v9
	v_min_i32_e32 v12, 31, v9
	v_lshrrev_b32_e32 v8, 24, v8
	v_cndmask_b32_e32 v10, 3, v10, vcc_lo
	s_delay_alu instid0(VALU_DEP_3) | instskip(NEXT) | instid1(VALU_DEP_3)
	v_lshlrev_b32_e32 v12, 2, v12
	v_and_b32_e32 v8, 0x80, v8
	s_delay_alu instid0(VALU_DEP_3) | instskip(NEXT) | instid1(VALU_DEP_3)
	v_or_b32_e32 v9, v9, v10
	v_and_b32_e32 v12, 0xfc, v12
	s_delay_alu instid0(VALU_DEP_2) | instskip(SKIP_1) | instid1(VALU_DEP_1)
	v_cmp_ne_u32_e32 vcc_lo, 0, v9
	v_and_b32_e32 v13, 3, v10
	v_or3_b32 v8, v12, v8, v13
	s_delay_alu instid0(VALU_DEP_1)
	v_cndmask_b32_e32 v134, 0, v8, vcc_lo
.LBB4_7933:                             ;   in Loop: Header=BB4_7553 Depth=3
	s_or_b32 exec_lo, exec_lo, s31
.LBB4_7934:                             ;   in Loop: Header=BB4_7553 Depth=3
	s_delay_alu instid0(SALU_CYCLE_1) | instskip(SKIP_3) | instid1(VALU_DEP_1)
	s_or_b32 exec_lo, exec_lo, s30
	v_lshrrev_b32_e32 v8, 24, v11
	s_mov_b32 s13, 0
	s_mov_b32 s31, exec_lo
                                        ; implicit-def: $sgpr30
	v_cmpx_lt_i16_e32 0x7f, v8
	s_xor_b32 s31, exec_lo, s31
	s_cbranch_execnz .LBB4_8580
; %bb.7935:                             ;   in Loop: Header=BB4_7553 Depth=3
	s_or_saveexec_b32 s31, s31
	v_mov_b32_e32 v9, s30
	s_xor_b32 exec_lo, exec_lo, s31
	s_cbranch_execnz .LBB4_8583
.LBB4_7936:                             ;   in Loop: Header=BB4_7553 Depth=3
	s_or_b32 exec_lo, exec_lo, s31
	s_and_saveexec_b32 s30, s13
	s_cbranch_execz .LBB4_7938
.LBB4_7937:                             ;   in Loop: Header=BB4_7553 Depth=3
	v_bfe_u32 v9, v11, 24, 2
	s_delay_alu instid0(VALU_DEP_1) | instskip(NEXT) | instid1(VALU_DEP_1)
	v_clz_i32_u32_e32 v10, v9
	v_min_u32_e32 v10, 32, v10
	s_delay_alu instid0(VALU_DEP_1) | instskip(SKIP_1) | instid1(VALU_DEP_2)
	v_subrev_nc_u32_e32 v12, 29, v10
	v_sub_nc_u32_e32 v10, 30, v10
	v_lshlrev_b32_e32 v8, v12, v8
	v_bfe_u32 v12, v11, 26, 5
	s_delay_alu instid0(VALU_DEP_2) | instskip(NEXT) | instid1(VALU_DEP_2)
	v_and_b32_e32 v8, 3, v8
	v_cmp_eq_u32_e32 vcc_lo, 0, v12
	v_cndmask_b32_e32 v10, v12, v10, vcc_lo
	s_delay_alu instid0(VALU_DEP_3) | instskip(NEXT) | instid1(VALU_DEP_2)
	v_dual_cndmask_b32 v8, v9, v8 :: v_dual_and_b32 v9, 0x80000000, v11
	v_lshl_add_u32 v10, v10, 23, 0x37800000
	s_delay_alu instid0(VALU_DEP_2) | instskip(NEXT) | instid1(VALU_DEP_1)
	v_lshlrev_b32_e32 v8, 21, v8
	v_or3_b32 v9, v9, v10, v8
.LBB4_7938:                             ;   in Loop: Header=BB4_7553 Depth=3
	s_or_b32 exec_lo, exec_lo, s30
	s_delay_alu instid0(VALU_DEP_1) | instskip(SKIP_2) | instid1(VALU_DEP_2)
	v_mul_f32_e32 v8, s17, v9
	v_mov_b32_e32 v146, 0x8000
	s_mov_b32 s17, exec_lo
	v_and_b32_e32 v9, 0x7f800000, v8
	s_delay_alu instid0(VALU_DEP_1)
	v_cmpx_ne_u32_e32 0x7f800000, v9
	s_cbranch_execz .LBB4_7946
; %bb.7939:                             ;   in Loop: Header=BB4_7553 Depth=3
	v_mov_b32_e32 v146, 0
	s_mov_b32 s30, exec_lo
	v_cmpx_ne_u32_e32 0, v8
	s_cbranch_execz .LBB4_7945
; %bb.7940:                             ;   in Loop: Header=BB4_7553 Depth=3
	v_bfe_u32 v9, v8, 23, 8
	s_delay_alu instid0(VALU_DEP_1) | instskip(SKIP_1) | instid1(VALU_DEP_2)
	v_sub_nc_u32_e32 v11, 0x70, v9
	v_cmp_gt_u32_e32 vcc_lo, 0x71, v9
	v_dual_cndmask_b32 v11, 0, v11 :: v_dual_and_b32 v10, 0x7fffff, v8
	s_delay_alu instid0(VALU_DEP_1) | instskip(SKIP_2) | instid1(VALU_DEP_4)
	v_or_b32_e32 v12, 0x800000, v10
	v_cmp_eq_u32_e32 vcc_lo, 0, v9
	v_add_nc_u32_e32 v9, 0xffffff91, v9
	v_cndmask_b32_e64 v11, v11, 0x6f, vcc_lo
	s_delay_alu instid0(VALU_DEP_4) | instskip(NEXT) | instid1(VALU_DEP_3)
	v_cndmask_b32_e32 v10, v12, v10, vcc_lo
	v_cndmask_b32_e64 v9, v9, 0xffffff92, vcc_lo
	s_delay_alu instid0(VALU_DEP_3) | instskip(NEXT) | instid1(VALU_DEP_3)
	v_lshl_add_u32 v12, 0x200000, v11, -1
	v_lshrrev_b32_e32 v13, v11, v10
	v_lshlrev_b32_e64 v15, v11, 0x100000
	s_delay_alu instid0(VALU_DEP_4) | instskip(NEXT) | instid1(VALU_DEP_4)
	v_add_nc_u32_e32 v11, v11, v9
	v_and_b32_e32 v10, v12, v10
	s_delay_alu instid0(VALU_DEP_4) | instskip(NEXT) | instid1(VALU_DEP_2)
	v_bfe_u32 v14, v13, 21, 1
	v_cmp_eq_u32_e64 s13, v10, v15
	s_delay_alu instid0(VALU_DEP_2) | instskip(NEXT) | instid1(VALU_DEP_1)
	v_add_nc_u32_e32 v12, -1, v14
	v_cndmask_b32_e64 v10, 0, v12, s13
	v_lshrrev_b32_e32 v12, 23, v13
	s_mov_b32 s13, exec_lo
	s_delay_alu instid0(VALU_DEP_2) | instskip(NEXT) | instid1(VALU_DEP_2)
	v_add_nc_u32_e32 v10, v10, v13
	v_xor_b32_e32 v12, 1, v12
	s_delay_alu instid0(VALU_DEP_2) | instskip(NEXT) | instid1(VALU_DEP_1)
	v_and_b32_e32 v9, 0x1fffff, v10
	v_add_nc_u32_e32 v10, v9, v13
                                        ; implicit-def: $vgpr9
	s_delay_alu instid0(VALU_DEP_3)
	v_cmpx_ne_u32_e64 v11, v12
	s_xor_b32 s13, exec_lo, s13
; %bb.7941:                             ;   in Loop: Header=BB4_7553 Depth=3
	s_delay_alu instid0(VALU_DEP_2) | instskip(SKIP_2) | instid1(VALU_DEP_2)
	v_cmp_lt_u32_e32 vcc_lo, 0xffffff, v10
	v_sub_nc_u32_e32 v9, v11, v12
	v_cndmask_b32_e64 v11, 0, 1, vcc_lo
	v_add_co_ci_u32_e32 v9, vcc_lo, 0, v9, vcc_lo
	s_delay_alu instid0(VALU_DEP_2)
	v_lshrrev_b32_e32 v10, v11, v10
; %bb.7942:                             ;   in Loop: Header=BB4_7553 Depth=3
	s_and_not1_saveexec_b32 s13, s13
; %bb.7943:                             ;   in Loop: Header=BB4_7553 Depth=3
	s_delay_alu instid0(VALU_DEP_1)
	v_bfe_u32 v9, v10, 23, 1
; %bb.7944:                             ;   in Loop: Header=BB4_7553 Depth=3
	s_or_b32 exec_lo, exec_lo, s13
	v_lshrrev_b32_e32 v10, 21, v10
	s_delay_alu instid0(VALU_DEP_2) | instskip(SKIP_2) | instid1(VALU_DEP_2)
	v_cmp_gt_i32_e32 vcc_lo, 32, v9
	v_min_i32_e32 v11, 31, v9
	v_lshrrev_b32_e32 v8, 24, v8
	v_dual_cndmask_b32 v10, 3, v10 :: v_dual_lshlrev_b32 v11, 2, v11
	s_delay_alu instid0(VALU_DEP_2) | instskip(NEXT) | instid1(VALU_DEP_2)
	v_and_b32_e32 v8, 0x80, v8
	v_or_b32_e32 v9, v9, v10
	v_and_b32_e32 v12, 3, v10
	s_delay_alu instid0(VALU_DEP_2) | instskip(SKIP_1) | instid1(VALU_DEP_1)
	v_cmp_ne_u32_e32 vcc_lo, 0, v9
	v_and_b32_e32 v11, 0xfc, v11
	v_or3_b32 v8, v8, v11, v12
	s_delay_alu instid0(VALU_DEP_1) | instskip(NEXT) | instid1(VALU_DEP_1)
	v_lshlrev_b32_e32 v8, 8, v8
	v_cndmask_b32_e32 v146, 0, v8, vcc_lo
.LBB4_7945:                             ;   in Loop: Header=BB4_7553 Depth=3
	s_or_b32 exec_lo, exec_lo, s30
.LBB4_7946:                             ;   in Loop: Header=BB4_7553 Depth=3
	s_delay_alu instid0(SALU_CYCLE_1)
	s_or_b32 exec_lo, exec_lo, s17
	s_clause 0x1
	global_load_b128 v[12:15], v[64:65], off slc dlc
	global_load_b128 v[8:11], v[64:65], off offset:512 slc dlc
	v_and_b32_e32 v46, 0xff, v133
	s_mov_b32 s13, 0
	s_mov_b32 s30, exec_lo
                                        ; implicit-def: $sgpr17
	s_delay_alu instid0(VALU_DEP_1)
	v_cmpx_lt_i16_e32 0x7f, v46
	s_xor_b32 s30, exec_lo, s30
	s_cbranch_execnz .LBB4_8584
; %bb.7947:                             ;   in Loop: Header=BB4_7553 Depth=3
	s_or_saveexec_b32 s30, s30
	v_mov_b32_e32 v45, s17
	s_xor_b32 exec_lo, exec_lo, s30
	s_cbranch_execnz .LBB4_8587
.LBB4_7948:                             ;   in Loop: Header=BB4_7553 Depth=3
	s_or_b32 exec_lo, exec_lo, s30
	s_and_saveexec_b32 s17, s13
	s_cbranch_execz .LBB4_7950
.LBB4_7949:                             ;   in Loop: Header=BB4_7553 Depth=3
	v_bfe_u32 v56, v133, 2, 5
	s_delay_alu instid0(VALU_DEP_1) | instskip(SKIP_1) | instid1(VALU_DEP_1)
	v_cmp_eq_u32_e32 vcc_lo, 0, v56
	v_and_b32_e32 v45, 3, v133
	v_clz_i32_u32_e32 v46, v45
	s_delay_alu instid0(VALU_DEP_1) | instskip(NEXT) | instid1(VALU_DEP_1)
	v_min_u32_e32 v46, 32, v46
	v_subrev_nc_u32_e32 v47, 29, v46
	v_sub_nc_u32_e32 v46, 30, v46
	s_delay_alu instid0(VALU_DEP_1) | instskip(SKIP_1) | instid1(VALU_DEP_2)
	v_dual_cndmask_b32 v46, v56, v46 :: v_dual_lshlrev_b32 v47, v47, v133
	v_lshlrev_b32_e32 v133, 24, v133
	v_and_b32_e32 v47, 3, v47
	s_delay_alu instid0(VALU_DEP_3) | instskip(NEXT) | instid1(VALU_DEP_3)
	v_lshl_add_u32 v46, v46, 23, 0x37800000
	v_and_b32_e32 v133, 0x80000000, v133
	s_delay_alu instid0(VALU_DEP_3) | instskip(NEXT) | instid1(VALU_DEP_1)
	v_cndmask_b32_e32 v45, v45, v47, vcc_lo
	v_lshlrev_b32_e32 v45, 21, v45
	s_delay_alu instid0(VALU_DEP_1)
	v_or3_b32 v45, v133, v46, v45
.LBB4_7950:                             ;   in Loop: Header=BB4_7553 Depth=3
	s_or_b32 exec_lo, exec_lo, s17
	s_waitcnt vmcnt(1)
	v_and_b32_e32 v46, 0xff, v12
	s_mov_b32 s13, 0
	s_mov_b32 s30, exec_lo
                                        ; implicit-def: $sgpr17
	s_delay_alu instid0(VALU_DEP_1)
	v_cmpx_lt_i16_e32 0x7f, v46
	s_xor_b32 s30, exec_lo, s30
	s_cbranch_execnz .LBB4_8588
; %bb.7951:                             ;   in Loop: Header=BB4_7553 Depth=3
	s_or_saveexec_b32 s30, s30
	v_mov_b32_e32 v133, s17
	s_xor_b32 exec_lo, exec_lo, s30
	s_cbranch_execnz .LBB4_8591
.LBB4_7952:                             ;   in Loop: Header=BB4_7553 Depth=3
	s_or_b32 exec_lo, exec_lo, s30
	s_and_saveexec_b32 s17, s13
	s_cbranch_execz .LBB4_7954
.LBB4_7953:                             ;   in Loop: Header=BB4_7553 Depth=3
	v_bfe_u32 v56, v12, 2, 5
	v_lshlrev_b32_e32 v57, 24, v12
	s_delay_alu instid0(VALU_DEP_2) | instskip(SKIP_1) | instid1(VALU_DEP_1)
	v_cmp_eq_u32_e32 vcc_lo, 0, v56
	v_and_b32_e32 v133, 3, v12
	v_clz_i32_u32_e32 v46, v133
	s_delay_alu instid0(VALU_DEP_1) | instskip(NEXT) | instid1(VALU_DEP_1)
	v_min_u32_e32 v46, 32, v46
	v_subrev_nc_u32_e32 v47, 29, v46
	v_sub_nc_u32_e32 v46, 30, v46
	s_delay_alu instid0(VALU_DEP_1) | instskip(NEXT) | instid1(VALU_DEP_1)
	v_dual_cndmask_b32 v46, v56, v46 :: v_dual_lshlrev_b32 v47, v47, v12
	v_and_b32_e32 v47, 3, v47
	s_delay_alu instid0(VALU_DEP_2) | instskip(NEXT) | instid1(VALU_DEP_2)
	v_lshl_add_u32 v46, v46, 23, 0x37800000
	v_cndmask_b32_e32 v133, v133, v47, vcc_lo
	v_and_b32_e32 v47, 0x80000000, v57
	s_delay_alu instid0(VALU_DEP_2) | instskip(NEXT) | instid1(VALU_DEP_1)
	v_lshlrev_b32_e32 v133, 21, v133
	v_or3_b32 v133, v47, v46, v133
.LBB4_7954:                             ;   in Loop: Header=BB4_7553 Depth=3
	s_or_b32 exec_lo, exec_lo, s17
	s_delay_alu instid0(VALU_DEP_1) | instskip(NEXT) | instid1(VALU_DEP_1)
	v_add_f32_e32 v45, v45, v133
	v_and_b32_e32 v133, 0x7f800000, v45
	s_delay_alu instid0(VALU_DEP_1)
	v_cmp_ne_u32_e32 vcc_lo, 0x7f800000, v133
	v_mov_b32_e32 v133, 0x80
	s_and_saveexec_b32 s17, vcc_lo
	s_cbranch_execz .LBB4_7962
; %bb.7955:                             ;   in Loop: Header=BB4_7553 Depth=3
	v_mov_b32_e32 v133, 0
	s_mov_b32 s30, exec_lo
	v_cmpx_ne_u32_e32 0, v45
	s_cbranch_execz .LBB4_7961
; %bb.7956:                             ;   in Loop: Header=BB4_7553 Depth=3
	v_bfe_u32 v133, v45, 23, 8
	s_delay_alu instid0(VALU_DEP_1) | instskip(SKIP_1) | instid1(VALU_DEP_2)
	v_sub_nc_u32_e32 v47, 0x70, v133
	v_cmp_gt_u32_e32 vcc_lo, 0x71, v133
	v_dual_cndmask_b32 v47, 0, v47 :: v_dual_and_b32 v46, 0x7fffff, v45
	s_delay_alu instid0(VALU_DEP_1) | instskip(SKIP_2) | instid1(VALU_DEP_4)
	v_or_b32_e32 v56, 0x800000, v46
	v_cmp_eq_u32_e32 vcc_lo, 0, v133
	v_add_nc_u32_e32 v133, 0xffffff91, v133
	v_cndmask_b32_e64 v47, v47, 0x6f, vcc_lo
	s_delay_alu instid0(VALU_DEP_4) | instskip(NEXT) | instid1(VALU_DEP_3)
	v_cndmask_b32_e32 v46, v56, v46, vcc_lo
	v_cndmask_b32_e64 v133, v133, 0xffffff92, vcc_lo
	s_delay_alu instid0(VALU_DEP_3) | instskip(NEXT) | instid1(VALU_DEP_3)
	v_lshl_add_u32 v56, 0x200000, v47, -1
	v_lshrrev_b32_e32 v57, v47, v46
	v_lshlrev_b32_e64 v59, v47, 0x100000
	s_delay_alu instid0(VALU_DEP_4) | instskip(NEXT) | instid1(VALU_DEP_4)
	v_add_nc_u32_e32 v47, v47, v133
	v_and_b32_e32 v46, v56, v46
	s_delay_alu instid0(VALU_DEP_4) | instskip(NEXT) | instid1(VALU_DEP_2)
	v_bfe_u32 v58, v57, 21, 1
	v_cmp_eq_u32_e64 s13, v46, v59
	s_delay_alu instid0(VALU_DEP_2) | instskip(NEXT) | instid1(VALU_DEP_1)
	v_add_nc_u32_e32 v56, -1, v58
	v_cndmask_b32_e64 v46, 0, v56, s13
	v_lshrrev_b32_e32 v56, 23, v57
	s_mov_b32 s13, exec_lo
	s_delay_alu instid0(VALU_DEP_2) | instskip(NEXT) | instid1(VALU_DEP_2)
	v_add_nc_u32_e32 v46, v46, v57
	v_xor_b32_e32 v56, 1, v56
	s_delay_alu instid0(VALU_DEP_2) | instskip(NEXT) | instid1(VALU_DEP_1)
	v_and_b32_e32 v133, 0x1fffff, v46
	v_add_nc_u32_e32 v46, v133, v57
                                        ; implicit-def: $vgpr133
	s_delay_alu instid0(VALU_DEP_3)
	v_cmpx_ne_u32_e64 v47, v56
	s_xor_b32 s13, exec_lo, s13
; %bb.7957:                             ;   in Loop: Header=BB4_7553 Depth=3
	s_delay_alu instid0(VALU_DEP_2) | instskip(SKIP_2) | instid1(VALU_DEP_2)
	v_cmp_lt_u32_e32 vcc_lo, 0xffffff, v46
	v_sub_nc_u32_e32 v133, v47, v56
	v_cndmask_b32_e64 v47, 0, 1, vcc_lo
	v_add_co_ci_u32_e32 v133, vcc_lo, 0, v133, vcc_lo
	s_delay_alu instid0(VALU_DEP_2)
	v_lshrrev_b32_e32 v46, v47, v46
; %bb.7958:                             ;   in Loop: Header=BB4_7553 Depth=3
	s_and_not1_saveexec_b32 s13, s13
; %bb.7959:                             ;   in Loop: Header=BB4_7553 Depth=3
	s_delay_alu instid0(VALU_DEP_1)
	v_bfe_u32 v133, v46, 23, 1
; %bb.7960:                             ;   in Loop: Header=BB4_7553 Depth=3
	s_or_b32 exec_lo, exec_lo, s13
	v_lshrrev_b32_e32 v46, 21, v46
	s_delay_alu instid0(VALU_DEP_2) | instskip(SKIP_2) | instid1(VALU_DEP_2)
	v_cmp_gt_i32_e32 vcc_lo, 32, v133
	v_lshrrev_b32_e32 v45, 24, v45
	v_min_i32_e32 v47, 31, v133
	v_dual_cndmask_b32 v46, 3, v46 :: v_dual_and_b32 v45, 0x80, v45
	s_delay_alu instid0(VALU_DEP_2) | instskip(NEXT) | instid1(VALU_DEP_2)
	v_lshlrev_b32_e32 v47, 2, v47
	v_or_b32_e32 v133, v133, v46
	s_delay_alu instid0(VALU_DEP_1) | instskip(SKIP_1) | instid1(VALU_DEP_1)
	v_cmp_ne_u32_e32 vcc_lo, 0, v133
	v_and_b32_e32 v56, 3, v46
	v_or3_b32 v45, v47, v45, v56
	s_delay_alu instid0(VALU_DEP_1)
	v_cndmask_b32_e32 v133, 0, v45, vcc_lo
.LBB4_7961:                             ;   in Loop: Header=BB4_7553 Depth=3
	s_or_b32 exec_lo, exec_lo, s30
.LBB4_7962:                             ;   in Loop: Header=BB4_7553 Depth=3
	s_delay_alu instid0(SALU_CYCLE_1) | instskip(SKIP_3) | instid1(VALU_DEP_1)
	s_or_b32 exec_lo, exec_lo, s17
	v_and_b32_e32 v46, 0xff, v145
	s_mov_b32 s13, 0
	s_mov_b32 s30, exec_lo
                                        ; implicit-def: $sgpr17
	v_cmpx_lt_i16_e32 0x7f, v46
	s_xor_b32 s30, exec_lo, s30
	s_cbranch_execnz .LBB4_8592
; %bb.7963:                             ;   in Loop: Header=BB4_7553 Depth=3
	s_or_saveexec_b32 s30, s30
	v_mov_b32_e32 v45, s17
	s_xor_b32 exec_lo, exec_lo, s30
	s_cbranch_execnz .LBB4_8595
.LBB4_7964:                             ;   in Loop: Header=BB4_7553 Depth=3
	s_or_b32 exec_lo, exec_lo, s30
	s_and_saveexec_b32 s17, s13
	s_cbranch_execz .LBB4_7966
.LBB4_7965:                             ;   in Loop: Header=BB4_7553 Depth=3
	v_bfe_u32 v56, v145, 2, 5
	s_delay_alu instid0(VALU_DEP_1) | instskip(SKIP_1) | instid1(VALU_DEP_1)
	v_cmp_eq_u32_e32 vcc_lo, 0, v56
	v_and_b32_e32 v45, 3, v145
	v_clz_i32_u32_e32 v46, v45
	s_delay_alu instid0(VALU_DEP_1) | instskip(NEXT) | instid1(VALU_DEP_1)
	v_min_u32_e32 v46, 32, v46
	v_subrev_nc_u32_e32 v47, 29, v46
	v_sub_nc_u32_e32 v46, 30, v46
	s_delay_alu instid0(VALU_DEP_1) | instskip(SKIP_1) | instid1(VALU_DEP_2)
	v_dual_cndmask_b32 v46, v56, v46 :: v_dual_lshlrev_b32 v47, v47, v145
	v_lshlrev_b32_e32 v145, 24, v145
	v_and_b32_e32 v47, 3, v47
	s_delay_alu instid0(VALU_DEP_3) | instskip(NEXT) | instid1(VALU_DEP_3)
	v_lshl_add_u32 v46, v46, 23, 0x37800000
	v_and_b32_e32 v145, 0x80000000, v145
	s_delay_alu instid0(VALU_DEP_3) | instskip(NEXT) | instid1(VALU_DEP_1)
	v_cndmask_b32_e32 v45, v45, v47, vcc_lo
	v_lshlrev_b32_e32 v45, 21, v45
	s_delay_alu instid0(VALU_DEP_1)
	v_or3_b32 v45, v145, v46, v45
.LBB4_7966:                             ;   in Loop: Header=BB4_7553 Depth=3
	s_or_b32 exec_lo, exec_lo, s17
	v_lshrrev_b16 v145, 8, v12
	s_mov_b32 s13, 0
	s_mov_b32 s30, exec_lo
                                        ; implicit-def: $sgpr17
	s_delay_alu instid0(VALU_DEP_1)
	v_cmpx_lt_i16_e64 0x7f, v145
	s_xor_b32 s30, exec_lo, s30
	s_cbranch_execnz .LBB4_8596
; %bb.7967:                             ;   in Loop: Header=BB4_7553 Depth=3
	s_or_saveexec_b32 s30, s30
	v_mov_b32_e32 v46, s17
	s_xor_b32 exec_lo, exec_lo, s30
	s_cbranch_execnz .LBB4_8599
.LBB4_7968:                             ;   in Loop: Header=BB4_7553 Depth=3
	s_or_b32 exec_lo, exec_lo, s30
	s_and_saveexec_b32 s17, s13
	s_cbranch_execz .LBB4_7970
.LBB4_7969:                             ;   in Loop: Header=BB4_7553 Depth=3
	v_and_b32_e32 v46, 0xffff, v145
	v_lshlrev_b32_e32 v145, 24, v145
	s_delay_alu instid0(VALU_DEP_2) | instskip(NEXT) | instid1(VALU_DEP_2)
	v_and_b32_e32 v47, 3, v46
	v_and_b32_e32 v145, 0x80000000, v145
	s_delay_alu instid0(VALU_DEP_2) | instskip(NEXT) | instid1(VALU_DEP_1)
	v_clz_i32_u32_e32 v56, v47
	v_min_u32_e32 v56, 32, v56
	s_delay_alu instid0(VALU_DEP_1) | instskip(SKIP_1) | instid1(VALU_DEP_2)
	v_subrev_nc_u32_e32 v57, 29, v56
	v_sub_nc_u32_e32 v56, 30, v56
	v_lshlrev_b32_e32 v57, v57, v46
	v_bfe_u32 v46, v46, 2, 5
	s_delay_alu instid0(VALU_DEP_2) | instskip(NEXT) | instid1(VALU_DEP_2)
	v_and_b32_e32 v57, 3, v57
	v_cmp_eq_u32_e32 vcc_lo, 0, v46
	s_delay_alu instid0(VALU_DEP_2) | instskip(NEXT) | instid1(VALU_DEP_1)
	v_dual_cndmask_b32 v46, v46, v56 :: v_dual_cndmask_b32 v47, v47, v57
	v_lshl_add_u32 v46, v46, 23, 0x37800000
	s_delay_alu instid0(VALU_DEP_2) | instskip(NEXT) | instid1(VALU_DEP_1)
	v_lshlrev_b32_e32 v47, 21, v47
	v_or3_b32 v46, v145, v46, v47
.LBB4_7970:                             ;   in Loop: Header=BB4_7553 Depth=3
	s_or_b32 exec_lo, exec_lo, s17
	s_delay_alu instid0(VALU_DEP_1) | instskip(NEXT) | instid1(VALU_DEP_1)
	v_add_f32_e32 v45, v45, v46
	v_and_b32_e32 v145, 0x7f800000, v45
	s_delay_alu instid0(VALU_DEP_1)
	v_cmp_ne_u32_e32 vcc_lo, 0x7f800000, v145
	v_mov_b32_e32 v145, 0x80
	s_and_saveexec_b32 s17, vcc_lo
	s_cbranch_execz .LBB4_7978
; %bb.7971:                             ;   in Loop: Header=BB4_7553 Depth=3
	v_mov_b32_e32 v145, 0
	s_mov_b32 s30, exec_lo
	v_cmpx_ne_u32_e32 0, v45
	s_cbranch_execz .LBB4_7977
; %bb.7972:                             ;   in Loop: Header=BB4_7553 Depth=3
	v_bfe_u32 v145, v45, 23, 8
	s_delay_alu instid0(VALU_DEP_1) | instskip(SKIP_1) | instid1(VALU_DEP_2)
	v_sub_nc_u32_e32 v47, 0x70, v145
	v_cmp_gt_u32_e32 vcc_lo, 0x71, v145
	v_dual_cndmask_b32 v47, 0, v47 :: v_dual_and_b32 v46, 0x7fffff, v45
	s_delay_alu instid0(VALU_DEP_1) | instskip(SKIP_2) | instid1(VALU_DEP_4)
	v_or_b32_e32 v56, 0x800000, v46
	v_cmp_eq_u32_e32 vcc_lo, 0, v145
	v_add_nc_u32_e32 v145, 0xffffff91, v145
	v_cndmask_b32_e64 v47, v47, 0x6f, vcc_lo
	s_delay_alu instid0(VALU_DEP_4) | instskip(NEXT) | instid1(VALU_DEP_3)
	v_cndmask_b32_e32 v46, v56, v46, vcc_lo
	v_cndmask_b32_e64 v145, v145, 0xffffff92, vcc_lo
	s_delay_alu instid0(VALU_DEP_3) | instskip(NEXT) | instid1(VALU_DEP_3)
	v_lshl_add_u32 v56, 0x200000, v47, -1
	v_lshrrev_b32_e32 v57, v47, v46
	v_lshlrev_b32_e64 v59, v47, 0x100000
	s_delay_alu instid0(VALU_DEP_4) | instskip(NEXT) | instid1(VALU_DEP_4)
	v_add_nc_u32_e32 v47, v47, v145
	v_and_b32_e32 v46, v56, v46
	s_delay_alu instid0(VALU_DEP_4) | instskip(NEXT) | instid1(VALU_DEP_2)
	v_bfe_u32 v58, v57, 21, 1
	v_cmp_eq_u32_e64 s13, v46, v59
	s_delay_alu instid0(VALU_DEP_2) | instskip(NEXT) | instid1(VALU_DEP_1)
	v_add_nc_u32_e32 v56, -1, v58
	v_cndmask_b32_e64 v46, 0, v56, s13
	v_lshrrev_b32_e32 v56, 23, v57
	s_mov_b32 s13, exec_lo
	s_delay_alu instid0(VALU_DEP_2) | instskip(NEXT) | instid1(VALU_DEP_2)
	v_add_nc_u32_e32 v46, v46, v57
	v_xor_b32_e32 v56, 1, v56
	s_delay_alu instid0(VALU_DEP_2) | instskip(NEXT) | instid1(VALU_DEP_1)
	v_and_b32_e32 v145, 0x1fffff, v46
	v_add_nc_u32_e32 v46, v145, v57
                                        ; implicit-def: $vgpr145
	s_delay_alu instid0(VALU_DEP_3)
	v_cmpx_ne_u32_e64 v47, v56
	s_xor_b32 s13, exec_lo, s13
; %bb.7973:                             ;   in Loop: Header=BB4_7553 Depth=3
	s_delay_alu instid0(VALU_DEP_2) | instskip(SKIP_2) | instid1(VALU_DEP_2)
	v_cmp_lt_u32_e32 vcc_lo, 0xffffff, v46
	v_sub_nc_u32_e32 v145, v47, v56
	v_cndmask_b32_e64 v47, 0, 1, vcc_lo
	v_add_co_ci_u32_e32 v145, vcc_lo, 0, v145, vcc_lo
	s_delay_alu instid0(VALU_DEP_2)
	v_lshrrev_b32_e32 v46, v47, v46
; %bb.7974:                             ;   in Loop: Header=BB4_7553 Depth=3
	s_and_not1_saveexec_b32 s13, s13
; %bb.7975:                             ;   in Loop: Header=BB4_7553 Depth=3
	s_delay_alu instid0(VALU_DEP_1)
	v_bfe_u32 v145, v46, 23, 1
; %bb.7976:                             ;   in Loop: Header=BB4_7553 Depth=3
	s_or_b32 exec_lo, exec_lo, s13
	v_lshrrev_b32_e32 v46, 21, v46
	s_delay_alu instid0(VALU_DEP_2) | instskip(SKIP_2) | instid1(VALU_DEP_2)
	v_cmp_gt_i32_e32 vcc_lo, 32, v145
	v_lshrrev_b32_e32 v45, 24, v45
	v_min_i32_e32 v47, 31, v145
	v_dual_cndmask_b32 v46, 3, v46 :: v_dual_and_b32 v45, 0x80, v45
	s_delay_alu instid0(VALU_DEP_2) | instskip(NEXT) | instid1(VALU_DEP_2)
	v_lshlrev_b32_e32 v47, 2, v47
	v_or_b32_e32 v145, v145, v46
	s_delay_alu instid0(VALU_DEP_1) | instskip(SKIP_1) | instid1(VALU_DEP_1)
	v_cmp_ne_u32_e32 vcc_lo, 0, v145
	v_and_b32_e32 v56, 3, v46
	v_or3_b32 v45, v47, v45, v56
	s_delay_alu instid0(VALU_DEP_1)
	v_cndmask_b32_e32 v145, 0, v45, vcc_lo
.LBB4_7977:                             ;   in Loop: Header=BB4_7553 Depth=3
	s_or_b32 exec_lo, exec_lo, s30
.LBB4_7978:                             ;   in Loop: Header=BB4_7553 Depth=3
	s_delay_alu instid0(SALU_CYCLE_1) | instskip(SKIP_3) | instid1(VALU_DEP_1)
	s_or_b32 exec_lo, exec_lo, s17
	v_and_b32_e32 v46, 0xff, v151
	s_mov_b32 s13, 0
	s_mov_b32 s30, exec_lo
                                        ; implicit-def: $sgpr17
	v_cmpx_lt_i16_e32 0x7f, v46
	s_xor_b32 s30, exec_lo, s30
	s_cbranch_execnz .LBB4_8600
; %bb.7979:                             ;   in Loop: Header=BB4_7553 Depth=3
	s_or_saveexec_b32 s30, s30
	v_mov_b32_e32 v45, s17
	s_xor_b32 exec_lo, exec_lo, s30
	s_cbranch_execnz .LBB4_8603
.LBB4_7980:                             ;   in Loop: Header=BB4_7553 Depth=3
	s_or_b32 exec_lo, exec_lo, s30
	s_and_saveexec_b32 s17, s13
	s_cbranch_execz .LBB4_7982
.LBB4_7981:                             ;   in Loop: Header=BB4_7553 Depth=3
	v_bfe_u32 v56, v151, 2, 5
	s_delay_alu instid0(VALU_DEP_1) | instskip(SKIP_1) | instid1(VALU_DEP_1)
	v_cmp_eq_u32_e32 vcc_lo, 0, v56
	v_and_b32_e32 v45, 3, v151
	v_clz_i32_u32_e32 v46, v45
	s_delay_alu instid0(VALU_DEP_1) | instskip(NEXT) | instid1(VALU_DEP_1)
	v_min_u32_e32 v46, 32, v46
	v_subrev_nc_u32_e32 v47, 29, v46
	v_sub_nc_u32_e32 v46, 30, v46
	s_delay_alu instid0(VALU_DEP_1) | instskip(SKIP_1) | instid1(VALU_DEP_2)
	v_dual_cndmask_b32 v46, v56, v46 :: v_dual_lshlrev_b32 v47, v47, v151
	v_lshlrev_b32_e32 v151, 24, v151
	v_and_b32_e32 v47, 3, v47
	s_delay_alu instid0(VALU_DEP_3) | instskip(NEXT) | instid1(VALU_DEP_3)
	v_lshl_add_u32 v46, v46, 23, 0x37800000
	v_and_b32_e32 v151, 0x80000000, v151
	s_delay_alu instid0(VALU_DEP_3) | instskip(NEXT) | instid1(VALU_DEP_1)
	v_cndmask_b32_e32 v45, v45, v47, vcc_lo
	v_lshlrev_b32_e32 v45, 21, v45
	s_delay_alu instid0(VALU_DEP_1)
	v_or3_b32 v45, v151, v46, v45
.LBB4_7982:                             ;   in Loop: Header=BB4_7553 Depth=3
	s_or_b32 exec_lo, exec_lo, s17
	v_lshrrev_b32_e32 v151, 16, v12
	s_mov_b32 s13, 0
	s_mov_b32 s30, exec_lo
                                        ; implicit-def: $sgpr17
	s_delay_alu instid0(VALU_DEP_1) | instskip(NEXT) | instid1(VALU_DEP_1)
	v_and_b32_e32 v47, 0xff, v151
	v_cmpx_lt_i16_e32 0x7f, v47
	s_xor_b32 s30, exec_lo, s30
	s_cbranch_execnz .LBB4_8604
; %bb.7983:                             ;   in Loop: Header=BB4_7553 Depth=3
	s_or_saveexec_b32 s30, s30
	v_mov_b32_e32 v46, s17
	s_xor_b32 exec_lo, exec_lo, s30
	s_cbranch_execnz .LBB4_8607
.LBB4_7984:                             ;   in Loop: Header=BB4_7553 Depth=3
	s_or_b32 exec_lo, exec_lo, s30
	s_and_saveexec_b32 s17, s13
	s_cbranch_execz .LBB4_7986
.LBB4_7985:                             ;   in Loop: Header=BB4_7553 Depth=3
	v_bfe_u32 v46, v12, 16, 2
	v_lshlrev_b32_e32 v57, 8, v12
	s_delay_alu instid0(VALU_DEP_2) | instskip(NEXT) | instid1(VALU_DEP_1)
	v_clz_i32_u32_e32 v47, v46
	v_min_u32_e32 v47, 32, v47
	s_delay_alu instid0(VALU_DEP_1) | instskip(SKIP_1) | instid1(VALU_DEP_2)
	v_subrev_nc_u32_e32 v56, 29, v47
	v_sub_nc_u32_e32 v47, 30, v47
	v_lshlrev_b32_e32 v151, v56, v151
	v_bfe_u32 v56, v12, 18, 5
	s_delay_alu instid0(VALU_DEP_2) | instskip(NEXT) | instid1(VALU_DEP_2)
	v_and_b32_e32 v151, 3, v151
	v_cmp_eq_u32_e32 vcc_lo, 0, v56
	v_cndmask_b32_e32 v47, v56, v47, vcc_lo
	s_delay_alu instid0(VALU_DEP_3) | instskip(NEXT) | instid1(VALU_DEP_2)
	v_dual_cndmask_b32 v151, v46, v151 :: v_dual_and_b32 v46, 0x80000000, v57
	v_lshl_add_u32 v47, v47, 23, 0x37800000
	s_delay_alu instid0(VALU_DEP_2) | instskip(NEXT) | instid1(VALU_DEP_1)
	v_lshlrev_b32_e32 v151, 21, v151
	v_or3_b32 v46, v46, v47, v151
.LBB4_7986:                             ;   in Loop: Header=BB4_7553 Depth=3
	s_or_b32 exec_lo, exec_lo, s17
	s_delay_alu instid0(VALU_DEP_1) | instskip(NEXT) | instid1(VALU_DEP_1)
	v_add_f32_e32 v45, v45, v46
	v_and_b32_e32 v151, 0x7f800000, v45
	s_delay_alu instid0(VALU_DEP_1)
	v_cmp_ne_u32_e32 vcc_lo, 0x7f800000, v151
	v_mov_b32_e32 v151, 0x80
	s_and_saveexec_b32 s17, vcc_lo
	s_cbranch_execz .LBB4_7994
; %bb.7987:                             ;   in Loop: Header=BB4_7553 Depth=3
	v_mov_b32_e32 v151, 0
	s_mov_b32 s30, exec_lo
	v_cmpx_ne_u32_e32 0, v45
	s_cbranch_execz .LBB4_7993
; %bb.7988:                             ;   in Loop: Header=BB4_7553 Depth=3
	v_bfe_u32 v151, v45, 23, 8
	s_delay_alu instid0(VALU_DEP_1) | instskip(SKIP_1) | instid1(VALU_DEP_2)
	v_sub_nc_u32_e32 v47, 0x70, v151
	v_cmp_gt_u32_e32 vcc_lo, 0x71, v151
	v_dual_cndmask_b32 v47, 0, v47 :: v_dual_and_b32 v46, 0x7fffff, v45
	s_delay_alu instid0(VALU_DEP_1) | instskip(SKIP_2) | instid1(VALU_DEP_4)
	v_or_b32_e32 v56, 0x800000, v46
	v_cmp_eq_u32_e32 vcc_lo, 0, v151
	v_add_nc_u32_e32 v151, 0xffffff91, v151
	v_cndmask_b32_e64 v47, v47, 0x6f, vcc_lo
	s_delay_alu instid0(VALU_DEP_4) | instskip(NEXT) | instid1(VALU_DEP_3)
	v_cndmask_b32_e32 v46, v56, v46, vcc_lo
	v_cndmask_b32_e64 v151, v151, 0xffffff92, vcc_lo
	s_delay_alu instid0(VALU_DEP_3) | instskip(NEXT) | instid1(VALU_DEP_3)
	v_lshl_add_u32 v56, 0x200000, v47, -1
	v_lshrrev_b32_e32 v57, v47, v46
	v_lshlrev_b32_e64 v59, v47, 0x100000
	s_delay_alu instid0(VALU_DEP_4) | instskip(NEXT) | instid1(VALU_DEP_4)
	v_add_nc_u32_e32 v47, v47, v151
	v_and_b32_e32 v46, v56, v46
	s_delay_alu instid0(VALU_DEP_4) | instskip(NEXT) | instid1(VALU_DEP_2)
	v_bfe_u32 v58, v57, 21, 1
	v_cmp_eq_u32_e64 s13, v46, v59
	s_delay_alu instid0(VALU_DEP_2) | instskip(NEXT) | instid1(VALU_DEP_1)
	v_add_nc_u32_e32 v56, -1, v58
	v_cndmask_b32_e64 v46, 0, v56, s13
	v_lshrrev_b32_e32 v56, 23, v57
	s_mov_b32 s13, exec_lo
	s_delay_alu instid0(VALU_DEP_2) | instskip(NEXT) | instid1(VALU_DEP_2)
	v_add_nc_u32_e32 v46, v46, v57
	v_xor_b32_e32 v56, 1, v56
	s_delay_alu instid0(VALU_DEP_2) | instskip(NEXT) | instid1(VALU_DEP_1)
	v_and_b32_e32 v151, 0x1fffff, v46
	v_add_nc_u32_e32 v46, v151, v57
                                        ; implicit-def: $vgpr151
	s_delay_alu instid0(VALU_DEP_3)
	v_cmpx_ne_u32_e64 v47, v56
	s_xor_b32 s13, exec_lo, s13
; %bb.7989:                             ;   in Loop: Header=BB4_7553 Depth=3
	s_delay_alu instid0(VALU_DEP_2) | instskip(SKIP_2) | instid1(VALU_DEP_2)
	v_cmp_lt_u32_e32 vcc_lo, 0xffffff, v46
	v_sub_nc_u32_e32 v151, v47, v56
	v_cndmask_b32_e64 v47, 0, 1, vcc_lo
	v_add_co_ci_u32_e32 v151, vcc_lo, 0, v151, vcc_lo
	s_delay_alu instid0(VALU_DEP_2)
	v_lshrrev_b32_e32 v46, v47, v46
; %bb.7990:                             ;   in Loop: Header=BB4_7553 Depth=3
	s_and_not1_saveexec_b32 s13, s13
; %bb.7991:                             ;   in Loop: Header=BB4_7553 Depth=3
	s_delay_alu instid0(VALU_DEP_1)
	v_bfe_u32 v151, v46, 23, 1
; %bb.7992:                             ;   in Loop: Header=BB4_7553 Depth=3
	s_or_b32 exec_lo, exec_lo, s13
	v_lshrrev_b32_e32 v46, 21, v46
	s_delay_alu instid0(VALU_DEP_2) | instskip(SKIP_2) | instid1(VALU_DEP_2)
	v_cmp_gt_i32_e32 vcc_lo, 32, v151
	v_lshrrev_b32_e32 v45, 24, v45
	v_min_i32_e32 v47, 31, v151
	v_dual_cndmask_b32 v46, 3, v46 :: v_dual_and_b32 v45, 0x80, v45
	s_delay_alu instid0(VALU_DEP_2) | instskip(NEXT) | instid1(VALU_DEP_2)
	v_lshlrev_b32_e32 v47, 2, v47
	v_or_b32_e32 v151, v151, v46
	s_delay_alu instid0(VALU_DEP_1) | instskip(SKIP_1) | instid1(VALU_DEP_1)
	v_cmp_ne_u32_e32 vcc_lo, 0, v151
	v_and_b32_e32 v56, 3, v46
	v_or3_b32 v45, v47, v45, v56
	s_delay_alu instid0(VALU_DEP_1)
	v_cndmask_b32_e32 v151, 0, v45, vcc_lo
.LBB4_7993:                             ;   in Loop: Header=BB4_7553 Depth=3
	s_or_b32 exec_lo, exec_lo, s30
.LBB4_7994:                             ;   in Loop: Header=BB4_7553 Depth=3
	s_delay_alu instid0(SALU_CYCLE_1) | instskip(SKIP_3) | instid1(VALU_DEP_1)
	s_or_b32 exec_lo, exec_lo, s17
	v_and_b32_e32 v46, 0xff, v177
	s_mov_b32 s13, 0
	s_mov_b32 s30, exec_lo
                                        ; implicit-def: $sgpr17
	v_cmpx_lt_i16_e32 0x7f, v46
	s_xor_b32 s30, exec_lo, s30
	s_cbranch_execnz .LBB4_8608
; %bb.7995:                             ;   in Loop: Header=BB4_7553 Depth=3
	s_or_saveexec_b32 s30, s30
	v_mov_b32_e32 v45, s17
	s_xor_b32 exec_lo, exec_lo, s30
	s_cbranch_execnz .LBB4_8611
.LBB4_7996:                             ;   in Loop: Header=BB4_7553 Depth=3
	s_or_b32 exec_lo, exec_lo, s30
	s_and_saveexec_b32 s17, s13
	s_cbranch_execz .LBB4_7998
.LBB4_7997:                             ;   in Loop: Header=BB4_7553 Depth=3
	v_lshlrev_b32_e32 v177, 8, v177
	s_delay_alu instid0(VALU_DEP_1) | instskip(SKIP_1) | instid1(VALU_DEP_2)
	v_and_b32_e32 v45, 0xff00, v177
	v_bfe_u32 v177, v177, 10, 5
	v_bfe_u32 v47, v45, 8, 2
	s_delay_alu instid0(VALU_DEP_2) | instskip(SKIP_1) | instid1(VALU_DEP_3)
	v_cmp_eq_u32_e32 vcc_lo, 0, v177
	v_lshlrev_b32_e32 v45, 16, v45
	v_clz_i32_u32_e32 v56, v47
	s_delay_alu instid0(VALU_DEP_2) | instskip(NEXT) | instid1(VALU_DEP_2)
	v_and_b32_e32 v45, 0x80000000, v45
	v_min_u32_e32 v56, 32, v56
	s_delay_alu instid0(VALU_DEP_1) | instskip(SKIP_1) | instid1(VALU_DEP_2)
	v_subrev_nc_u32_e32 v57, 29, v56
	v_sub_nc_u32_e32 v56, 30, v56
	v_lshlrev_b32_e32 v46, v57, v46
	s_delay_alu instid0(VALU_DEP_1) | instskip(NEXT) | instid1(VALU_DEP_1)
	v_dual_cndmask_b32 v177, v177, v56 :: v_dual_and_b32 v46, 3, v46
	v_lshl_add_u32 v177, v177, 23, 0x37800000
	s_delay_alu instid0(VALU_DEP_2) | instskip(NEXT) | instid1(VALU_DEP_1)
	v_cndmask_b32_e32 v46, v47, v46, vcc_lo
	v_lshlrev_b32_e32 v46, 21, v46
	s_delay_alu instid0(VALU_DEP_1)
	v_or3_b32 v45, v45, v177, v46
.LBB4_7998:                             ;   in Loop: Header=BB4_7553 Depth=3
	s_or_b32 exec_lo, exec_lo, s17
	v_lshrrev_b32_e32 v177, 24, v12
	s_mov_b32 s13, 0
	s_mov_b32 s30, exec_lo
                                        ; implicit-def: $sgpr17
	s_delay_alu instid0(VALU_DEP_1)
	v_cmpx_lt_i16_e64 0x7f, v177
	s_xor_b32 s30, exec_lo, s30
	s_cbranch_execnz .LBB4_8612
; %bb.7999:                             ;   in Loop: Header=BB4_7553 Depth=3
	s_or_saveexec_b32 s30, s30
	v_mov_b32_e32 v46, s17
	s_xor_b32 exec_lo, exec_lo, s30
	s_cbranch_execnz .LBB4_8615
.LBB4_8000:                             ;   in Loop: Header=BB4_7553 Depth=3
	s_or_b32 exec_lo, exec_lo, s30
	s_and_saveexec_b32 s17, s13
	s_cbranch_execz .LBB4_8002
.LBB4_8001:                             ;   in Loop: Header=BB4_7553 Depth=3
	v_bfe_u32 v46, v12, 24, 2
	s_delay_alu instid0(VALU_DEP_1) | instskip(NEXT) | instid1(VALU_DEP_1)
	v_clz_i32_u32_e32 v47, v46
	v_min_u32_e32 v47, 32, v47
	s_delay_alu instid0(VALU_DEP_1) | instskip(SKIP_1) | instid1(VALU_DEP_2)
	v_subrev_nc_u32_e32 v56, 29, v47
	v_sub_nc_u32_e32 v47, 30, v47
	v_lshlrev_b32_e32 v177, v56, v177
	v_bfe_u32 v56, v12, 26, 5
	v_and_b32_e32 v12, 0x80000000, v12
	s_delay_alu instid0(VALU_DEP_3) | instskip(NEXT) | instid1(VALU_DEP_3)
	v_and_b32_e32 v177, 3, v177
	v_cmp_eq_u32_e32 vcc_lo, 0, v56
	v_cndmask_b32_e32 v47, v56, v47, vcc_lo
	s_delay_alu instid0(VALU_DEP_3) | instskip(NEXT) | instid1(VALU_DEP_2)
	v_cndmask_b32_e32 v177, v46, v177, vcc_lo
	v_lshl_add_u32 v46, v47, 23, 0x37800000
	s_delay_alu instid0(VALU_DEP_2) | instskip(NEXT) | instid1(VALU_DEP_1)
	v_lshlrev_b32_e32 v177, 21, v177
	v_or3_b32 v46, v12, v46, v177
.LBB4_8002:                             ;   in Loop: Header=BB4_7553 Depth=3
	s_or_b32 exec_lo, exec_lo, s17
	s_delay_alu instid0(VALU_DEP_1) | instskip(NEXT) | instid1(VALU_DEP_1)
	v_add_f32_e32 v177, v45, v46
	v_and_b32_e32 v12, 0x7f800000, v177
	s_delay_alu instid0(VALU_DEP_1)
	v_cmp_ne_u32_e32 vcc_lo, 0x7f800000, v12
	v_mov_b32_e32 v12, 0x80
	s_and_saveexec_b32 s17, vcc_lo
	s_cbranch_execz .LBB4_8010
; %bb.8003:                             ;   in Loop: Header=BB4_7553 Depth=3
	v_mov_b32_e32 v12, 0
	s_mov_b32 s30, exec_lo
	v_cmpx_ne_u32_e32 0, v177
	s_cbranch_execz .LBB4_8009
; %bb.8004:                             ;   in Loop: Header=BB4_7553 Depth=3
	v_bfe_u32 v12, v177, 23, 8
	s_delay_alu instid0(VALU_DEP_1) | instskip(SKIP_1) | instid1(VALU_DEP_2)
	v_sub_nc_u32_e32 v46, 0x70, v12
	v_cmp_gt_u32_e32 vcc_lo, 0x71, v12
	v_dual_cndmask_b32 v46, 0, v46 :: v_dual_and_b32 v45, 0x7fffff, v177
	s_delay_alu instid0(VALU_DEP_1) | instskip(SKIP_2) | instid1(VALU_DEP_4)
	v_or_b32_e32 v47, 0x800000, v45
	v_cmp_eq_u32_e32 vcc_lo, 0, v12
	v_add_nc_u32_e32 v12, 0xffffff91, v12
	v_cndmask_b32_e64 v46, v46, 0x6f, vcc_lo
	s_delay_alu instid0(VALU_DEP_4) | instskip(NEXT) | instid1(VALU_DEP_3)
	v_cndmask_b32_e32 v45, v47, v45, vcc_lo
	v_cndmask_b32_e64 v12, v12, 0xffffff92, vcc_lo
	s_delay_alu instid0(VALU_DEP_3) | instskip(NEXT) | instid1(VALU_DEP_3)
	v_lshl_add_u32 v47, 0x200000, v46, -1
	v_lshrrev_b32_e32 v56, v46, v45
	v_lshlrev_b32_e64 v58, v46, 0x100000
	s_delay_alu instid0(VALU_DEP_4) | instskip(NEXT) | instid1(VALU_DEP_4)
	v_add_nc_u32_e32 v46, v46, v12
	v_and_b32_e32 v45, v47, v45
	s_delay_alu instid0(VALU_DEP_4) | instskip(NEXT) | instid1(VALU_DEP_2)
	v_bfe_u32 v57, v56, 21, 1
	v_cmp_eq_u32_e64 s13, v45, v58
	s_delay_alu instid0(VALU_DEP_2) | instskip(NEXT) | instid1(VALU_DEP_1)
	v_add_nc_u32_e32 v47, -1, v57
	v_cndmask_b32_e64 v45, 0, v47, s13
	v_lshrrev_b32_e32 v47, 23, v56
	s_mov_b32 s13, exec_lo
	s_delay_alu instid0(VALU_DEP_2) | instskip(NEXT) | instid1(VALU_DEP_2)
	v_add_nc_u32_e32 v45, v45, v56
	v_xor_b32_e32 v47, 1, v47
	s_delay_alu instid0(VALU_DEP_2) | instskip(NEXT) | instid1(VALU_DEP_1)
	v_and_b32_e32 v12, 0x1fffff, v45
	v_add_nc_u32_e32 v45, v12, v56
                                        ; implicit-def: $vgpr12
	s_delay_alu instid0(VALU_DEP_3)
	v_cmpx_ne_u32_e64 v46, v47
	s_xor_b32 s13, exec_lo, s13
; %bb.8005:                             ;   in Loop: Header=BB4_7553 Depth=3
	s_delay_alu instid0(VALU_DEP_2) | instskip(SKIP_2) | instid1(VALU_DEP_2)
	v_cmp_lt_u32_e32 vcc_lo, 0xffffff, v45
	v_sub_nc_u32_e32 v12, v46, v47
	v_cndmask_b32_e64 v46, 0, 1, vcc_lo
	v_add_co_ci_u32_e32 v12, vcc_lo, 0, v12, vcc_lo
	s_delay_alu instid0(VALU_DEP_2)
	v_lshrrev_b32_e32 v45, v46, v45
; %bb.8006:                             ;   in Loop: Header=BB4_7553 Depth=3
	s_and_not1_saveexec_b32 s13, s13
; %bb.8007:                             ;   in Loop: Header=BB4_7553 Depth=3
	s_delay_alu instid0(VALU_DEP_1)
	v_bfe_u32 v12, v45, 23, 1
; %bb.8008:                             ;   in Loop: Header=BB4_7553 Depth=3
	s_or_b32 exec_lo, exec_lo, s13
	v_lshrrev_b32_e32 v45, 21, v45
	s_delay_alu instid0(VALU_DEP_2) | instskip(SKIP_2) | instid1(VALU_DEP_4)
	v_cmp_gt_i32_e32 vcc_lo, 32, v12
	v_lshrrev_b32_e32 v177, 24, v177
	v_min_i32_e32 v46, 31, v12
	v_cndmask_b32_e32 v45, 3, v45, vcc_lo
	s_delay_alu instid0(VALU_DEP_3) | instskip(NEXT) | instid1(VALU_DEP_3)
	v_and_b32_e32 v177, 0x80, v177
	v_lshlrev_b32_e32 v46, 2, v46
	s_delay_alu instid0(VALU_DEP_3) | instskip(SKIP_1) | instid1(VALU_DEP_2)
	v_and_b32_e32 v47, 3, v45
	v_or_b32_e32 v12, v12, v45
	v_or3_b32 v177, v46, v177, v47
	s_delay_alu instid0(VALU_DEP_2) | instskip(NEXT) | instid1(VALU_DEP_2)
	v_cmp_ne_u32_e32 vcc_lo, 0, v12
	v_cndmask_b32_e32 v12, 0, v177, vcc_lo
.LBB4_8009:                             ;   in Loop: Header=BB4_7553 Depth=3
	s_or_b32 exec_lo, exec_lo, s30
.LBB4_8010:                             ;   in Loop: Header=BB4_7553 Depth=3
	s_delay_alu instid0(SALU_CYCLE_1) | instskip(SKIP_3) | instid1(VALU_DEP_1)
	s_or_b32 exec_lo, exec_lo, s17
	v_or_b32_e32 v44, v44, v166
	s_mov_b32 s13, 0
	s_mov_b32 s30, exec_lo
                                        ; implicit-def: $sgpr17
	v_and_b32_e32 v177, 0xff, v44
	s_delay_alu instid0(VALU_DEP_1)
	v_cmpx_lt_i16_e64 0x7f, v177
	s_xor_b32 s30, exec_lo, s30
	s_cbranch_execnz .LBB4_8616
; %bb.8011:                             ;   in Loop: Header=BB4_7553 Depth=3
	s_or_saveexec_b32 s30, s30
	v_mov_b32_e32 v166, s17
	s_xor_b32 exec_lo, exec_lo, s30
	s_cbranch_execnz .LBB4_8619
.LBB4_8012:                             ;   in Loop: Header=BB4_7553 Depth=3
	s_or_b32 exec_lo, exec_lo, s30
	s_and_saveexec_b32 s17, s13
	s_cbranch_execz .LBB4_8014
.LBB4_8013:                             ;   in Loop: Header=BB4_7553 Depth=3
	v_bfe_u32 v46, v44, 2, 5
	s_delay_alu instid0(VALU_DEP_1) | instskip(SKIP_1) | instid1(VALU_DEP_1)
	v_cmp_eq_u32_e32 vcc_lo, 0, v46
	v_and_b32_e32 v166, 3, v44
	v_clz_i32_u32_e32 v177, v166
	s_delay_alu instid0(VALU_DEP_1) | instskip(NEXT) | instid1(VALU_DEP_1)
	v_min_u32_e32 v177, 32, v177
	v_subrev_nc_u32_e32 v45, 29, v177
	v_sub_nc_u32_e32 v177, 30, v177
	s_delay_alu instid0(VALU_DEP_2) | instskip(NEXT) | instid1(VALU_DEP_2)
	v_lshlrev_b32_e32 v45, v45, v44
	v_cndmask_b32_e32 v177, v46, v177, vcc_lo
	s_delay_alu instid0(VALU_DEP_2) | instskip(SKIP_1) | instid1(VALU_DEP_3)
	v_and_b32_e32 v45, 3, v45
	v_lshlrev_b32_e32 v47, 24, v44
	v_lshl_add_u32 v177, v177, 23, 0x37800000
	s_delay_alu instid0(VALU_DEP_2) | instskip(NEXT) | instid1(VALU_DEP_1)
	v_dual_cndmask_b32 v166, v166, v45 :: v_dual_and_b32 v45, 0x80000000, v47
	v_lshlrev_b32_e32 v166, 21, v166
	s_delay_alu instid0(VALU_DEP_1)
	v_or3_b32 v166, v45, v177, v166
.LBB4_8014:                             ;   in Loop: Header=BB4_7553 Depth=3
	s_or_b32 exec_lo, exec_lo, s17
	v_and_b32_e32 v45, 0xff, v13
	s_mov_b32 s13, 0
	s_mov_b32 s30, exec_lo
                                        ; implicit-def: $sgpr17
	s_delay_alu instid0(VALU_DEP_1)
	v_cmpx_lt_i16_e32 0x7f, v45
	s_xor_b32 s30, exec_lo, s30
	s_cbranch_execnz .LBB4_8620
; %bb.8015:                             ;   in Loop: Header=BB4_7553 Depth=3
	s_or_saveexec_b32 s30, s30
	v_mov_b32_e32 v177, s17
	s_xor_b32 exec_lo, exec_lo, s30
	s_cbranch_execnz .LBB4_8623
.LBB4_8016:                             ;   in Loop: Header=BB4_7553 Depth=3
	s_or_b32 exec_lo, exec_lo, s30
	s_and_saveexec_b32 s17, s13
	s_cbranch_execz .LBB4_8018
.LBB4_8017:                             ;   in Loop: Header=BB4_7553 Depth=3
	v_and_b32_e32 v177, 3, v13
	v_bfe_u32 v47, v13, 2, 5
	s_delay_alu instid0(VALU_DEP_2) | instskip(NEXT) | instid1(VALU_DEP_2)
	v_clz_i32_u32_e32 v45, v177
	v_cmp_eq_u32_e32 vcc_lo, 0, v47
	s_delay_alu instid0(VALU_DEP_2) | instskip(NEXT) | instid1(VALU_DEP_1)
	v_min_u32_e32 v45, 32, v45
	v_subrev_nc_u32_e32 v46, 29, v45
	v_sub_nc_u32_e32 v45, 30, v45
	s_delay_alu instid0(VALU_DEP_2) | instskip(NEXT) | instid1(VALU_DEP_1)
	v_lshlrev_b32_e32 v46, v46, v13
	v_dual_cndmask_b32 v45, v47, v45 :: v_dual_and_b32 v46, 3, v46
	v_lshlrev_b32_e32 v56, 24, v13
	s_delay_alu instid0(VALU_DEP_2) | instskip(NEXT) | instid1(VALU_DEP_2)
	v_lshl_add_u32 v45, v45, 23, 0x37800000
	v_dual_cndmask_b32 v177, v177, v46 :: v_dual_and_b32 v46, 0x80000000, v56
	s_delay_alu instid0(VALU_DEP_1) | instskip(NEXT) | instid1(VALU_DEP_1)
	v_lshlrev_b32_e32 v177, 21, v177
	v_or3_b32 v177, v46, v45, v177
.LBB4_8018:                             ;   in Loop: Header=BB4_7553 Depth=3
	s_or_b32 exec_lo, exec_lo, s17
	s_delay_alu instid0(VALU_DEP_1) | instskip(NEXT) | instid1(VALU_DEP_1)
	v_add_f32_e32 v177, v166, v177
	v_and_b32_e32 v166, 0x7f800000, v177
	s_delay_alu instid0(VALU_DEP_1)
	v_cmp_ne_u32_e32 vcc_lo, 0x7f800000, v166
	v_mov_b32_e32 v166, 0x80
	s_and_saveexec_b32 s17, vcc_lo
	s_cbranch_execz .LBB4_8026
; %bb.8019:                             ;   in Loop: Header=BB4_7553 Depth=3
	v_mov_b32_e32 v166, 0
	s_mov_b32 s30, exec_lo
	v_cmpx_ne_u32_e32 0, v177
	s_cbranch_execz .LBB4_8025
; %bb.8020:                             ;   in Loop: Header=BB4_7553 Depth=3
	v_bfe_u32 v166, v177, 23, 8
	s_delay_alu instid0(VALU_DEP_1) | instskip(SKIP_1) | instid1(VALU_DEP_2)
	v_sub_nc_u32_e32 v46, 0x70, v166
	v_cmp_gt_u32_e32 vcc_lo, 0x71, v166
	v_dual_cndmask_b32 v46, 0, v46 :: v_dual_and_b32 v45, 0x7fffff, v177
	s_delay_alu instid0(VALU_DEP_1) | instskip(SKIP_2) | instid1(VALU_DEP_4)
	v_or_b32_e32 v47, 0x800000, v45
	v_cmp_eq_u32_e32 vcc_lo, 0, v166
	v_add_nc_u32_e32 v166, 0xffffff91, v166
	v_cndmask_b32_e64 v46, v46, 0x6f, vcc_lo
	s_delay_alu instid0(VALU_DEP_4) | instskip(NEXT) | instid1(VALU_DEP_3)
	v_cndmask_b32_e32 v45, v47, v45, vcc_lo
	v_cndmask_b32_e64 v166, v166, 0xffffff92, vcc_lo
	s_delay_alu instid0(VALU_DEP_3) | instskip(NEXT) | instid1(VALU_DEP_3)
	v_lshl_add_u32 v47, 0x200000, v46, -1
	v_lshrrev_b32_e32 v56, v46, v45
	v_lshlrev_b32_e64 v58, v46, 0x100000
	s_delay_alu instid0(VALU_DEP_4) | instskip(NEXT) | instid1(VALU_DEP_4)
	v_add_nc_u32_e32 v46, v46, v166
	v_and_b32_e32 v45, v47, v45
	s_delay_alu instid0(VALU_DEP_4) | instskip(NEXT) | instid1(VALU_DEP_2)
	v_bfe_u32 v57, v56, 21, 1
	v_cmp_eq_u32_e64 s13, v45, v58
	s_delay_alu instid0(VALU_DEP_2) | instskip(NEXT) | instid1(VALU_DEP_1)
	v_add_nc_u32_e32 v47, -1, v57
	v_cndmask_b32_e64 v45, 0, v47, s13
	v_lshrrev_b32_e32 v47, 23, v56
	s_mov_b32 s13, exec_lo
	s_delay_alu instid0(VALU_DEP_2) | instskip(NEXT) | instid1(VALU_DEP_2)
	v_add_nc_u32_e32 v45, v45, v56
	v_xor_b32_e32 v47, 1, v47
	s_delay_alu instid0(VALU_DEP_2) | instskip(NEXT) | instid1(VALU_DEP_1)
	v_and_b32_e32 v166, 0x1fffff, v45
	v_add_nc_u32_e32 v45, v166, v56
                                        ; implicit-def: $vgpr166
	s_delay_alu instid0(VALU_DEP_3)
	v_cmpx_ne_u32_e64 v46, v47
	s_xor_b32 s13, exec_lo, s13
; %bb.8021:                             ;   in Loop: Header=BB4_7553 Depth=3
	s_delay_alu instid0(VALU_DEP_2) | instskip(SKIP_2) | instid1(VALU_DEP_2)
	v_cmp_lt_u32_e32 vcc_lo, 0xffffff, v45
	v_sub_nc_u32_e32 v166, v46, v47
	v_cndmask_b32_e64 v46, 0, 1, vcc_lo
	v_add_co_ci_u32_e32 v166, vcc_lo, 0, v166, vcc_lo
	s_delay_alu instid0(VALU_DEP_2)
	v_lshrrev_b32_e32 v45, v46, v45
; %bb.8022:                             ;   in Loop: Header=BB4_7553 Depth=3
	s_and_not1_saveexec_b32 s13, s13
; %bb.8023:                             ;   in Loop: Header=BB4_7553 Depth=3
	s_delay_alu instid0(VALU_DEP_1)
	v_bfe_u32 v166, v45, 23, 1
; %bb.8024:                             ;   in Loop: Header=BB4_7553 Depth=3
	s_or_b32 exec_lo, exec_lo, s13
	v_lshrrev_b32_e32 v45, 21, v45
	s_delay_alu instid0(VALU_DEP_2) | instskip(SKIP_2) | instid1(VALU_DEP_4)
	v_cmp_gt_i32_e32 vcc_lo, 32, v166
	v_lshrrev_b32_e32 v177, 24, v177
	v_min_i32_e32 v46, 31, v166
	v_cndmask_b32_e32 v45, 3, v45, vcc_lo
	s_delay_alu instid0(VALU_DEP_3) | instskip(NEXT) | instid1(VALU_DEP_3)
	v_and_b32_e32 v177, 0x80, v177
	v_lshlrev_b32_e32 v46, 2, v46
	s_delay_alu instid0(VALU_DEP_3) | instskip(SKIP_1) | instid1(VALU_DEP_2)
	v_and_b32_e32 v47, 3, v45
	v_or_b32_e32 v166, v166, v45
	v_or3_b32 v177, v46, v177, v47
	s_delay_alu instid0(VALU_DEP_2) | instskip(NEXT) | instid1(VALU_DEP_2)
	v_cmp_ne_u32_e32 vcc_lo, 0, v166
	v_cndmask_b32_e32 v166, 0, v177, vcc_lo
.LBB4_8025:                             ;   in Loop: Header=BB4_7553 Depth=3
	s_or_b32 exec_lo, exec_lo, s30
.LBB4_8026:                             ;   in Loop: Header=BB4_7553 Depth=3
	s_delay_alu instid0(SALU_CYCLE_1) | instskip(SKIP_3) | instid1(VALU_DEP_1)
	s_or_b32 exec_lo, exec_lo, s17
	v_lshrrev_b16 v45, 8, v44
	s_mov_b32 s13, 0
	s_mov_b32 s30, exec_lo
                                        ; implicit-def: $sgpr17
	v_cmpx_lt_i16_e32 0x7f, v45
	s_xor_b32 s30, exec_lo, s30
	s_cbranch_execnz .LBB4_8624
; %bb.8027:                             ;   in Loop: Header=BB4_7553 Depth=3
	s_or_saveexec_b32 s30, s30
	v_mov_b32_e32 v177, s17
	s_xor_b32 exec_lo, exec_lo, s30
	s_cbranch_execnz .LBB4_8627
.LBB4_8028:                             ;   in Loop: Header=BB4_7553 Depth=3
	s_or_b32 exec_lo, exec_lo, s30
	s_and_saveexec_b32 s17, s13
	s_cbranch_execz .LBB4_8030
.LBB4_8029:                             ;   in Loop: Header=BB4_7553 Depth=3
	v_and_b32_e32 v177, 0xffff, v45
	v_lshlrev_b32_e32 v45, 24, v45
	s_delay_alu instid0(VALU_DEP_2) | instskip(NEXT) | instid1(VALU_DEP_2)
	v_and_b32_e32 v46, 3, v177
	v_and_b32_e32 v45, 0x80000000, v45
	s_delay_alu instid0(VALU_DEP_2) | instskip(NEXT) | instid1(VALU_DEP_1)
	v_clz_i32_u32_e32 v47, v46
	v_min_u32_e32 v47, 32, v47
	s_delay_alu instid0(VALU_DEP_1) | instskip(SKIP_1) | instid1(VALU_DEP_2)
	v_subrev_nc_u32_e32 v56, 29, v47
	v_sub_nc_u32_e32 v47, 30, v47
	v_lshlrev_b32_e32 v56, v56, v177
	v_bfe_u32 v177, v177, 2, 5
	s_delay_alu instid0(VALU_DEP_2) | instskip(NEXT) | instid1(VALU_DEP_2)
	v_and_b32_e32 v56, 3, v56
	v_cmp_eq_u32_e32 vcc_lo, 0, v177
	s_delay_alu instid0(VALU_DEP_2) | instskip(NEXT) | instid1(VALU_DEP_1)
	v_dual_cndmask_b32 v177, v177, v47 :: v_dual_cndmask_b32 v46, v46, v56
	v_lshl_add_u32 v177, v177, 23, 0x37800000
	s_delay_alu instid0(VALU_DEP_2) | instskip(NEXT) | instid1(VALU_DEP_1)
	v_lshlrev_b32_e32 v46, 21, v46
	v_or3_b32 v177, v45, v177, v46
.LBB4_8030:                             ;   in Loop: Header=BB4_7553 Depth=3
	s_or_b32 exec_lo, exec_lo, s17
	v_lshrrev_b16 v45, 8, v13
	s_mov_b32 s13, 0
	s_mov_b32 s30, exec_lo
                                        ; implicit-def: $sgpr17
	s_delay_alu instid0(VALU_DEP_1)
	v_cmpx_lt_i16_e32 0x7f, v45
	s_xor_b32 s30, exec_lo, s30
	s_cbranch_execnz .LBB4_8628
; %bb.8031:                             ;   in Loop: Header=BB4_7553 Depth=3
	s_or_saveexec_b32 s30, s30
	v_mov_b32_e32 v46, s17
	s_xor_b32 exec_lo, exec_lo, s30
	s_cbranch_execnz .LBB4_8631
.LBB4_8032:                             ;   in Loop: Header=BB4_7553 Depth=3
	s_or_b32 exec_lo, exec_lo, s30
	s_and_saveexec_b32 s17, s13
	s_cbranch_execz .LBB4_8034
.LBB4_8033:                             ;   in Loop: Header=BB4_7553 Depth=3
	v_and_b32_e32 v46, 0xffff, v45
	v_lshlrev_b32_e32 v45, 24, v45
	s_delay_alu instid0(VALU_DEP_2) | instskip(NEXT) | instid1(VALU_DEP_2)
	v_and_b32_e32 v47, 3, v46
	v_and_b32_e32 v45, 0x80000000, v45
	s_delay_alu instid0(VALU_DEP_2) | instskip(NEXT) | instid1(VALU_DEP_1)
	v_clz_i32_u32_e32 v56, v47
	v_min_u32_e32 v56, 32, v56
	s_delay_alu instid0(VALU_DEP_1) | instskip(SKIP_1) | instid1(VALU_DEP_2)
	v_subrev_nc_u32_e32 v57, 29, v56
	v_sub_nc_u32_e32 v56, 30, v56
	v_lshlrev_b32_e32 v57, v57, v46
	v_bfe_u32 v46, v46, 2, 5
	s_delay_alu instid0(VALU_DEP_2) | instskip(NEXT) | instid1(VALU_DEP_2)
	v_and_b32_e32 v57, 3, v57
	v_cmp_eq_u32_e32 vcc_lo, 0, v46
	s_delay_alu instid0(VALU_DEP_2) | instskip(NEXT) | instid1(VALU_DEP_1)
	v_dual_cndmask_b32 v46, v46, v56 :: v_dual_cndmask_b32 v47, v47, v57
	v_lshl_add_u32 v46, v46, 23, 0x37800000
	s_delay_alu instid0(VALU_DEP_2) | instskip(NEXT) | instid1(VALU_DEP_1)
	v_lshlrev_b32_e32 v47, 21, v47
	v_or3_b32 v46, v45, v46, v47
.LBB4_8034:                             ;   in Loop: Header=BB4_7553 Depth=3
	s_or_b32 exec_lo, exec_lo, s17
	s_delay_alu instid0(VALU_DEP_1) | instskip(NEXT) | instid1(VALU_DEP_1)
	v_add_f32_e32 v45, v177, v46
	v_and_b32_e32 v177, 0x7f800000, v45
	s_delay_alu instid0(VALU_DEP_1)
	v_cmp_ne_u32_e32 vcc_lo, 0x7f800000, v177
	v_mov_b32_e32 v177, 0x8000
	s_and_saveexec_b32 s17, vcc_lo
	s_cbranch_execz .LBB4_8042
; %bb.8035:                             ;   in Loop: Header=BB4_7553 Depth=3
	v_mov_b32_e32 v177, 0
	s_mov_b32 s30, exec_lo
	v_cmpx_ne_u32_e32 0, v45
	s_cbranch_execz .LBB4_8041
; %bb.8036:                             ;   in Loop: Header=BB4_7553 Depth=3
	v_bfe_u32 v177, v45, 23, 8
	s_delay_alu instid0(VALU_DEP_1) | instskip(SKIP_1) | instid1(VALU_DEP_2)
	v_sub_nc_u32_e32 v47, 0x70, v177
	v_cmp_gt_u32_e32 vcc_lo, 0x71, v177
	v_dual_cndmask_b32 v47, 0, v47 :: v_dual_and_b32 v46, 0x7fffff, v45
	s_delay_alu instid0(VALU_DEP_1) | instskip(SKIP_2) | instid1(VALU_DEP_4)
	v_or_b32_e32 v56, 0x800000, v46
	v_cmp_eq_u32_e32 vcc_lo, 0, v177
	v_add_nc_u32_e32 v177, 0xffffff91, v177
	v_cndmask_b32_e64 v47, v47, 0x6f, vcc_lo
	s_delay_alu instid0(VALU_DEP_4) | instskip(NEXT) | instid1(VALU_DEP_3)
	v_cndmask_b32_e32 v46, v56, v46, vcc_lo
	v_cndmask_b32_e64 v177, v177, 0xffffff92, vcc_lo
	s_delay_alu instid0(VALU_DEP_3) | instskip(NEXT) | instid1(VALU_DEP_3)
	v_lshl_add_u32 v56, 0x200000, v47, -1
	v_lshrrev_b32_e32 v57, v47, v46
	v_lshlrev_b32_e64 v59, v47, 0x100000
	s_delay_alu instid0(VALU_DEP_4) | instskip(NEXT) | instid1(VALU_DEP_4)
	v_add_nc_u32_e32 v47, v47, v177
	v_and_b32_e32 v46, v56, v46
	s_delay_alu instid0(VALU_DEP_4) | instskip(NEXT) | instid1(VALU_DEP_2)
	v_bfe_u32 v58, v57, 21, 1
	v_cmp_eq_u32_e64 s13, v46, v59
	s_delay_alu instid0(VALU_DEP_2) | instskip(NEXT) | instid1(VALU_DEP_1)
	v_add_nc_u32_e32 v56, -1, v58
	v_cndmask_b32_e64 v46, 0, v56, s13
	v_lshrrev_b32_e32 v56, 23, v57
	s_mov_b32 s13, exec_lo
	s_delay_alu instid0(VALU_DEP_2) | instskip(NEXT) | instid1(VALU_DEP_2)
	v_add_nc_u32_e32 v46, v46, v57
	v_xor_b32_e32 v56, 1, v56
	s_delay_alu instid0(VALU_DEP_2) | instskip(NEXT) | instid1(VALU_DEP_1)
	v_and_b32_e32 v177, 0x1fffff, v46
	v_add_nc_u32_e32 v46, v177, v57
                                        ; implicit-def: $vgpr177
	s_delay_alu instid0(VALU_DEP_3)
	v_cmpx_ne_u32_e64 v47, v56
	s_xor_b32 s13, exec_lo, s13
; %bb.8037:                             ;   in Loop: Header=BB4_7553 Depth=3
	s_delay_alu instid0(VALU_DEP_2) | instskip(SKIP_2) | instid1(VALU_DEP_2)
	v_cmp_lt_u32_e32 vcc_lo, 0xffffff, v46
	v_sub_nc_u32_e32 v177, v47, v56
	v_cndmask_b32_e64 v47, 0, 1, vcc_lo
	v_add_co_ci_u32_e32 v177, vcc_lo, 0, v177, vcc_lo
	s_delay_alu instid0(VALU_DEP_2)
	v_lshrrev_b32_e32 v46, v47, v46
; %bb.8038:                             ;   in Loop: Header=BB4_7553 Depth=3
	s_and_not1_saveexec_b32 s13, s13
; %bb.8039:                             ;   in Loop: Header=BB4_7553 Depth=3
	s_delay_alu instid0(VALU_DEP_1)
	v_bfe_u32 v177, v46, 23, 1
; %bb.8040:                             ;   in Loop: Header=BB4_7553 Depth=3
	s_or_b32 exec_lo, exec_lo, s13
	v_lshrrev_b32_e32 v46, 21, v46
	s_delay_alu instid0(VALU_DEP_2) | instskip(SKIP_2) | instid1(VALU_DEP_2)
	v_cmp_gt_i32_e32 vcc_lo, 32, v177
	v_min_i32_e32 v47, 31, v177
	v_lshrrev_b32_e32 v45, 24, v45
	v_dual_cndmask_b32 v46, 3, v46 :: v_dual_lshlrev_b32 v47, 2, v47
	s_delay_alu instid0(VALU_DEP_2) | instskip(NEXT) | instid1(VALU_DEP_2)
	v_and_b32_e32 v45, 0x80, v45
	v_or_b32_e32 v177, v177, v46
	s_delay_alu instid0(VALU_DEP_3) | instskip(NEXT) | instid1(VALU_DEP_2)
	v_and_b32_e32 v47, 0xfc, v47
	v_cmp_ne_u32_e32 vcc_lo, 0, v177
	v_and_b32_e32 v56, 3, v46
	s_delay_alu instid0(VALU_DEP_1) | instskip(NEXT) | instid1(VALU_DEP_1)
	v_or3_b32 v45, v45, v47, v56
	v_lshlrev_b32_e32 v45, 8, v45
	s_delay_alu instid0(VALU_DEP_1)
	v_cndmask_b32_e32 v177, 0, v45, vcc_lo
.LBB4_8041:                             ;   in Loop: Header=BB4_7553 Depth=3
	s_or_b32 exec_lo, exec_lo, s30
.LBB4_8042:                             ;   in Loop: Header=BB4_7553 Depth=3
	s_delay_alu instid0(SALU_CYCLE_1) | instskip(SKIP_3) | instid1(VALU_DEP_1)
	s_or_b32 exec_lo, exec_lo, s17
	v_or_b32_e32 v43, v43, v182
	s_mov_b32 s13, 0
	s_mov_b32 s30, exec_lo
                                        ; implicit-def: $sgpr17
	v_and_b32_e32 v45, 0xff, v43
	s_delay_alu instid0(VALU_DEP_1)
	v_cmpx_lt_i16_e32 0x7f, v45
	s_xor_b32 s30, exec_lo, s30
	s_cbranch_execnz .LBB4_8632
; %bb.8043:                             ;   in Loop: Header=BB4_7553 Depth=3
	s_or_saveexec_b32 s30, s30
	v_mov_b32_e32 v182, s17
	s_xor_b32 exec_lo, exec_lo, s30
	s_cbranch_execnz .LBB4_8635
.LBB4_8044:                             ;   in Loop: Header=BB4_7553 Depth=3
	s_or_b32 exec_lo, exec_lo, s30
	v_lshl_or_b32 v43, v43, 16, v44
	s_and_saveexec_b32 s17, s13
	s_cbranch_execz .LBB4_8046
.LBB4_8045:                             ;   in Loop: Header=BB4_7553 Depth=3
	s_delay_alu instid0(VALU_DEP_1) | instskip(SKIP_1) | instid1(VALU_DEP_2)
	v_bfe_u32 v182, v43, 16, 2
	v_lshrrev_b32_e32 v45, 16, v43
	v_clz_i32_u32_e32 v44, v182
	s_delay_alu instid0(VALU_DEP_1) | instskip(NEXT) | instid1(VALU_DEP_1)
	v_min_u32_e32 v44, 32, v44
	v_subrev_nc_u32_e32 v46, 29, v44
	v_sub_nc_u32_e32 v44, 30, v44
	s_delay_alu instid0(VALU_DEP_2) | instskip(SKIP_1) | instid1(VALU_DEP_1)
	v_lshlrev_b32_e32 v45, v46, v45
	v_bfe_u32 v46, v43, 18, 5
	v_cmp_eq_u32_e32 vcc_lo, 0, v46
	s_delay_alu instid0(VALU_DEP_3) | instskip(NEXT) | instid1(VALU_DEP_1)
	v_dual_cndmask_b32 v44, v46, v44 :: v_dual_and_b32 v45, 3, v45
	v_dual_cndmask_b32 v182, v182, v45 :: v_dual_lshlrev_b32 v47, 8, v43
	s_delay_alu instid0(VALU_DEP_2) | instskip(NEXT) | instid1(VALU_DEP_2)
	v_lshl_add_u32 v44, v44, 23, 0x37800000
	v_and_b32_e32 v45, 0x80000000, v47
	s_delay_alu instid0(VALU_DEP_3) | instskip(NEXT) | instid1(VALU_DEP_1)
	v_lshlrev_b32_e32 v182, 21, v182
	v_or3_b32 v182, v45, v44, v182
.LBB4_8046:                             ;   in Loop: Header=BB4_7553 Depth=3
	s_or_b32 exec_lo, exec_lo, s17
	v_lshrrev_b32_e32 v44, 16, v13
	s_mov_b32 s13, 0
	s_mov_b32 s30, exec_lo
                                        ; implicit-def: $sgpr17
	s_delay_alu instid0(VALU_DEP_1) | instskip(NEXT) | instid1(VALU_DEP_1)
	v_and_b32_e32 v46, 0xff, v44
	v_cmpx_lt_i16_e32 0x7f, v46
	s_xor_b32 s30, exec_lo, s30
	s_cbranch_execnz .LBB4_8636
; %bb.8047:                             ;   in Loop: Header=BB4_7553 Depth=3
	s_or_saveexec_b32 s30, s30
	v_mov_b32_e32 v45, s17
	s_xor_b32 exec_lo, exec_lo, s30
	s_cbranch_execnz .LBB4_8639
.LBB4_8048:                             ;   in Loop: Header=BB4_7553 Depth=3
	s_or_b32 exec_lo, exec_lo, s30
	s_and_saveexec_b32 s17, s13
	s_cbranch_execz .LBB4_8050
.LBB4_8049:                             ;   in Loop: Header=BB4_7553 Depth=3
	v_bfe_u32 v45, v13, 16, 2
	v_lshlrev_b32_e32 v56, 8, v13
	s_delay_alu instid0(VALU_DEP_2) | instskip(NEXT) | instid1(VALU_DEP_1)
	v_clz_i32_u32_e32 v46, v45
	v_min_u32_e32 v46, 32, v46
	s_delay_alu instid0(VALU_DEP_1) | instskip(SKIP_1) | instid1(VALU_DEP_2)
	v_subrev_nc_u32_e32 v47, 29, v46
	v_sub_nc_u32_e32 v46, 30, v46
	v_lshlrev_b32_e32 v44, v47, v44
	v_bfe_u32 v47, v13, 18, 5
	s_delay_alu instid0(VALU_DEP_2) | instskip(NEXT) | instid1(VALU_DEP_2)
	v_and_b32_e32 v44, 3, v44
	v_cmp_eq_u32_e32 vcc_lo, 0, v47
	v_cndmask_b32_e32 v46, v47, v46, vcc_lo
	s_delay_alu instid0(VALU_DEP_3) | instskip(SKIP_1) | instid1(VALU_DEP_3)
	v_cndmask_b32_e32 v44, v45, v44, vcc_lo
	v_and_b32_e32 v45, 0x80000000, v56
	v_lshl_add_u32 v46, v46, 23, 0x37800000
	s_delay_alu instid0(VALU_DEP_3) | instskip(NEXT) | instid1(VALU_DEP_1)
	v_lshlrev_b32_e32 v44, 21, v44
	v_or3_b32 v45, v45, v46, v44
.LBB4_8050:                             ;   in Loop: Header=BB4_7553 Depth=3
	s_or_b32 exec_lo, exec_lo, s17
	s_delay_alu instid0(VALU_DEP_1) | instskip(NEXT) | instid1(VALU_DEP_1)
	v_add_f32_e32 v44, v182, v45
	v_and_b32_e32 v182, 0x7f800000, v44
	s_delay_alu instid0(VALU_DEP_1)
	v_cmp_ne_u32_e32 vcc_lo, 0x7f800000, v182
	v_mov_b32_e32 v182, 0x80
	s_and_saveexec_b32 s17, vcc_lo
	s_cbranch_execz .LBB4_8058
; %bb.8051:                             ;   in Loop: Header=BB4_7553 Depth=3
	v_mov_b32_e32 v182, 0
	s_mov_b32 s30, exec_lo
	v_cmpx_ne_u32_e32 0, v44
	s_cbranch_execz .LBB4_8057
; %bb.8052:                             ;   in Loop: Header=BB4_7553 Depth=3
	v_bfe_u32 v182, v44, 23, 8
	s_delay_alu instid0(VALU_DEP_1) | instskip(SKIP_1) | instid1(VALU_DEP_2)
	v_sub_nc_u32_e32 v46, 0x70, v182
	v_cmp_gt_u32_e32 vcc_lo, 0x71, v182
	v_dual_cndmask_b32 v46, 0, v46 :: v_dual_and_b32 v45, 0x7fffff, v44
	s_delay_alu instid0(VALU_DEP_1) | instskip(SKIP_2) | instid1(VALU_DEP_4)
	v_or_b32_e32 v47, 0x800000, v45
	v_cmp_eq_u32_e32 vcc_lo, 0, v182
	v_add_nc_u32_e32 v182, 0xffffff91, v182
	v_cndmask_b32_e64 v46, v46, 0x6f, vcc_lo
	s_delay_alu instid0(VALU_DEP_4) | instskip(NEXT) | instid1(VALU_DEP_3)
	v_cndmask_b32_e32 v45, v47, v45, vcc_lo
	v_cndmask_b32_e64 v182, v182, 0xffffff92, vcc_lo
	s_delay_alu instid0(VALU_DEP_3) | instskip(NEXT) | instid1(VALU_DEP_3)
	v_lshl_add_u32 v47, 0x200000, v46, -1
	v_lshrrev_b32_e32 v56, v46, v45
	v_lshlrev_b32_e64 v58, v46, 0x100000
	s_delay_alu instid0(VALU_DEP_4) | instskip(NEXT) | instid1(VALU_DEP_4)
	v_add_nc_u32_e32 v46, v46, v182
	v_and_b32_e32 v45, v47, v45
	s_delay_alu instid0(VALU_DEP_4) | instskip(NEXT) | instid1(VALU_DEP_2)
	v_bfe_u32 v57, v56, 21, 1
	v_cmp_eq_u32_e64 s13, v45, v58
	s_delay_alu instid0(VALU_DEP_2) | instskip(NEXT) | instid1(VALU_DEP_1)
	v_add_nc_u32_e32 v47, -1, v57
	v_cndmask_b32_e64 v45, 0, v47, s13
	v_lshrrev_b32_e32 v47, 23, v56
	s_mov_b32 s13, exec_lo
	s_delay_alu instid0(VALU_DEP_2) | instskip(NEXT) | instid1(VALU_DEP_2)
	v_add_nc_u32_e32 v45, v45, v56
	v_xor_b32_e32 v47, 1, v47
	s_delay_alu instid0(VALU_DEP_2) | instskip(NEXT) | instid1(VALU_DEP_1)
	v_and_b32_e32 v182, 0x1fffff, v45
	v_add_nc_u32_e32 v45, v182, v56
                                        ; implicit-def: $vgpr182
	s_delay_alu instid0(VALU_DEP_3)
	v_cmpx_ne_u32_e64 v46, v47
	s_xor_b32 s13, exec_lo, s13
; %bb.8053:                             ;   in Loop: Header=BB4_7553 Depth=3
	s_delay_alu instid0(VALU_DEP_2) | instskip(SKIP_2) | instid1(VALU_DEP_2)
	v_cmp_lt_u32_e32 vcc_lo, 0xffffff, v45
	v_sub_nc_u32_e32 v182, v46, v47
	v_cndmask_b32_e64 v46, 0, 1, vcc_lo
	v_add_co_ci_u32_e32 v182, vcc_lo, 0, v182, vcc_lo
	s_delay_alu instid0(VALU_DEP_2)
	v_lshrrev_b32_e32 v45, v46, v45
; %bb.8054:                             ;   in Loop: Header=BB4_7553 Depth=3
	s_and_not1_saveexec_b32 s13, s13
; %bb.8055:                             ;   in Loop: Header=BB4_7553 Depth=3
	s_delay_alu instid0(VALU_DEP_1)
	v_bfe_u32 v182, v45, 23, 1
; %bb.8056:                             ;   in Loop: Header=BB4_7553 Depth=3
	s_or_b32 exec_lo, exec_lo, s13
	v_lshrrev_b32_e32 v45, 21, v45
	s_delay_alu instid0(VALU_DEP_2) | instskip(SKIP_2) | instid1(VALU_DEP_2)
	v_cmp_gt_i32_e32 vcc_lo, 32, v182
	v_min_i32_e32 v46, 31, v182
	v_lshrrev_b32_e32 v44, 24, v44
	v_dual_cndmask_b32 v45, 3, v45 :: v_dual_lshlrev_b32 v46, 2, v46
	s_delay_alu instid0(VALU_DEP_2) | instskip(NEXT) | instid1(VALU_DEP_2)
	v_and_b32_e32 v44, 0x80, v44
	v_or_b32_e32 v182, v182, v45
	s_delay_alu instid0(VALU_DEP_3) | instskip(NEXT) | instid1(VALU_DEP_2)
	v_and_b32_e32 v46, 0xfc, v46
	v_cmp_ne_u32_e32 vcc_lo, 0, v182
	v_and_b32_e32 v47, 3, v45
	s_delay_alu instid0(VALU_DEP_1) | instskip(NEXT) | instid1(VALU_DEP_1)
	v_or3_b32 v44, v46, v44, v47
	v_cndmask_b32_e32 v182, 0, v44, vcc_lo
.LBB4_8057:                             ;   in Loop: Header=BB4_7553 Depth=3
	s_or_b32 exec_lo, exec_lo, s30
.LBB4_8058:                             ;   in Loop: Header=BB4_7553 Depth=3
	s_delay_alu instid0(SALU_CYCLE_1) | instskip(SKIP_3) | instid1(VALU_DEP_1)
	s_or_b32 exec_lo, exec_lo, s17
	v_lshrrev_b32_e32 v45, 24, v43
	s_mov_b32 s13, 0
	s_mov_b32 s30, exec_lo
                                        ; implicit-def: $sgpr17
	v_cmpx_lt_i16_e32 0x7f, v45
	s_xor_b32 s30, exec_lo, s30
	s_cbranch_execnz .LBB4_8640
; %bb.8059:                             ;   in Loop: Header=BB4_7553 Depth=3
	s_or_saveexec_b32 s30, s30
	v_mov_b32_e32 v44, s17
	s_xor_b32 exec_lo, exec_lo, s30
	s_cbranch_execnz .LBB4_8643
.LBB4_8060:                             ;   in Loop: Header=BB4_7553 Depth=3
	s_or_b32 exec_lo, exec_lo, s30
	s_and_saveexec_b32 s17, s13
	s_cbranch_execz .LBB4_8062
.LBB4_8061:                             ;   in Loop: Header=BB4_7553 Depth=3
	v_bfe_u32 v44, v43, 24, 2
	s_delay_alu instid0(VALU_DEP_1) | instskip(NEXT) | instid1(VALU_DEP_1)
	v_clz_i32_u32_e32 v46, v44
	v_min_u32_e32 v46, 32, v46
	s_delay_alu instid0(VALU_DEP_1) | instskip(SKIP_1) | instid1(VALU_DEP_2)
	v_subrev_nc_u32_e32 v47, 29, v46
	v_sub_nc_u32_e32 v46, 30, v46
	v_lshlrev_b32_e32 v45, v47, v45
	v_bfe_u32 v47, v43, 26, 5
	v_and_b32_e32 v43, 0x80000000, v43
	s_delay_alu instid0(VALU_DEP_2) | instskip(NEXT) | instid1(VALU_DEP_4)
	v_cmp_eq_u32_e32 vcc_lo, 0, v47
	v_dual_cndmask_b32 v46, v47, v46 :: v_dual_and_b32 v45, 3, v45
	s_delay_alu instid0(VALU_DEP_1) | instskip(NEXT) | instid1(VALU_DEP_2)
	v_cndmask_b32_e32 v44, v44, v45, vcc_lo
	v_lshl_add_u32 v45, v46, 23, 0x37800000
	s_delay_alu instid0(VALU_DEP_2) | instskip(NEXT) | instid1(VALU_DEP_1)
	v_lshlrev_b32_e32 v44, 21, v44
	v_or3_b32 v44, v43, v45, v44
.LBB4_8062:                             ;   in Loop: Header=BB4_7553 Depth=3
	s_or_b32 exec_lo, exec_lo, s17
	v_lshrrev_b32_e32 v43, 24, v13
	s_mov_b32 s13, 0
	s_mov_b32 s30, exec_lo
                                        ; implicit-def: $sgpr17
	s_delay_alu instid0(VALU_DEP_1)
	v_cmpx_lt_i16_e32 0x7f, v43
	s_xor_b32 s30, exec_lo, s30
	s_cbranch_execnz .LBB4_8644
; %bb.8063:                             ;   in Loop: Header=BB4_7553 Depth=3
	s_or_saveexec_b32 s30, s30
	v_mov_b32_e32 v45, s17
	s_xor_b32 exec_lo, exec_lo, s30
	s_cbranch_execnz .LBB4_8647
.LBB4_8064:                             ;   in Loop: Header=BB4_7553 Depth=3
	s_or_b32 exec_lo, exec_lo, s30
	s_and_saveexec_b32 s17, s13
	s_cbranch_execz .LBB4_8066
.LBB4_8065:                             ;   in Loop: Header=BB4_7553 Depth=3
	v_bfe_u32 v45, v13, 24, 2
	s_delay_alu instid0(VALU_DEP_1) | instskip(NEXT) | instid1(VALU_DEP_1)
	v_clz_i32_u32_e32 v46, v45
	v_min_u32_e32 v46, 32, v46
	s_delay_alu instid0(VALU_DEP_1) | instskip(SKIP_1) | instid1(VALU_DEP_2)
	v_subrev_nc_u32_e32 v47, 29, v46
	v_sub_nc_u32_e32 v46, 30, v46
	v_lshlrev_b32_e32 v43, v47, v43
	v_bfe_u32 v47, v13, 26, 5
	v_and_b32_e32 v13, 0x80000000, v13
	s_delay_alu instid0(VALU_DEP_2) | instskip(NEXT) | instid1(VALU_DEP_4)
	v_cmp_eq_u32_e32 vcc_lo, 0, v47
	v_dual_cndmask_b32 v46, v47, v46 :: v_dual_and_b32 v43, 3, v43
	s_delay_alu instid0(VALU_DEP_1) | instskip(NEXT) | instid1(VALU_DEP_2)
	v_cndmask_b32_e32 v43, v45, v43, vcc_lo
	v_lshl_add_u32 v45, v46, 23, 0x37800000
	s_delay_alu instid0(VALU_DEP_2) | instskip(NEXT) | instid1(VALU_DEP_1)
	v_lshlrev_b32_e32 v43, 21, v43
	v_or3_b32 v45, v13, v45, v43
.LBB4_8066:                             ;   in Loop: Header=BB4_7553 Depth=3
	s_or_b32 exec_lo, exec_lo, s17
	s_delay_alu instid0(VALU_DEP_1) | instskip(NEXT) | instid1(VALU_DEP_1)
	v_add_f32_e32 v43, v44, v45
	v_and_b32_e32 v13, 0x7f800000, v43
	s_delay_alu instid0(VALU_DEP_1)
	v_cmp_ne_u32_e32 vcc_lo, 0x7f800000, v13
	v_mov_b32_e32 v13, 0x8000
	s_and_saveexec_b32 s17, vcc_lo
	s_cbranch_execz .LBB4_8074
; %bb.8067:                             ;   in Loop: Header=BB4_7553 Depth=3
	v_mov_b32_e32 v13, 0
	s_mov_b32 s30, exec_lo
	v_cmpx_ne_u32_e32 0, v43
	s_cbranch_execz .LBB4_8073
; %bb.8068:                             ;   in Loop: Header=BB4_7553 Depth=3
	v_bfe_u32 v13, v43, 23, 8
	s_delay_alu instid0(VALU_DEP_1) | instskip(SKIP_1) | instid1(VALU_DEP_2)
	v_sub_nc_u32_e32 v45, 0x70, v13
	v_cmp_gt_u32_e32 vcc_lo, 0x71, v13
	v_dual_cndmask_b32 v45, 0, v45 :: v_dual_and_b32 v44, 0x7fffff, v43
	s_delay_alu instid0(VALU_DEP_1) | instskip(SKIP_2) | instid1(VALU_DEP_4)
	v_or_b32_e32 v46, 0x800000, v44
	v_cmp_eq_u32_e32 vcc_lo, 0, v13
	v_add_nc_u32_e32 v13, 0xffffff91, v13
	v_cndmask_b32_e64 v45, v45, 0x6f, vcc_lo
	s_delay_alu instid0(VALU_DEP_4) | instskip(NEXT) | instid1(VALU_DEP_3)
	v_cndmask_b32_e32 v44, v46, v44, vcc_lo
	v_cndmask_b32_e64 v13, v13, 0xffffff92, vcc_lo
	s_delay_alu instid0(VALU_DEP_3) | instskip(NEXT) | instid1(VALU_DEP_3)
	v_lshl_add_u32 v46, 0x200000, v45, -1
	v_lshrrev_b32_e32 v47, v45, v44
	v_lshlrev_b32_e64 v57, v45, 0x100000
	s_delay_alu instid0(VALU_DEP_4) | instskip(NEXT) | instid1(VALU_DEP_4)
	v_add_nc_u32_e32 v45, v45, v13
	v_and_b32_e32 v44, v46, v44
	s_delay_alu instid0(VALU_DEP_4) | instskip(NEXT) | instid1(VALU_DEP_2)
	v_bfe_u32 v56, v47, 21, 1
	v_cmp_eq_u32_e64 s13, v44, v57
	s_delay_alu instid0(VALU_DEP_2) | instskip(NEXT) | instid1(VALU_DEP_1)
	v_add_nc_u32_e32 v46, -1, v56
	v_cndmask_b32_e64 v44, 0, v46, s13
	v_lshrrev_b32_e32 v46, 23, v47
	s_mov_b32 s13, exec_lo
	s_delay_alu instid0(VALU_DEP_2) | instskip(NEXT) | instid1(VALU_DEP_2)
	v_add_nc_u32_e32 v44, v44, v47
	v_xor_b32_e32 v46, 1, v46
	s_delay_alu instid0(VALU_DEP_2) | instskip(NEXT) | instid1(VALU_DEP_1)
	v_and_b32_e32 v13, 0x1fffff, v44
	v_add_nc_u32_e32 v44, v13, v47
                                        ; implicit-def: $vgpr13
	s_delay_alu instid0(VALU_DEP_3)
	v_cmpx_ne_u32_e64 v45, v46
	s_xor_b32 s13, exec_lo, s13
; %bb.8069:                             ;   in Loop: Header=BB4_7553 Depth=3
	s_delay_alu instid0(VALU_DEP_2) | instskip(SKIP_2) | instid1(VALU_DEP_2)
	v_cmp_lt_u32_e32 vcc_lo, 0xffffff, v44
	v_sub_nc_u32_e32 v13, v45, v46
	v_cndmask_b32_e64 v45, 0, 1, vcc_lo
	v_add_co_ci_u32_e32 v13, vcc_lo, 0, v13, vcc_lo
	s_delay_alu instid0(VALU_DEP_2)
	v_lshrrev_b32_e32 v44, v45, v44
; %bb.8070:                             ;   in Loop: Header=BB4_7553 Depth=3
	s_and_not1_saveexec_b32 s13, s13
; %bb.8071:                             ;   in Loop: Header=BB4_7553 Depth=3
	s_delay_alu instid0(VALU_DEP_1)
	v_bfe_u32 v13, v44, 23, 1
; %bb.8072:                             ;   in Loop: Header=BB4_7553 Depth=3
	s_or_b32 exec_lo, exec_lo, s13
	v_lshrrev_b32_e32 v44, 21, v44
	s_delay_alu instid0(VALU_DEP_2) | instskip(SKIP_2) | instid1(VALU_DEP_2)
	v_cmp_gt_i32_e32 vcc_lo, 32, v13
	v_min_i32_e32 v45, 31, v13
	v_lshrrev_b32_e32 v43, 24, v43
	v_dual_cndmask_b32 v44, 3, v44 :: v_dual_lshlrev_b32 v45, 2, v45
	s_delay_alu instid0(VALU_DEP_2) | instskip(NEXT) | instid1(VALU_DEP_2)
	v_and_b32_e32 v43, 0x80, v43
	v_or_b32_e32 v13, v13, v44
	s_delay_alu instid0(VALU_DEP_3) | instskip(NEXT) | instid1(VALU_DEP_2)
	v_and_b32_e32 v45, 0xfc, v45
	v_cmp_ne_u32_e32 vcc_lo, 0, v13
	v_and_b32_e32 v46, 3, v44
	s_delay_alu instid0(VALU_DEP_1) | instskip(NEXT) | instid1(VALU_DEP_1)
	v_or3_b32 v43, v43, v45, v46
	v_lshlrev_b32_e32 v43, 8, v43
	s_delay_alu instid0(VALU_DEP_1)
	v_cndmask_b32_e32 v13, 0, v43, vcc_lo
.LBB4_8073:                             ;   in Loop: Header=BB4_7553 Depth=3
	s_or_b32 exec_lo, exec_lo, s30
.LBB4_8074:                             ;   in Loop: Header=BB4_7553 Depth=3
	s_delay_alu instid0(SALU_CYCLE_1) | instskip(SKIP_3) | instid1(VALU_DEP_1)
	s_or_b32 exec_lo, exec_lo, s17
	v_and_b32_e32 v44, 0xff, v42
	s_mov_b32 s13, 0
	s_mov_b32 s30, exec_lo
                                        ; implicit-def: $sgpr17
	v_cmpx_lt_i16_e32 0x7f, v44
	s_xor_b32 s30, exec_lo, s30
	s_cbranch_execnz .LBB4_8648
; %bb.8075:                             ;   in Loop: Header=BB4_7553 Depth=3
	s_or_saveexec_b32 s30, s30
	v_mov_b32_e32 v43, s17
	s_xor_b32 exec_lo, exec_lo, s30
	s_cbranch_execnz .LBB4_8651
.LBB4_8076:                             ;   in Loop: Header=BB4_7553 Depth=3
	s_or_b32 exec_lo, exec_lo, s30
	s_and_saveexec_b32 s17, s13
	s_cbranch_execz .LBB4_8078
.LBB4_8077:                             ;   in Loop: Header=BB4_7553 Depth=3
	v_bfe_u32 v46, v42, 2, 5
	s_delay_alu instid0(VALU_DEP_1) | instskip(SKIP_1) | instid1(VALU_DEP_1)
	v_cmp_eq_u32_e32 vcc_lo, 0, v46
	v_and_b32_e32 v43, 3, v42
	v_clz_i32_u32_e32 v44, v43
	s_delay_alu instid0(VALU_DEP_1) | instskip(NEXT) | instid1(VALU_DEP_1)
	v_min_u32_e32 v44, 32, v44
	v_subrev_nc_u32_e32 v45, 29, v44
	v_sub_nc_u32_e32 v44, 30, v44
	s_delay_alu instid0(VALU_DEP_1) | instskip(NEXT) | instid1(VALU_DEP_1)
	v_dual_cndmask_b32 v44, v46, v44 :: v_dual_lshlrev_b32 v45, v45, v42
	v_and_b32_e32 v45, 3, v45
	v_lshlrev_b32_e32 v42, 24, v42
	s_delay_alu instid0(VALU_DEP_3) | instskip(NEXT) | instid1(VALU_DEP_2)
	v_lshl_add_u32 v44, v44, 23, 0x37800000
	v_dual_cndmask_b32 v43, v43, v45 :: v_dual_and_b32 v42, 0x80000000, v42
	s_delay_alu instid0(VALU_DEP_1) | instskip(NEXT) | instid1(VALU_DEP_1)
	v_lshlrev_b32_e32 v43, 21, v43
	v_or3_b32 v43, v42, v44, v43
.LBB4_8078:                             ;   in Loop: Header=BB4_7553 Depth=3
	s_or_b32 exec_lo, exec_lo, s17
	v_and_b32_e32 v44, 0xff, v14
	s_mov_b32 s13, 0
	s_mov_b32 s30, exec_lo
                                        ; implicit-def: $sgpr17
	s_delay_alu instid0(VALU_DEP_1)
	v_cmpx_lt_i16_e32 0x7f, v44
	s_xor_b32 s30, exec_lo, s30
	s_cbranch_execnz .LBB4_8652
; %bb.8079:                             ;   in Loop: Header=BB4_7553 Depth=3
	s_or_saveexec_b32 s30, s30
	v_mov_b32_e32 v42, s17
	s_xor_b32 exec_lo, exec_lo, s30
	s_cbranch_execnz .LBB4_8655
.LBB4_8080:                             ;   in Loop: Header=BB4_7553 Depth=3
	s_or_b32 exec_lo, exec_lo, s30
	s_and_saveexec_b32 s17, s13
	s_cbranch_execz .LBB4_8082
.LBB4_8081:                             ;   in Loop: Header=BB4_7553 Depth=3
	v_and_b32_e32 v42, 3, v14
	v_bfe_u32 v46, v14, 2, 5
	s_delay_alu instid0(VALU_DEP_2) | instskip(NEXT) | instid1(VALU_DEP_2)
	v_clz_i32_u32_e32 v44, v42
	v_cmp_eq_u32_e32 vcc_lo, 0, v46
	s_delay_alu instid0(VALU_DEP_2) | instskip(NEXT) | instid1(VALU_DEP_1)
	v_min_u32_e32 v44, 32, v44
	v_subrev_nc_u32_e32 v45, 29, v44
	v_sub_nc_u32_e32 v44, 30, v44
	s_delay_alu instid0(VALU_DEP_1) | instskip(NEXT) | instid1(VALU_DEP_1)
	v_dual_cndmask_b32 v44, v46, v44 :: v_dual_lshlrev_b32 v45, v45, v14
	v_and_b32_e32 v45, 3, v45
	v_lshlrev_b32_e32 v47, 24, v14
	s_delay_alu instid0(VALU_DEP_3) | instskip(NEXT) | instid1(VALU_DEP_2)
	v_lshl_add_u32 v44, v44, 23, 0x37800000
	v_dual_cndmask_b32 v42, v42, v45 :: v_dual_and_b32 v45, 0x80000000, v47
	s_delay_alu instid0(VALU_DEP_1) | instskip(NEXT) | instid1(VALU_DEP_1)
	v_lshlrev_b32_e32 v42, 21, v42
	v_or3_b32 v42, v45, v44, v42
.LBB4_8082:                             ;   in Loop: Header=BB4_7553 Depth=3
	s_or_b32 exec_lo, exec_lo, s17
	s_delay_alu instid0(VALU_DEP_1) | instskip(NEXT) | instid1(VALU_DEP_1)
	v_add_f32_e32 v43, v43, v42
	v_and_b32_e32 v42, 0x7f800000, v43
	s_delay_alu instid0(VALU_DEP_1)
	v_cmp_ne_u32_e32 vcc_lo, 0x7f800000, v42
	v_mov_b32_e32 v42, 0x80
	s_and_saveexec_b32 s17, vcc_lo
	s_cbranch_execz .LBB4_8090
; %bb.8083:                             ;   in Loop: Header=BB4_7553 Depth=3
	v_mov_b32_e32 v42, 0
	s_mov_b32 s30, exec_lo
	v_cmpx_ne_u32_e32 0, v43
	s_cbranch_execz .LBB4_8089
; %bb.8084:                             ;   in Loop: Header=BB4_7553 Depth=3
	v_bfe_u32 v42, v43, 23, 8
	s_delay_alu instid0(VALU_DEP_1) | instskip(SKIP_1) | instid1(VALU_DEP_2)
	v_sub_nc_u32_e32 v45, 0x70, v42
	v_cmp_gt_u32_e32 vcc_lo, 0x71, v42
	v_dual_cndmask_b32 v45, 0, v45 :: v_dual_and_b32 v44, 0x7fffff, v43
	s_delay_alu instid0(VALU_DEP_1) | instskip(SKIP_2) | instid1(VALU_DEP_4)
	v_or_b32_e32 v46, 0x800000, v44
	v_cmp_eq_u32_e32 vcc_lo, 0, v42
	v_add_nc_u32_e32 v42, 0xffffff91, v42
	v_cndmask_b32_e64 v45, v45, 0x6f, vcc_lo
	s_delay_alu instid0(VALU_DEP_2) | instskip(SKIP_1) | instid1(VALU_DEP_3)
	v_cndmask_b32_e64 v42, v42, 0xffffff92, vcc_lo
	v_cndmask_b32_e32 v44, v46, v44, vcc_lo
	v_lshl_add_u32 v46, 0x200000, v45, -1
	v_lshlrev_b32_e64 v57, v45, 0x100000
	s_delay_alu instid0(VALU_DEP_3) | instskip(SKIP_1) | instid1(VALU_DEP_4)
	v_lshrrev_b32_e32 v47, v45, v44
	v_add_nc_u32_e32 v45, v45, v42
	v_and_b32_e32 v44, v46, v44
	s_delay_alu instid0(VALU_DEP_3) | instskip(NEXT) | instid1(VALU_DEP_2)
	v_bfe_u32 v56, v47, 21, 1
	v_cmp_eq_u32_e64 s13, v44, v57
	s_delay_alu instid0(VALU_DEP_2) | instskip(NEXT) | instid1(VALU_DEP_1)
	v_add_nc_u32_e32 v46, -1, v56
	v_cndmask_b32_e64 v44, 0, v46, s13
	v_lshrrev_b32_e32 v46, 23, v47
	s_mov_b32 s13, exec_lo
	s_delay_alu instid0(VALU_DEP_2) | instskip(NEXT) | instid1(VALU_DEP_2)
	v_add_nc_u32_e32 v44, v44, v47
	v_xor_b32_e32 v46, 1, v46
	s_delay_alu instid0(VALU_DEP_2) | instskip(NEXT) | instid1(VALU_DEP_1)
	v_and_b32_e32 v42, 0x1fffff, v44
	v_add_nc_u32_e32 v44, v42, v47
                                        ; implicit-def: $vgpr42
	s_delay_alu instid0(VALU_DEP_3)
	v_cmpx_ne_u32_e64 v45, v46
	s_xor_b32 s13, exec_lo, s13
; %bb.8085:                             ;   in Loop: Header=BB4_7553 Depth=3
	s_delay_alu instid0(VALU_DEP_2) | instskip(SKIP_2) | instid1(VALU_DEP_2)
	v_cmp_lt_u32_e32 vcc_lo, 0xffffff, v44
	v_sub_nc_u32_e32 v42, v45, v46
	v_cndmask_b32_e64 v45, 0, 1, vcc_lo
	v_add_co_ci_u32_e32 v42, vcc_lo, 0, v42, vcc_lo
	s_delay_alu instid0(VALU_DEP_2)
	v_lshrrev_b32_e32 v44, v45, v44
; %bb.8086:                             ;   in Loop: Header=BB4_7553 Depth=3
	s_and_not1_saveexec_b32 s13, s13
; %bb.8087:                             ;   in Loop: Header=BB4_7553 Depth=3
	s_delay_alu instid0(VALU_DEP_1)
	v_bfe_u32 v42, v44, 23, 1
; %bb.8088:                             ;   in Loop: Header=BB4_7553 Depth=3
	s_or_b32 exec_lo, exec_lo, s13
	v_lshrrev_b32_e32 v44, 21, v44
	s_delay_alu instid0(VALU_DEP_2) | instskip(SKIP_2) | instid1(VALU_DEP_2)
	v_cmp_gt_i32_e32 vcc_lo, 32, v42
	v_lshrrev_b32_e32 v43, 24, v43
	v_min_i32_e32 v45, 31, v42
	v_dual_cndmask_b32 v44, 3, v44 :: v_dual_and_b32 v43, 0x80, v43
	s_delay_alu instid0(VALU_DEP_1) | instskip(SKIP_1) | instid1(VALU_DEP_2)
	v_or_b32_e32 v42, v42, v44
	v_and_b32_e32 v46, 3, v44
	v_cmp_ne_u32_e32 vcc_lo, 0, v42
	v_lshlrev_b32_e32 v45, 2, v45
	s_delay_alu instid0(VALU_DEP_1) | instskip(NEXT) | instid1(VALU_DEP_1)
	v_or3_b32 v43, v45, v43, v46
	v_cndmask_b32_e32 v42, 0, v43, vcc_lo
.LBB4_8089:                             ;   in Loop: Header=BB4_7553 Depth=3
	s_or_b32 exec_lo, exec_lo, s30
.LBB4_8090:                             ;   in Loop: Header=BB4_7553 Depth=3
	s_delay_alu instid0(SALU_CYCLE_1) | instskip(SKIP_3) | instid1(VALU_DEP_1)
	s_or_b32 exec_lo, exec_lo, s17
	v_and_b32_e32 v44, 0xff, v40
	s_mov_b32 s13, 0
	s_mov_b32 s30, exec_lo
                                        ; implicit-def: $sgpr17
	v_cmpx_lt_i16_e32 0x7f, v44
	s_xor_b32 s30, exec_lo, s30
	s_cbranch_execnz .LBB4_8656
; %bb.8091:                             ;   in Loop: Header=BB4_7553 Depth=3
	s_or_saveexec_b32 s30, s30
	v_mov_b32_e32 v43, s17
	s_xor_b32 exec_lo, exec_lo, s30
	s_cbranch_execnz .LBB4_8659
.LBB4_8092:                             ;   in Loop: Header=BB4_7553 Depth=3
	s_or_b32 exec_lo, exec_lo, s30
	s_and_saveexec_b32 s17, s13
	s_cbranch_execz .LBB4_8094
.LBB4_8093:                             ;   in Loop: Header=BB4_7553 Depth=3
	v_and_b32_e32 v43, 3, v40
	v_bfe_u32 v46, v40, 2, 5
	s_delay_alu instid0(VALU_DEP_2) | instskip(NEXT) | instid1(VALU_DEP_2)
	v_clz_i32_u32_e32 v44, v43
	v_cmp_eq_u32_e32 vcc_lo, 0, v46
	s_delay_alu instid0(VALU_DEP_2) | instskip(NEXT) | instid1(VALU_DEP_1)
	v_min_u32_e32 v44, 32, v44
	v_subrev_nc_u32_e32 v45, 29, v44
	v_sub_nc_u32_e32 v44, 30, v44
	s_delay_alu instid0(VALU_DEP_2) | instskip(NEXT) | instid1(VALU_DEP_1)
	v_lshlrev_b32_e32 v45, v45, v40
	v_dual_cndmask_b32 v44, v46, v44 :: v_dual_and_b32 v45, 3, v45
	v_lshlrev_b32_e32 v40, 24, v40
	s_delay_alu instid0(VALU_DEP_2) | instskip(NEXT) | instid1(VALU_DEP_2)
	v_lshl_add_u32 v44, v44, 23, 0x37800000
	v_dual_cndmask_b32 v43, v43, v45 :: v_dual_and_b32 v40, 0x80000000, v40
	s_delay_alu instid0(VALU_DEP_1) | instskip(NEXT) | instid1(VALU_DEP_1)
	v_lshlrev_b32_e32 v43, 21, v43
	v_or3_b32 v43, v40, v44, v43
.LBB4_8094:                             ;   in Loop: Header=BB4_7553 Depth=3
	s_or_b32 exec_lo, exec_lo, s17
	v_lshrrev_b16 v40, 8, v14
	s_mov_b32 s13, 0
	s_mov_b32 s30, exec_lo
                                        ; implicit-def: $sgpr17
	s_delay_alu instid0(VALU_DEP_1)
	v_cmpx_lt_i16_e32 0x7f, v40
	s_xor_b32 s30, exec_lo, s30
	s_cbranch_execnz .LBB4_8660
; %bb.8095:                             ;   in Loop: Header=BB4_7553 Depth=3
	s_or_saveexec_b32 s30, s30
	v_mov_b32_e32 v44, s17
	s_xor_b32 exec_lo, exec_lo, s30
	s_cbranch_execnz .LBB4_8663
.LBB4_8096:                             ;   in Loop: Header=BB4_7553 Depth=3
	s_or_b32 exec_lo, exec_lo, s30
	s_and_saveexec_b32 s17, s13
	s_cbranch_execz .LBB4_8098
.LBB4_8097:                             ;   in Loop: Header=BB4_7553 Depth=3
	v_and_b32_e32 v44, 0xffff, v40
	v_lshlrev_b32_e32 v40, 24, v40
	s_delay_alu instid0(VALU_DEP_2) | instskip(NEXT) | instid1(VALU_DEP_2)
	v_and_b32_e32 v45, 3, v44
	v_and_b32_e32 v40, 0x80000000, v40
	s_delay_alu instid0(VALU_DEP_2) | instskip(NEXT) | instid1(VALU_DEP_1)
	v_clz_i32_u32_e32 v46, v45
	v_min_u32_e32 v46, 32, v46
	s_delay_alu instid0(VALU_DEP_1) | instskip(SKIP_1) | instid1(VALU_DEP_2)
	v_subrev_nc_u32_e32 v47, 29, v46
	v_sub_nc_u32_e32 v46, 30, v46
	v_lshlrev_b32_e32 v47, v47, v44
	v_bfe_u32 v44, v44, 2, 5
	s_delay_alu instid0(VALU_DEP_2) | instskip(NEXT) | instid1(VALU_DEP_2)
	v_and_b32_e32 v47, 3, v47
	v_cmp_eq_u32_e32 vcc_lo, 0, v44
	s_delay_alu instid0(VALU_DEP_2) | instskip(NEXT) | instid1(VALU_DEP_1)
	v_dual_cndmask_b32 v44, v44, v46 :: v_dual_cndmask_b32 v45, v45, v47
	v_lshl_add_u32 v44, v44, 23, 0x37800000
	s_delay_alu instid0(VALU_DEP_2) | instskip(NEXT) | instid1(VALU_DEP_1)
	v_lshlrev_b32_e32 v45, 21, v45
	v_or3_b32 v44, v40, v44, v45
.LBB4_8098:                             ;   in Loop: Header=BB4_7553 Depth=3
	s_or_b32 exec_lo, exec_lo, s17
	s_delay_alu instid0(VALU_DEP_1) | instskip(NEXT) | instid1(VALU_DEP_1)
	v_add_f32_e32 v43, v43, v44
	v_and_b32_e32 v40, 0x7f800000, v43
	s_delay_alu instid0(VALU_DEP_1)
	v_cmp_ne_u32_e32 vcc_lo, 0x7f800000, v40
	v_mov_b32_e32 v40, 0x80
	s_and_saveexec_b32 s17, vcc_lo
	s_cbranch_execz .LBB4_8106
; %bb.8099:                             ;   in Loop: Header=BB4_7553 Depth=3
	v_mov_b32_e32 v40, 0
	s_mov_b32 s30, exec_lo
	v_cmpx_ne_u32_e32 0, v43
	s_cbranch_execz .LBB4_8105
; %bb.8100:                             ;   in Loop: Header=BB4_7553 Depth=3
	v_bfe_u32 v40, v43, 23, 8
	s_delay_alu instid0(VALU_DEP_1) | instskip(SKIP_1) | instid1(VALU_DEP_2)
	v_sub_nc_u32_e32 v45, 0x70, v40
	v_cmp_gt_u32_e32 vcc_lo, 0x71, v40
	v_dual_cndmask_b32 v45, 0, v45 :: v_dual_and_b32 v44, 0x7fffff, v43
	s_delay_alu instid0(VALU_DEP_1) | instskip(SKIP_2) | instid1(VALU_DEP_4)
	v_or_b32_e32 v46, 0x800000, v44
	v_cmp_eq_u32_e32 vcc_lo, 0, v40
	v_add_nc_u32_e32 v40, 0xffffff91, v40
	v_cndmask_b32_e64 v45, v45, 0x6f, vcc_lo
	s_delay_alu instid0(VALU_DEP_4) | instskip(NEXT) | instid1(VALU_DEP_3)
	v_cndmask_b32_e32 v44, v46, v44, vcc_lo
	v_cndmask_b32_e64 v40, v40, 0xffffff92, vcc_lo
	s_delay_alu instid0(VALU_DEP_3) | instskip(NEXT) | instid1(VALU_DEP_3)
	v_lshl_add_u32 v46, 0x200000, v45, -1
	v_lshrrev_b32_e32 v47, v45, v44
	v_lshlrev_b32_e64 v57, v45, 0x100000
	s_delay_alu instid0(VALU_DEP_4) | instskip(NEXT) | instid1(VALU_DEP_4)
	v_add_nc_u32_e32 v45, v45, v40
	v_and_b32_e32 v44, v46, v44
	s_delay_alu instid0(VALU_DEP_4) | instskip(NEXT) | instid1(VALU_DEP_2)
	v_bfe_u32 v56, v47, 21, 1
	v_cmp_eq_u32_e64 s13, v44, v57
	s_delay_alu instid0(VALU_DEP_2) | instskip(NEXT) | instid1(VALU_DEP_1)
	v_add_nc_u32_e32 v46, -1, v56
	v_cndmask_b32_e64 v44, 0, v46, s13
	v_lshrrev_b32_e32 v46, 23, v47
	s_mov_b32 s13, exec_lo
	s_delay_alu instid0(VALU_DEP_2) | instskip(NEXT) | instid1(VALU_DEP_2)
	v_add_nc_u32_e32 v44, v44, v47
	v_xor_b32_e32 v46, 1, v46
	s_delay_alu instid0(VALU_DEP_2) | instskip(NEXT) | instid1(VALU_DEP_1)
	v_and_b32_e32 v40, 0x1fffff, v44
	v_add_nc_u32_e32 v44, v40, v47
                                        ; implicit-def: $vgpr40
	s_delay_alu instid0(VALU_DEP_3)
	v_cmpx_ne_u32_e64 v45, v46
	s_xor_b32 s13, exec_lo, s13
; %bb.8101:                             ;   in Loop: Header=BB4_7553 Depth=3
	s_delay_alu instid0(VALU_DEP_2) | instskip(SKIP_2) | instid1(VALU_DEP_2)
	v_cmp_lt_u32_e32 vcc_lo, 0xffffff, v44
	v_sub_nc_u32_e32 v40, v45, v46
	v_cndmask_b32_e64 v45, 0, 1, vcc_lo
	v_add_co_ci_u32_e32 v40, vcc_lo, 0, v40, vcc_lo
	s_delay_alu instid0(VALU_DEP_2)
	v_lshrrev_b32_e32 v44, v45, v44
; %bb.8102:                             ;   in Loop: Header=BB4_7553 Depth=3
	s_and_not1_saveexec_b32 s13, s13
; %bb.8103:                             ;   in Loop: Header=BB4_7553 Depth=3
	s_delay_alu instid0(VALU_DEP_1)
	v_bfe_u32 v40, v44, 23, 1
; %bb.8104:                             ;   in Loop: Header=BB4_7553 Depth=3
	s_or_b32 exec_lo, exec_lo, s13
	v_lshrrev_b32_e32 v44, 21, v44
	s_delay_alu instid0(VALU_DEP_2) | instskip(SKIP_2) | instid1(VALU_DEP_2)
	v_cmp_gt_i32_e32 vcc_lo, 32, v40
	v_lshrrev_b32_e32 v43, 24, v43
	v_min_i32_e32 v45, 31, v40
	v_dual_cndmask_b32 v44, 3, v44 :: v_dual_and_b32 v43, 0x80, v43
	s_delay_alu instid0(VALU_DEP_1) | instskip(SKIP_1) | instid1(VALU_DEP_2)
	v_or_b32_e32 v40, v40, v44
	v_and_b32_e32 v46, 3, v44
	v_cmp_ne_u32_e32 vcc_lo, 0, v40
	v_lshlrev_b32_e32 v45, 2, v45
	s_delay_alu instid0(VALU_DEP_1) | instskip(NEXT) | instid1(VALU_DEP_1)
	v_or3_b32 v43, v45, v43, v46
	v_cndmask_b32_e32 v40, 0, v43, vcc_lo
.LBB4_8105:                             ;   in Loop: Header=BB4_7553 Depth=3
	s_or_b32 exec_lo, exec_lo, s30
.LBB4_8106:                             ;   in Loop: Header=BB4_7553 Depth=3
	s_delay_alu instid0(SALU_CYCLE_1) | instskip(SKIP_3) | instid1(VALU_DEP_1)
	s_or_b32 exec_lo, exec_lo, s17
	v_and_b32_e32 v44, 0xff, v183
	s_mov_b32 s13, 0
	s_mov_b32 s30, exec_lo
                                        ; implicit-def: $sgpr17
	v_cmpx_lt_i16_e32 0x7f, v44
	s_xor_b32 s30, exec_lo, s30
	s_cbranch_execnz .LBB4_8664
; %bb.8107:                             ;   in Loop: Header=BB4_7553 Depth=3
	s_or_saveexec_b32 s30, s30
	v_mov_b32_e32 v43, s17
	s_xor_b32 exec_lo, exec_lo, s30
	s_cbranch_execnz .LBB4_8667
.LBB4_8108:                             ;   in Loop: Header=BB4_7553 Depth=3
	s_or_b32 exec_lo, exec_lo, s30
	s_and_saveexec_b32 s17, s13
	s_cbranch_execz .LBB4_8110
.LBB4_8109:                             ;   in Loop: Header=BB4_7553 Depth=3
	v_bfe_u32 v46, v183, 2, 5
	s_delay_alu instid0(VALU_DEP_1) | instskip(SKIP_1) | instid1(VALU_DEP_1)
	v_cmp_eq_u32_e32 vcc_lo, 0, v46
	v_and_b32_e32 v43, 3, v183
	v_clz_i32_u32_e32 v44, v43
	s_delay_alu instid0(VALU_DEP_1) | instskip(NEXT) | instid1(VALU_DEP_1)
	v_min_u32_e32 v44, 32, v44
	v_subrev_nc_u32_e32 v45, 29, v44
	v_sub_nc_u32_e32 v44, 30, v44
	s_delay_alu instid0(VALU_DEP_1) | instskip(SKIP_1) | instid1(VALU_DEP_2)
	v_dual_cndmask_b32 v44, v46, v44 :: v_dual_lshlrev_b32 v45, v45, v183
	v_lshlrev_b32_e32 v183, 24, v183
	v_and_b32_e32 v45, 3, v45
	s_delay_alu instid0(VALU_DEP_3) | instskip(NEXT) | instid1(VALU_DEP_3)
	v_lshl_add_u32 v44, v44, 23, 0x37800000
	v_and_b32_e32 v183, 0x80000000, v183
	s_delay_alu instid0(VALU_DEP_3) | instskip(NEXT) | instid1(VALU_DEP_1)
	v_cndmask_b32_e32 v43, v43, v45, vcc_lo
	v_lshlrev_b32_e32 v43, 21, v43
	s_delay_alu instid0(VALU_DEP_1)
	v_or3_b32 v43, v183, v44, v43
.LBB4_8110:                             ;   in Loop: Header=BB4_7553 Depth=3
	s_or_b32 exec_lo, exec_lo, s17
	v_lshrrev_b32_e32 v183, 16, v14
	s_mov_b32 s13, 0
	s_mov_b32 s30, exec_lo
                                        ; implicit-def: $sgpr17
	s_delay_alu instid0(VALU_DEP_1) | instskip(NEXT) | instid1(VALU_DEP_1)
	v_and_b32_e32 v45, 0xff, v183
	v_cmpx_lt_i16_e32 0x7f, v45
	s_xor_b32 s30, exec_lo, s30
	s_cbranch_execnz .LBB4_8668
; %bb.8111:                             ;   in Loop: Header=BB4_7553 Depth=3
	s_or_saveexec_b32 s30, s30
	v_mov_b32_e32 v44, s17
	s_xor_b32 exec_lo, exec_lo, s30
	s_cbranch_execnz .LBB4_8671
.LBB4_8112:                             ;   in Loop: Header=BB4_7553 Depth=3
	s_or_b32 exec_lo, exec_lo, s30
	s_and_saveexec_b32 s17, s13
	s_cbranch_execz .LBB4_8114
.LBB4_8113:                             ;   in Loop: Header=BB4_7553 Depth=3
	v_bfe_u32 v44, v14, 16, 2
	v_lshlrev_b32_e32 v47, 8, v14
	s_delay_alu instid0(VALU_DEP_2) | instskip(NEXT) | instid1(VALU_DEP_1)
	v_clz_i32_u32_e32 v45, v44
	v_min_u32_e32 v45, 32, v45
	s_delay_alu instid0(VALU_DEP_1) | instskip(SKIP_1) | instid1(VALU_DEP_2)
	v_subrev_nc_u32_e32 v46, 29, v45
	v_sub_nc_u32_e32 v45, 30, v45
	v_lshlrev_b32_e32 v183, v46, v183
	v_bfe_u32 v46, v14, 18, 5
	s_delay_alu instid0(VALU_DEP_2) | instskip(NEXT) | instid1(VALU_DEP_2)
	v_and_b32_e32 v183, 3, v183
	v_cmp_eq_u32_e32 vcc_lo, 0, v46
	v_cndmask_b32_e32 v45, v46, v45, vcc_lo
	s_delay_alu instid0(VALU_DEP_3) | instskip(SKIP_1) | instid1(VALU_DEP_3)
	v_cndmask_b32_e32 v183, v44, v183, vcc_lo
	v_and_b32_e32 v44, 0x80000000, v47
	v_lshl_add_u32 v45, v45, 23, 0x37800000
	s_delay_alu instid0(VALU_DEP_3) | instskip(NEXT) | instid1(VALU_DEP_1)
	v_lshlrev_b32_e32 v183, 21, v183
	v_or3_b32 v44, v44, v45, v183
.LBB4_8114:                             ;   in Loop: Header=BB4_7553 Depth=3
	s_or_b32 exec_lo, exec_lo, s17
	s_delay_alu instid0(VALU_DEP_1) | instskip(NEXT) | instid1(VALU_DEP_1)
	v_add_f32_e32 v43, v43, v44
	v_and_b32_e32 v183, 0x7f800000, v43
	s_delay_alu instid0(VALU_DEP_1)
	v_cmp_ne_u32_e32 vcc_lo, 0x7f800000, v183
	v_mov_b32_e32 v183, 0x80
	s_and_saveexec_b32 s17, vcc_lo
	s_cbranch_execz .LBB4_8122
; %bb.8115:                             ;   in Loop: Header=BB4_7553 Depth=3
	v_mov_b32_e32 v183, 0
	s_mov_b32 s30, exec_lo
	v_cmpx_ne_u32_e32 0, v43
	s_cbranch_execz .LBB4_8121
; %bb.8116:                             ;   in Loop: Header=BB4_7553 Depth=3
	v_bfe_u32 v183, v43, 23, 8
	s_delay_alu instid0(VALU_DEP_1) | instskip(SKIP_1) | instid1(VALU_DEP_2)
	v_sub_nc_u32_e32 v45, 0x70, v183
	v_cmp_gt_u32_e32 vcc_lo, 0x71, v183
	v_dual_cndmask_b32 v45, 0, v45 :: v_dual_and_b32 v44, 0x7fffff, v43
	s_delay_alu instid0(VALU_DEP_1) | instskip(SKIP_2) | instid1(VALU_DEP_4)
	v_or_b32_e32 v46, 0x800000, v44
	v_cmp_eq_u32_e32 vcc_lo, 0, v183
	v_add_nc_u32_e32 v183, 0xffffff91, v183
	v_cndmask_b32_e64 v45, v45, 0x6f, vcc_lo
	s_delay_alu instid0(VALU_DEP_4) | instskip(NEXT) | instid1(VALU_DEP_3)
	v_cndmask_b32_e32 v44, v46, v44, vcc_lo
	v_cndmask_b32_e64 v183, v183, 0xffffff92, vcc_lo
	s_delay_alu instid0(VALU_DEP_3) | instskip(NEXT) | instid1(VALU_DEP_3)
	v_lshl_add_u32 v46, 0x200000, v45, -1
	v_lshrrev_b32_e32 v47, v45, v44
	v_lshlrev_b32_e64 v57, v45, 0x100000
	s_delay_alu instid0(VALU_DEP_4) | instskip(NEXT) | instid1(VALU_DEP_4)
	v_add_nc_u32_e32 v45, v45, v183
	v_and_b32_e32 v44, v46, v44
	s_delay_alu instid0(VALU_DEP_4) | instskip(NEXT) | instid1(VALU_DEP_2)
	v_bfe_u32 v56, v47, 21, 1
	v_cmp_eq_u32_e64 s13, v44, v57
	s_delay_alu instid0(VALU_DEP_2) | instskip(NEXT) | instid1(VALU_DEP_1)
	v_add_nc_u32_e32 v46, -1, v56
	v_cndmask_b32_e64 v44, 0, v46, s13
	v_lshrrev_b32_e32 v46, 23, v47
	s_mov_b32 s13, exec_lo
	s_delay_alu instid0(VALU_DEP_2) | instskip(NEXT) | instid1(VALU_DEP_2)
	v_add_nc_u32_e32 v44, v44, v47
	v_xor_b32_e32 v46, 1, v46
	s_delay_alu instid0(VALU_DEP_2) | instskip(NEXT) | instid1(VALU_DEP_1)
	v_and_b32_e32 v183, 0x1fffff, v44
	v_add_nc_u32_e32 v44, v183, v47
                                        ; implicit-def: $vgpr183
	s_delay_alu instid0(VALU_DEP_3)
	v_cmpx_ne_u32_e64 v45, v46
	s_xor_b32 s13, exec_lo, s13
; %bb.8117:                             ;   in Loop: Header=BB4_7553 Depth=3
	s_delay_alu instid0(VALU_DEP_2) | instskip(SKIP_2) | instid1(VALU_DEP_2)
	v_cmp_lt_u32_e32 vcc_lo, 0xffffff, v44
	v_sub_nc_u32_e32 v183, v45, v46
	v_cndmask_b32_e64 v45, 0, 1, vcc_lo
	v_add_co_ci_u32_e32 v183, vcc_lo, 0, v183, vcc_lo
	s_delay_alu instid0(VALU_DEP_2)
	v_lshrrev_b32_e32 v44, v45, v44
; %bb.8118:                             ;   in Loop: Header=BB4_7553 Depth=3
	s_and_not1_saveexec_b32 s13, s13
; %bb.8119:                             ;   in Loop: Header=BB4_7553 Depth=3
	s_delay_alu instid0(VALU_DEP_1)
	v_bfe_u32 v183, v44, 23, 1
; %bb.8120:                             ;   in Loop: Header=BB4_7553 Depth=3
	s_or_b32 exec_lo, exec_lo, s13
	v_lshrrev_b32_e32 v44, 21, v44
	s_delay_alu instid0(VALU_DEP_2) | instskip(SKIP_2) | instid1(VALU_DEP_2)
	v_cmp_gt_i32_e32 vcc_lo, 32, v183
	v_lshrrev_b32_e32 v43, 24, v43
	v_min_i32_e32 v45, 31, v183
	v_dual_cndmask_b32 v44, 3, v44 :: v_dual_and_b32 v43, 0x80, v43
	s_delay_alu instid0(VALU_DEP_2) | instskip(NEXT) | instid1(VALU_DEP_2)
	v_lshlrev_b32_e32 v45, 2, v45
	v_or_b32_e32 v183, v183, v44
	s_delay_alu instid0(VALU_DEP_1) | instskip(SKIP_1) | instid1(VALU_DEP_1)
	v_cmp_ne_u32_e32 vcc_lo, 0, v183
	v_and_b32_e32 v46, 3, v44
	v_or3_b32 v43, v45, v43, v46
	s_delay_alu instid0(VALU_DEP_1)
	v_cndmask_b32_e32 v183, 0, v43, vcc_lo
.LBB4_8121:                             ;   in Loop: Header=BB4_7553 Depth=3
	s_or_b32 exec_lo, exec_lo, s30
.LBB4_8122:                             ;   in Loop: Header=BB4_7553 Depth=3
	s_delay_alu instid0(SALU_CYCLE_1) | instskip(SKIP_3) | instid1(VALU_DEP_1)
	s_or_b32 exec_lo, exec_lo, s17
	v_and_b32_e32 v44, 0xff, v180
	s_mov_b32 s13, 0
	s_mov_b32 s30, exec_lo
                                        ; implicit-def: $sgpr17
	v_cmpx_lt_i16_e32 0x7f, v44
	s_xor_b32 s30, exec_lo, s30
	s_cbranch_execnz .LBB4_8672
; %bb.8123:                             ;   in Loop: Header=BB4_7553 Depth=3
	s_or_saveexec_b32 s30, s30
	v_mov_b32_e32 v43, s17
	s_xor_b32 exec_lo, exec_lo, s30
	s_cbranch_execnz .LBB4_8675
.LBB4_8124:                             ;   in Loop: Header=BB4_7553 Depth=3
	s_or_b32 exec_lo, exec_lo, s30
	s_and_saveexec_b32 s17, s13
	s_cbranch_execz .LBB4_8126
.LBB4_8125:                             ;   in Loop: Header=BB4_7553 Depth=3
	v_lshlrev_b32_e32 v180, 8, v180
	s_delay_alu instid0(VALU_DEP_1) | instskip(SKIP_1) | instid1(VALU_DEP_2)
	v_and_b32_e32 v43, 0xff00, v180
	v_bfe_u32 v180, v180, 10, 5
	v_bfe_u32 v45, v43, 8, 2
	s_delay_alu instid0(VALU_DEP_2) | instskip(NEXT) | instid1(VALU_DEP_2)
	v_cmp_eq_u32_e32 vcc_lo, 0, v180
	v_clz_i32_u32_e32 v46, v45
	s_delay_alu instid0(VALU_DEP_1) | instskip(NEXT) | instid1(VALU_DEP_1)
	v_min_u32_e32 v46, 32, v46
	v_subrev_nc_u32_e32 v47, 29, v46
	v_sub_nc_u32_e32 v46, 30, v46
	s_delay_alu instid0(VALU_DEP_2) | instskip(NEXT) | instid1(VALU_DEP_2)
	v_lshlrev_b32_e32 v44, v47, v44
	v_cndmask_b32_e32 v180, v180, v46, vcc_lo
	s_delay_alu instid0(VALU_DEP_2) | instskip(SKIP_1) | instid1(VALU_DEP_3)
	v_and_b32_e32 v44, 3, v44
	v_lshlrev_b32_e32 v43, 16, v43
	v_lshl_add_u32 v180, v180, 23, 0x37800000
	s_delay_alu instid0(VALU_DEP_2) | instskip(NEXT) | instid1(VALU_DEP_1)
	v_dual_cndmask_b32 v44, v45, v44 :: v_dual_and_b32 v43, 0x80000000, v43
	v_lshlrev_b32_e32 v44, 21, v44
	s_delay_alu instid0(VALU_DEP_1)
	v_or3_b32 v43, v43, v180, v44
.LBB4_8126:                             ;   in Loop: Header=BB4_7553 Depth=3
	s_or_b32 exec_lo, exec_lo, s17
	v_lshrrev_b32_e32 v180, 24, v14
	s_mov_b32 s13, 0
	s_mov_b32 s30, exec_lo
                                        ; implicit-def: $sgpr17
	s_delay_alu instid0(VALU_DEP_1)
	v_cmpx_lt_i16_e64 0x7f, v180
	s_xor_b32 s30, exec_lo, s30
	s_cbranch_execnz .LBB4_8676
; %bb.8127:                             ;   in Loop: Header=BB4_7553 Depth=3
	s_or_saveexec_b32 s30, s30
	v_mov_b32_e32 v44, s17
	s_xor_b32 exec_lo, exec_lo, s30
	s_cbranch_execnz .LBB4_8679
.LBB4_8128:                             ;   in Loop: Header=BB4_7553 Depth=3
	s_or_b32 exec_lo, exec_lo, s30
	s_and_saveexec_b32 s17, s13
	s_cbranch_execz .LBB4_8130
.LBB4_8129:                             ;   in Loop: Header=BB4_7553 Depth=3
	v_bfe_u32 v44, v14, 24, 2
	s_delay_alu instid0(VALU_DEP_1) | instskip(NEXT) | instid1(VALU_DEP_1)
	v_clz_i32_u32_e32 v45, v44
	v_min_u32_e32 v45, 32, v45
	s_delay_alu instid0(VALU_DEP_1) | instskip(SKIP_1) | instid1(VALU_DEP_2)
	v_subrev_nc_u32_e32 v46, 29, v45
	v_sub_nc_u32_e32 v45, 30, v45
	v_lshlrev_b32_e32 v180, v46, v180
	v_bfe_u32 v46, v14, 26, 5
	v_and_b32_e32 v14, 0x80000000, v14
	s_delay_alu instid0(VALU_DEP_2) | instskip(NEXT) | instid1(VALU_DEP_4)
	v_cmp_eq_u32_e32 vcc_lo, 0, v46
	v_dual_cndmask_b32 v45, v46, v45 :: v_dual_and_b32 v180, 3, v180
	s_delay_alu instid0(VALU_DEP_1) | instskip(NEXT) | instid1(VALU_DEP_2)
	v_cndmask_b32_e32 v180, v44, v180, vcc_lo
	v_lshl_add_u32 v44, v45, 23, 0x37800000
	s_delay_alu instid0(VALU_DEP_2) | instskip(NEXT) | instid1(VALU_DEP_1)
	v_lshlrev_b32_e32 v180, 21, v180
	v_or3_b32 v44, v14, v44, v180
.LBB4_8130:                             ;   in Loop: Header=BB4_7553 Depth=3
	s_or_b32 exec_lo, exec_lo, s17
	s_delay_alu instid0(VALU_DEP_1) | instskip(NEXT) | instid1(VALU_DEP_1)
	v_add_f32_e32 v180, v43, v44
	v_and_b32_e32 v14, 0x7f800000, v180
	s_delay_alu instid0(VALU_DEP_1)
	v_cmp_ne_u32_e32 vcc_lo, 0x7f800000, v14
	v_mov_b32_e32 v14, 0x80
	s_and_saveexec_b32 s17, vcc_lo
	s_cbranch_execz .LBB4_8138
; %bb.8131:                             ;   in Loop: Header=BB4_7553 Depth=3
	v_mov_b32_e32 v14, 0
	s_mov_b32 s30, exec_lo
	v_cmpx_ne_u32_e32 0, v180
	s_cbranch_execz .LBB4_8137
; %bb.8132:                             ;   in Loop: Header=BB4_7553 Depth=3
	v_bfe_u32 v14, v180, 23, 8
	v_and_b32_e32 v43, 0x7fffff, v180
	s_delay_alu instid0(VALU_DEP_2) | instskip(SKIP_1) | instid1(VALU_DEP_3)
	v_sub_nc_u32_e32 v44, 0x70, v14
	v_cmp_gt_u32_e32 vcc_lo, 0x71, v14
	v_or_b32_e32 v45, 0x800000, v43
	s_delay_alu instid0(VALU_DEP_3) | instskip(SKIP_1) | instid1(VALU_DEP_3)
	v_cndmask_b32_e32 v44, 0, v44, vcc_lo
	v_cmp_eq_u32_e32 vcc_lo, 0, v14
	v_dual_cndmask_b32 v43, v45, v43 :: v_dual_add_nc_u32 v14, 0xffffff91, v14
	s_delay_alu instid0(VALU_DEP_3) | instskip(NEXT) | instid1(VALU_DEP_2)
	v_cndmask_b32_e64 v44, v44, 0x6f, vcc_lo
	v_cndmask_b32_e64 v14, v14, 0xffffff92, vcc_lo
	s_delay_alu instid0(VALU_DEP_2) | instskip(SKIP_2) | instid1(VALU_DEP_4)
	v_lshrrev_b32_e32 v46, v44, v43
	v_lshl_add_u32 v45, 0x200000, v44, -1
	v_lshlrev_b32_e64 v56, v44, 0x100000
	v_add_nc_u32_e32 v44, v44, v14
	s_delay_alu instid0(VALU_DEP_4) | instskip(NEXT) | instid1(VALU_DEP_4)
	v_bfe_u32 v47, v46, 21, 1
	v_and_b32_e32 v43, v45, v43
	s_delay_alu instid0(VALU_DEP_2) | instskip(NEXT) | instid1(VALU_DEP_2)
	v_add_nc_u32_e32 v45, -1, v47
	v_cmp_eq_u32_e64 s13, v43, v56
	s_delay_alu instid0(VALU_DEP_1) | instskip(SKIP_2) | instid1(VALU_DEP_2)
	v_cndmask_b32_e64 v43, 0, v45, s13
	v_lshrrev_b32_e32 v45, 23, v46
	s_mov_b32 s13, exec_lo
	v_add_nc_u32_e32 v43, v43, v46
	s_delay_alu instid0(VALU_DEP_2) | instskip(NEXT) | instid1(VALU_DEP_2)
	v_xor_b32_e32 v45, 1, v45
	v_and_b32_e32 v14, 0x1fffff, v43
	s_delay_alu instid0(VALU_DEP_1) | instskip(NEXT) | instid1(VALU_DEP_3)
	v_add_nc_u32_e32 v43, v14, v46
                                        ; implicit-def: $vgpr14
	v_cmpx_ne_u32_e64 v44, v45
	s_xor_b32 s13, exec_lo, s13
; %bb.8133:                             ;   in Loop: Header=BB4_7553 Depth=3
	s_delay_alu instid0(VALU_DEP_2) | instskip(SKIP_2) | instid1(VALU_DEP_2)
	v_cmp_lt_u32_e32 vcc_lo, 0xffffff, v43
	v_sub_nc_u32_e32 v14, v44, v45
	v_cndmask_b32_e64 v44, 0, 1, vcc_lo
	v_add_co_ci_u32_e32 v14, vcc_lo, 0, v14, vcc_lo
	s_delay_alu instid0(VALU_DEP_2)
	v_lshrrev_b32_e32 v43, v44, v43
; %bb.8134:                             ;   in Loop: Header=BB4_7553 Depth=3
	s_and_not1_saveexec_b32 s13, s13
; %bb.8135:                             ;   in Loop: Header=BB4_7553 Depth=3
	s_delay_alu instid0(VALU_DEP_1)
	v_bfe_u32 v14, v43, 23, 1
; %bb.8136:                             ;   in Loop: Header=BB4_7553 Depth=3
	s_or_b32 exec_lo, exec_lo, s13
	v_lshrrev_b32_e32 v43, 21, v43
	s_delay_alu instid0(VALU_DEP_2) | instskip(SKIP_2) | instid1(VALU_DEP_2)
	v_cmp_gt_i32_e32 vcc_lo, 32, v14
	v_lshrrev_b32_e32 v180, 24, v180
	v_min_i32_e32 v44, 31, v14
	v_dual_cndmask_b32 v43, 3, v43 :: v_dual_and_b32 v180, 0x80, v180
	s_delay_alu instid0(VALU_DEP_2) | instskip(NEXT) | instid1(VALU_DEP_2)
	v_lshlrev_b32_e32 v44, 2, v44
	v_or_b32_e32 v14, v14, v43
	s_delay_alu instid0(VALU_DEP_1) | instskip(SKIP_1) | instid1(VALU_DEP_1)
	v_cmp_ne_u32_e32 vcc_lo, 0, v14
	v_and_b32_e32 v45, 3, v43
	v_or3_b32 v180, v44, v180, v45
	s_delay_alu instid0(VALU_DEP_1)
	v_cndmask_b32_e32 v14, 0, v180, vcc_lo
.LBB4_8137:                             ;   in Loop: Header=BB4_7553 Depth=3
	s_or_b32 exec_lo, exec_lo, s30
.LBB4_8138:                             ;   in Loop: Header=BB4_7553 Depth=3
	s_delay_alu instid0(SALU_CYCLE_1) | instskip(SKIP_3) | instid1(VALU_DEP_1)
	s_or_b32 exec_lo, exec_lo, s17
	v_or_b32_e32 v41, v41, v179
	s_mov_b32 s13, 0
	s_mov_b32 s30, exec_lo
                                        ; implicit-def: $sgpr17
	v_and_b32_e32 v180, 0xff, v41
	s_delay_alu instid0(VALU_DEP_1)
	v_cmpx_lt_i16_e64 0x7f, v180
	s_xor_b32 s30, exec_lo, s30
	s_cbranch_execnz .LBB4_8680
; %bb.8139:                             ;   in Loop: Header=BB4_7553 Depth=3
	s_or_saveexec_b32 s30, s30
	v_mov_b32_e32 v179, s17
	s_xor_b32 exec_lo, exec_lo, s30
	s_cbranch_execnz .LBB4_8683
.LBB4_8140:                             ;   in Loop: Header=BB4_7553 Depth=3
	s_or_b32 exec_lo, exec_lo, s30
	s_and_saveexec_b32 s17, s13
	s_cbranch_execz .LBB4_8142
.LBB4_8141:                             ;   in Loop: Header=BB4_7553 Depth=3
	v_bfe_u32 v44, v41, 2, 5
	v_lshlrev_b32_e32 v45, 24, v41
	s_delay_alu instid0(VALU_DEP_2) | instskip(SKIP_1) | instid1(VALU_DEP_1)
	v_cmp_eq_u32_e32 vcc_lo, 0, v44
	v_and_b32_e32 v179, 3, v41
	v_clz_i32_u32_e32 v180, v179
	s_delay_alu instid0(VALU_DEP_1) | instskip(NEXT) | instid1(VALU_DEP_1)
	v_min_u32_e32 v180, 32, v180
	v_subrev_nc_u32_e32 v43, 29, v180
	v_sub_nc_u32_e32 v180, 30, v180
	s_delay_alu instid0(VALU_DEP_1) | instskip(NEXT) | instid1(VALU_DEP_1)
	v_dual_cndmask_b32 v180, v44, v180 :: v_dual_lshlrev_b32 v43, v43, v41
	v_and_b32_e32 v43, 3, v43
	s_delay_alu instid0(VALU_DEP_2) | instskip(NEXT) | instid1(VALU_DEP_2)
	v_lshl_add_u32 v180, v180, 23, 0x37800000
	v_cndmask_b32_e32 v179, v179, v43, vcc_lo
	v_and_b32_e32 v43, 0x80000000, v45
	s_delay_alu instid0(VALU_DEP_2) | instskip(NEXT) | instid1(VALU_DEP_1)
	v_lshlrev_b32_e32 v179, 21, v179
	v_or3_b32 v179, v43, v180, v179
.LBB4_8142:                             ;   in Loop: Header=BB4_7553 Depth=3
	s_or_b32 exec_lo, exec_lo, s17
	v_and_b32_e32 v43, 0xff, v15
	s_mov_b32 s13, 0
	s_mov_b32 s30, exec_lo
                                        ; implicit-def: $sgpr17
	s_delay_alu instid0(VALU_DEP_1)
	v_cmpx_lt_i16_e32 0x7f, v43
	s_xor_b32 s30, exec_lo, s30
	s_cbranch_execnz .LBB4_8684
; %bb.8143:                             ;   in Loop: Header=BB4_7553 Depth=3
	s_or_saveexec_b32 s30, s30
	v_mov_b32_e32 v180, s17
	s_xor_b32 exec_lo, exec_lo, s30
	s_cbranch_execnz .LBB4_8687
.LBB4_8144:                             ;   in Loop: Header=BB4_7553 Depth=3
	s_or_b32 exec_lo, exec_lo, s30
	s_and_saveexec_b32 s17, s13
	s_cbranch_execz .LBB4_8146
.LBB4_8145:                             ;   in Loop: Header=BB4_7553 Depth=3
	v_and_b32_e32 v180, 3, v15
	v_bfe_u32 v45, v15, 2, 5
	v_lshlrev_b32_e32 v46, 24, v15
	s_delay_alu instid0(VALU_DEP_3) | instskip(NEXT) | instid1(VALU_DEP_3)
	v_clz_i32_u32_e32 v43, v180
	v_cmp_eq_u32_e32 vcc_lo, 0, v45
	s_delay_alu instid0(VALU_DEP_2) | instskip(NEXT) | instid1(VALU_DEP_1)
	v_min_u32_e32 v43, 32, v43
	v_subrev_nc_u32_e32 v44, 29, v43
	v_sub_nc_u32_e32 v43, 30, v43
	s_delay_alu instid0(VALU_DEP_2) | instskip(NEXT) | instid1(VALU_DEP_1)
	v_lshlrev_b32_e32 v44, v44, v15
	v_dual_cndmask_b32 v43, v45, v43 :: v_dual_and_b32 v44, 3, v44
	s_delay_alu instid0(VALU_DEP_1) | instskip(NEXT) | instid1(VALU_DEP_2)
	v_lshl_add_u32 v43, v43, 23, 0x37800000
	v_cndmask_b32_e32 v180, v180, v44, vcc_lo
	v_and_b32_e32 v44, 0x80000000, v46
	s_delay_alu instid0(VALU_DEP_2) | instskip(NEXT) | instid1(VALU_DEP_1)
	v_lshlrev_b32_e32 v180, 21, v180
	v_or3_b32 v180, v44, v43, v180
.LBB4_8146:                             ;   in Loop: Header=BB4_7553 Depth=3
	s_or_b32 exec_lo, exec_lo, s17
	s_delay_alu instid0(VALU_DEP_1) | instskip(NEXT) | instid1(VALU_DEP_1)
	v_add_f32_e32 v180, v179, v180
	v_and_b32_e32 v179, 0x7f800000, v180
	s_delay_alu instid0(VALU_DEP_1)
	v_cmp_ne_u32_e32 vcc_lo, 0x7f800000, v179
	v_mov_b32_e32 v179, 0x80
	s_and_saveexec_b32 s17, vcc_lo
	s_cbranch_execz .LBB4_8154
; %bb.8147:                             ;   in Loop: Header=BB4_7553 Depth=3
	v_mov_b32_e32 v179, 0
	s_mov_b32 s30, exec_lo
	v_cmpx_ne_u32_e32 0, v180
	s_cbranch_execz .LBB4_8153
; %bb.8148:                             ;   in Loop: Header=BB4_7553 Depth=3
	v_bfe_u32 v179, v180, 23, 8
	v_and_b32_e32 v43, 0x7fffff, v180
	s_delay_alu instid0(VALU_DEP_2) | instskip(SKIP_1) | instid1(VALU_DEP_3)
	v_sub_nc_u32_e32 v44, 0x70, v179
	v_cmp_gt_u32_e32 vcc_lo, 0x71, v179
	v_or_b32_e32 v45, 0x800000, v43
	s_delay_alu instid0(VALU_DEP_3) | instskip(SKIP_2) | instid1(VALU_DEP_4)
	v_cndmask_b32_e32 v44, 0, v44, vcc_lo
	v_cmp_eq_u32_e32 vcc_lo, 0, v179
	v_add_nc_u32_e32 v179, 0xffffff91, v179
	v_cndmask_b32_e32 v43, v45, v43, vcc_lo
	s_delay_alu instid0(VALU_DEP_4) | instskip(NEXT) | instid1(VALU_DEP_3)
	v_cndmask_b32_e64 v44, v44, 0x6f, vcc_lo
	v_cndmask_b32_e64 v179, v179, 0xffffff92, vcc_lo
	s_delay_alu instid0(VALU_DEP_2) | instskip(SKIP_2) | instid1(VALU_DEP_4)
	v_lshrrev_b32_e32 v46, v44, v43
	v_lshl_add_u32 v45, 0x200000, v44, -1
	v_lshlrev_b32_e64 v56, v44, 0x100000
	v_add_nc_u32_e32 v44, v44, v179
	s_delay_alu instid0(VALU_DEP_4) | instskip(NEXT) | instid1(VALU_DEP_4)
	v_bfe_u32 v47, v46, 21, 1
	v_and_b32_e32 v43, v45, v43
	s_delay_alu instid0(VALU_DEP_2) | instskip(NEXT) | instid1(VALU_DEP_2)
	v_add_nc_u32_e32 v45, -1, v47
	v_cmp_eq_u32_e64 s13, v43, v56
	s_delay_alu instid0(VALU_DEP_1) | instskip(SKIP_2) | instid1(VALU_DEP_2)
	v_cndmask_b32_e64 v43, 0, v45, s13
	v_lshrrev_b32_e32 v45, 23, v46
	s_mov_b32 s13, exec_lo
	v_add_nc_u32_e32 v43, v43, v46
	s_delay_alu instid0(VALU_DEP_2) | instskip(NEXT) | instid1(VALU_DEP_2)
	v_xor_b32_e32 v45, 1, v45
	v_and_b32_e32 v179, 0x1fffff, v43
	s_delay_alu instid0(VALU_DEP_1) | instskip(NEXT) | instid1(VALU_DEP_3)
	v_add_nc_u32_e32 v43, v179, v46
                                        ; implicit-def: $vgpr179
	v_cmpx_ne_u32_e64 v44, v45
	s_xor_b32 s13, exec_lo, s13
; %bb.8149:                             ;   in Loop: Header=BB4_7553 Depth=3
	s_delay_alu instid0(VALU_DEP_2) | instskip(SKIP_2) | instid1(VALU_DEP_2)
	v_cmp_lt_u32_e32 vcc_lo, 0xffffff, v43
	v_sub_nc_u32_e32 v179, v44, v45
	v_cndmask_b32_e64 v44, 0, 1, vcc_lo
	v_add_co_ci_u32_e32 v179, vcc_lo, 0, v179, vcc_lo
	s_delay_alu instid0(VALU_DEP_2)
	v_lshrrev_b32_e32 v43, v44, v43
; %bb.8150:                             ;   in Loop: Header=BB4_7553 Depth=3
	s_and_not1_saveexec_b32 s13, s13
; %bb.8151:                             ;   in Loop: Header=BB4_7553 Depth=3
	s_delay_alu instid0(VALU_DEP_1)
	v_bfe_u32 v179, v43, 23, 1
; %bb.8152:                             ;   in Loop: Header=BB4_7553 Depth=3
	s_or_b32 exec_lo, exec_lo, s13
	v_lshrrev_b32_e32 v43, 21, v43
	s_delay_alu instid0(VALU_DEP_2) | instskip(SKIP_2) | instid1(VALU_DEP_2)
	v_cmp_gt_i32_e32 vcc_lo, 32, v179
	v_lshrrev_b32_e32 v180, 24, v180
	v_min_i32_e32 v44, 31, v179
	v_dual_cndmask_b32 v43, 3, v43 :: v_dual_and_b32 v180, 0x80, v180
	s_delay_alu instid0(VALU_DEP_2) | instskip(NEXT) | instid1(VALU_DEP_2)
	v_lshlrev_b32_e32 v44, 2, v44
	v_and_b32_e32 v45, 3, v43
	v_or_b32_e32 v179, v179, v43
	s_delay_alu instid0(VALU_DEP_2) | instskip(NEXT) | instid1(VALU_DEP_2)
	v_or3_b32 v180, v44, v180, v45
	v_cmp_ne_u32_e32 vcc_lo, 0, v179
	s_delay_alu instid0(VALU_DEP_2)
	v_cndmask_b32_e32 v179, 0, v180, vcc_lo
.LBB4_8153:                             ;   in Loop: Header=BB4_7553 Depth=3
	s_or_b32 exec_lo, exec_lo, s30
.LBB4_8154:                             ;   in Loop: Header=BB4_7553 Depth=3
	s_delay_alu instid0(SALU_CYCLE_1) | instskip(SKIP_3) | instid1(VALU_DEP_1)
	s_or_b32 exec_lo, exec_lo, s17
	v_lshrrev_b16 v43, 8, v41
	s_mov_b32 s13, 0
	s_mov_b32 s30, exec_lo
                                        ; implicit-def: $sgpr17
	v_cmpx_lt_i16_e32 0x7f, v43
	s_xor_b32 s30, exec_lo, s30
	s_cbranch_execnz .LBB4_8688
; %bb.8155:                             ;   in Loop: Header=BB4_7553 Depth=3
	s_or_saveexec_b32 s30, s30
	v_mov_b32_e32 v180, s17
	s_xor_b32 exec_lo, exec_lo, s30
	s_cbranch_execnz .LBB4_8691
.LBB4_8156:                             ;   in Loop: Header=BB4_7553 Depth=3
	s_or_b32 exec_lo, exec_lo, s30
	s_and_saveexec_b32 s17, s13
	s_cbranch_execz .LBB4_8158
.LBB4_8157:                             ;   in Loop: Header=BB4_7553 Depth=3
	v_and_b32_e32 v180, 0xffff, v43
	s_delay_alu instid0(VALU_DEP_1) | instskip(NEXT) | instid1(VALU_DEP_1)
	v_and_b32_e32 v44, 3, v180
	v_clz_i32_u32_e32 v45, v44
	s_delay_alu instid0(VALU_DEP_1) | instskip(NEXT) | instid1(VALU_DEP_1)
	v_min_u32_e32 v45, 32, v45
	v_subrev_nc_u32_e32 v46, 29, v45
	v_sub_nc_u32_e32 v45, 30, v45
	s_delay_alu instid0(VALU_DEP_2) | instskip(SKIP_1) | instid1(VALU_DEP_2)
	v_lshlrev_b32_e32 v46, v46, v180
	v_bfe_u32 v180, v180, 2, 5
	v_and_b32_e32 v46, 3, v46
	s_delay_alu instid0(VALU_DEP_2) | instskip(SKIP_1) | instid1(VALU_DEP_1)
	v_cmp_eq_u32_e32 vcc_lo, 0, v180
	v_dual_cndmask_b32 v180, v180, v45 :: v_dual_lshlrev_b32 v43, 24, v43
	v_dual_cndmask_b32 v44, v44, v46 :: v_dual_and_b32 v43, 0x80000000, v43
	s_delay_alu instid0(VALU_DEP_2) | instskip(NEXT) | instid1(VALU_DEP_2)
	v_lshl_add_u32 v180, v180, 23, 0x37800000
	v_lshlrev_b32_e32 v44, 21, v44
	s_delay_alu instid0(VALU_DEP_1)
	v_or3_b32 v180, v43, v180, v44
.LBB4_8158:                             ;   in Loop: Header=BB4_7553 Depth=3
	s_or_b32 exec_lo, exec_lo, s17
	v_lshrrev_b16 v43, 8, v15
	s_mov_b32 s13, 0
	s_mov_b32 s30, exec_lo
                                        ; implicit-def: $sgpr17
	s_delay_alu instid0(VALU_DEP_1)
	v_cmpx_lt_i16_e32 0x7f, v43
	s_xor_b32 s30, exec_lo, s30
	s_cbranch_execnz .LBB4_8692
; %bb.8159:                             ;   in Loop: Header=BB4_7553 Depth=3
	s_or_saveexec_b32 s30, s30
	v_mov_b32_e32 v44, s17
	s_xor_b32 exec_lo, exec_lo, s30
	s_cbranch_execnz .LBB4_8695
.LBB4_8160:                             ;   in Loop: Header=BB4_7553 Depth=3
	s_or_b32 exec_lo, exec_lo, s30
	s_and_saveexec_b32 s17, s13
	s_cbranch_execz .LBB4_8162
.LBB4_8161:                             ;   in Loop: Header=BB4_7553 Depth=3
	v_and_b32_e32 v44, 0xffff, v43
	v_lshlrev_b32_e32 v43, 24, v43
	s_delay_alu instid0(VALU_DEP_2) | instskip(NEXT) | instid1(VALU_DEP_2)
	v_and_b32_e32 v45, 3, v44
	v_and_b32_e32 v43, 0x80000000, v43
	s_delay_alu instid0(VALU_DEP_2) | instskip(NEXT) | instid1(VALU_DEP_1)
	v_clz_i32_u32_e32 v46, v45
	v_min_u32_e32 v46, 32, v46
	s_delay_alu instid0(VALU_DEP_1) | instskip(SKIP_1) | instid1(VALU_DEP_2)
	v_subrev_nc_u32_e32 v47, 29, v46
	v_sub_nc_u32_e32 v46, 30, v46
	v_lshlrev_b32_e32 v47, v47, v44
	v_bfe_u32 v44, v44, 2, 5
	s_delay_alu instid0(VALU_DEP_2) | instskip(NEXT) | instid1(VALU_DEP_2)
	v_and_b32_e32 v47, 3, v47
	v_cmp_eq_u32_e32 vcc_lo, 0, v44
	s_delay_alu instid0(VALU_DEP_2) | instskip(NEXT) | instid1(VALU_DEP_1)
	v_dual_cndmask_b32 v44, v44, v46 :: v_dual_cndmask_b32 v45, v45, v47
	v_lshl_add_u32 v44, v44, 23, 0x37800000
	s_delay_alu instid0(VALU_DEP_2) | instskip(NEXT) | instid1(VALU_DEP_1)
	v_lshlrev_b32_e32 v45, 21, v45
	v_or3_b32 v44, v43, v44, v45
.LBB4_8162:                             ;   in Loop: Header=BB4_7553 Depth=3
	s_or_b32 exec_lo, exec_lo, s17
	s_delay_alu instid0(VALU_DEP_1) | instskip(NEXT) | instid1(VALU_DEP_1)
	v_add_f32_e32 v43, v180, v44
	v_and_b32_e32 v180, 0x7f800000, v43
	s_delay_alu instid0(VALU_DEP_1)
	v_cmp_ne_u32_e32 vcc_lo, 0x7f800000, v180
	v_mov_b32_e32 v180, 0x8000
	s_and_saveexec_b32 s17, vcc_lo
	s_cbranch_execz .LBB4_8170
; %bb.8163:                             ;   in Loop: Header=BB4_7553 Depth=3
	v_mov_b32_e32 v180, 0
	s_mov_b32 s30, exec_lo
	v_cmpx_ne_u32_e32 0, v43
	s_cbranch_execz .LBB4_8169
; %bb.8164:                             ;   in Loop: Header=BB4_7553 Depth=3
	v_bfe_u32 v180, v43, 23, 8
	s_delay_alu instid0(VALU_DEP_1) | instskip(SKIP_1) | instid1(VALU_DEP_2)
	v_sub_nc_u32_e32 v45, 0x70, v180
	v_cmp_gt_u32_e32 vcc_lo, 0x71, v180
	v_dual_cndmask_b32 v45, 0, v45 :: v_dual_and_b32 v44, 0x7fffff, v43
	s_delay_alu instid0(VALU_DEP_1) | instskip(SKIP_2) | instid1(VALU_DEP_4)
	v_or_b32_e32 v46, 0x800000, v44
	v_cmp_eq_u32_e32 vcc_lo, 0, v180
	v_add_nc_u32_e32 v180, 0xffffff91, v180
	v_cndmask_b32_e64 v45, v45, 0x6f, vcc_lo
	s_delay_alu instid0(VALU_DEP_4) | instskip(NEXT) | instid1(VALU_DEP_3)
	v_cndmask_b32_e32 v44, v46, v44, vcc_lo
	v_cndmask_b32_e64 v180, v180, 0xffffff92, vcc_lo
	s_delay_alu instid0(VALU_DEP_3) | instskip(NEXT) | instid1(VALU_DEP_3)
	v_lshl_add_u32 v46, 0x200000, v45, -1
	v_lshrrev_b32_e32 v47, v45, v44
	v_lshlrev_b32_e64 v57, v45, 0x100000
	s_delay_alu instid0(VALU_DEP_4) | instskip(NEXT) | instid1(VALU_DEP_4)
	v_add_nc_u32_e32 v45, v45, v180
	v_and_b32_e32 v44, v46, v44
	s_delay_alu instid0(VALU_DEP_4) | instskip(NEXT) | instid1(VALU_DEP_2)
	v_bfe_u32 v56, v47, 21, 1
	v_cmp_eq_u32_e64 s13, v44, v57
	s_delay_alu instid0(VALU_DEP_2) | instskip(NEXT) | instid1(VALU_DEP_1)
	v_add_nc_u32_e32 v46, -1, v56
	v_cndmask_b32_e64 v44, 0, v46, s13
	v_lshrrev_b32_e32 v46, 23, v47
	s_mov_b32 s13, exec_lo
	s_delay_alu instid0(VALU_DEP_2) | instskip(NEXT) | instid1(VALU_DEP_2)
	v_add_nc_u32_e32 v44, v44, v47
	v_xor_b32_e32 v46, 1, v46
	s_delay_alu instid0(VALU_DEP_2) | instskip(NEXT) | instid1(VALU_DEP_1)
	v_and_b32_e32 v180, 0x1fffff, v44
	v_add_nc_u32_e32 v44, v180, v47
                                        ; implicit-def: $vgpr180
	s_delay_alu instid0(VALU_DEP_3)
	v_cmpx_ne_u32_e64 v45, v46
	s_xor_b32 s13, exec_lo, s13
; %bb.8165:                             ;   in Loop: Header=BB4_7553 Depth=3
	s_delay_alu instid0(VALU_DEP_2) | instskip(SKIP_2) | instid1(VALU_DEP_2)
	v_cmp_lt_u32_e32 vcc_lo, 0xffffff, v44
	v_sub_nc_u32_e32 v180, v45, v46
	v_cndmask_b32_e64 v45, 0, 1, vcc_lo
	v_add_co_ci_u32_e32 v180, vcc_lo, 0, v180, vcc_lo
	s_delay_alu instid0(VALU_DEP_2)
	v_lshrrev_b32_e32 v44, v45, v44
; %bb.8166:                             ;   in Loop: Header=BB4_7553 Depth=3
	s_and_not1_saveexec_b32 s13, s13
; %bb.8167:                             ;   in Loop: Header=BB4_7553 Depth=3
	s_delay_alu instid0(VALU_DEP_1)
	v_bfe_u32 v180, v44, 23, 1
; %bb.8168:                             ;   in Loop: Header=BB4_7553 Depth=3
	s_or_b32 exec_lo, exec_lo, s13
	v_lshrrev_b32_e32 v44, 21, v44
	s_delay_alu instid0(VALU_DEP_2) | instskip(SKIP_2) | instid1(VALU_DEP_2)
	v_cmp_gt_i32_e32 vcc_lo, 32, v180
	v_min_i32_e32 v45, 31, v180
	v_lshrrev_b32_e32 v43, 24, v43
	v_dual_cndmask_b32 v44, 3, v44 :: v_dual_lshlrev_b32 v45, 2, v45
	s_delay_alu instid0(VALU_DEP_2) | instskip(NEXT) | instid1(VALU_DEP_2)
	v_and_b32_e32 v43, 0x80, v43
	v_or_b32_e32 v180, v180, v44
	v_and_b32_e32 v46, 3, v44
	s_delay_alu instid0(VALU_DEP_2) | instskip(SKIP_1) | instid1(VALU_DEP_1)
	v_cmp_ne_u32_e32 vcc_lo, 0, v180
	v_and_b32_e32 v45, 0xfc, v45
	v_or3_b32 v43, v43, v45, v46
	s_delay_alu instid0(VALU_DEP_1) | instskip(NEXT) | instid1(VALU_DEP_1)
	v_lshlrev_b32_e32 v43, 8, v43
	v_cndmask_b32_e32 v180, 0, v43, vcc_lo
.LBB4_8169:                             ;   in Loop: Header=BB4_7553 Depth=3
	s_or_b32 exec_lo, exec_lo, s30
.LBB4_8170:                             ;   in Loop: Header=BB4_7553 Depth=3
	s_delay_alu instid0(SALU_CYCLE_1) | instskip(SKIP_3) | instid1(VALU_DEP_1)
	s_or_b32 exec_lo, exec_lo, s17
	v_or_b32_e32 v181, v181, v178
	s_mov_b32 s13, 0
	s_mov_b32 s30, exec_lo
                                        ; implicit-def: $sgpr17
	v_and_b32_e32 v43, 0xff, v181
	s_delay_alu instid0(VALU_DEP_1)
	v_cmpx_lt_i16_e32 0x7f, v43
	s_xor_b32 s30, exec_lo, s30
	s_cbranch_execnz .LBB4_8696
; %bb.8171:                             ;   in Loop: Header=BB4_7553 Depth=3
	s_or_saveexec_b32 s30, s30
	v_mov_b32_e32 v178, s17
	s_xor_b32 exec_lo, exec_lo, s30
	s_cbranch_execnz .LBB4_8699
.LBB4_8172:                             ;   in Loop: Header=BB4_7553 Depth=3
	s_or_b32 exec_lo, exec_lo, s30
	v_lshl_or_b32 v181, v181, 16, v41
	s_and_saveexec_b32 s17, s13
	s_cbranch_execz .LBB4_8174
.LBB4_8173:                             ;   in Loop: Header=BB4_7553 Depth=3
	s_delay_alu instid0(VALU_DEP_1) | instskip(SKIP_1) | instid1(VALU_DEP_2)
	v_bfe_u32 v178, v181, 16, 2
	v_lshrrev_b32_e32 v43, 16, v181
	v_clz_i32_u32_e32 v41, v178
	s_delay_alu instid0(VALU_DEP_1) | instskip(NEXT) | instid1(VALU_DEP_1)
	v_min_u32_e32 v41, 32, v41
	v_subrev_nc_u32_e32 v44, 29, v41
	v_sub_nc_u32_e32 v41, 30, v41
	s_delay_alu instid0(VALU_DEP_2) | instskip(SKIP_1) | instid1(VALU_DEP_2)
	v_lshlrev_b32_e32 v43, v44, v43
	v_bfe_u32 v44, v181, 18, 5
	v_and_b32_e32 v43, 3, v43
	s_delay_alu instid0(VALU_DEP_2) | instskip(NEXT) | instid1(VALU_DEP_2)
	v_cmp_eq_u32_e32 vcc_lo, 0, v44
	v_dual_cndmask_b32 v178, v178, v43 :: v_dual_lshlrev_b32 v45, 8, v181
	v_cndmask_b32_e32 v41, v44, v41, vcc_lo
	s_delay_alu instid0(VALU_DEP_2) | instskip(NEXT) | instid1(VALU_DEP_3)
	v_and_b32_e32 v43, 0x80000000, v45
	v_lshlrev_b32_e32 v178, 21, v178
	s_delay_alu instid0(VALU_DEP_3) | instskip(NEXT) | instid1(VALU_DEP_1)
	v_lshl_add_u32 v41, v41, 23, 0x37800000
	v_or3_b32 v178, v43, v41, v178
.LBB4_8174:                             ;   in Loop: Header=BB4_7553 Depth=3
	s_or_b32 exec_lo, exec_lo, s17
	v_lshrrev_b32_e32 v41, 16, v15
	s_mov_b32 s13, 0
	s_mov_b32 s30, exec_lo
                                        ; implicit-def: $sgpr17
	s_delay_alu instid0(VALU_DEP_1) | instskip(NEXT) | instid1(VALU_DEP_1)
	v_and_b32_e32 v44, 0xff, v41
	v_cmpx_lt_i16_e32 0x7f, v44
	s_xor_b32 s30, exec_lo, s30
	s_cbranch_execnz .LBB4_8700
; %bb.8175:                             ;   in Loop: Header=BB4_7553 Depth=3
	s_or_saveexec_b32 s30, s30
	v_mov_b32_e32 v43, s17
	s_xor_b32 exec_lo, exec_lo, s30
	s_cbranch_execnz .LBB4_8703
.LBB4_8176:                             ;   in Loop: Header=BB4_7553 Depth=3
	s_or_b32 exec_lo, exec_lo, s30
	s_and_saveexec_b32 s17, s13
	s_cbranch_execz .LBB4_8178
.LBB4_8177:                             ;   in Loop: Header=BB4_7553 Depth=3
	v_bfe_u32 v43, v15, 16, 2
	s_delay_alu instid0(VALU_DEP_1) | instskip(NEXT) | instid1(VALU_DEP_1)
	v_clz_i32_u32_e32 v44, v43
	v_min_u32_e32 v44, 32, v44
	s_delay_alu instid0(VALU_DEP_1) | instskip(SKIP_1) | instid1(VALU_DEP_2)
	v_subrev_nc_u32_e32 v45, 29, v44
	v_sub_nc_u32_e32 v44, 30, v44
	v_lshlrev_b32_e32 v41, v45, v41
	v_bfe_u32 v45, v15, 18, 5
	s_delay_alu instid0(VALU_DEP_1) | instskip(NEXT) | instid1(VALU_DEP_3)
	v_cmp_eq_u32_e32 vcc_lo, 0, v45
	v_dual_cndmask_b32 v44, v45, v44 :: v_dual_and_b32 v41, 3, v41
	s_delay_alu instid0(VALU_DEP_1) | instskip(NEXT) | instid1(VALU_DEP_2)
	v_dual_cndmask_b32 v41, v43, v41 :: v_dual_lshlrev_b32 v46, 8, v15
	v_lshl_add_u32 v44, v44, 23, 0x37800000
	s_delay_alu instid0(VALU_DEP_2) | instskip(NEXT) | instid1(VALU_DEP_3)
	v_and_b32_e32 v43, 0x80000000, v46
	v_lshlrev_b32_e32 v41, 21, v41
	s_delay_alu instid0(VALU_DEP_1)
	v_or3_b32 v43, v43, v44, v41
.LBB4_8178:                             ;   in Loop: Header=BB4_7553 Depth=3
	s_or_b32 exec_lo, exec_lo, s17
	s_delay_alu instid0(VALU_DEP_1) | instskip(NEXT) | instid1(VALU_DEP_1)
	v_add_f32_e32 v41, v178, v43
	v_and_b32_e32 v178, 0x7f800000, v41
	s_delay_alu instid0(VALU_DEP_1)
	v_cmp_ne_u32_e32 vcc_lo, 0x7f800000, v178
	v_mov_b32_e32 v178, 0x80
	s_and_saveexec_b32 s17, vcc_lo
	s_cbranch_execz .LBB4_8186
; %bb.8179:                             ;   in Loop: Header=BB4_7553 Depth=3
	v_mov_b32_e32 v178, 0
	s_mov_b32 s30, exec_lo
	v_cmpx_ne_u32_e32 0, v41
	s_cbranch_execz .LBB4_8185
; %bb.8180:                             ;   in Loop: Header=BB4_7553 Depth=3
	v_bfe_u32 v178, v41, 23, 8
	s_delay_alu instid0(VALU_DEP_1) | instskip(SKIP_1) | instid1(VALU_DEP_2)
	v_sub_nc_u32_e32 v44, 0x70, v178
	v_cmp_gt_u32_e32 vcc_lo, 0x71, v178
	v_dual_cndmask_b32 v44, 0, v44 :: v_dual_and_b32 v43, 0x7fffff, v41
	s_delay_alu instid0(VALU_DEP_1) | instskip(SKIP_2) | instid1(VALU_DEP_4)
	v_or_b32_e32 v45, 0x800000, v43
	v_cmp_eq_u32_e32 vcc_lo, 0, v178
	v_add_nc_u32_e32 v178, 0xffffff91, v178
	v_cndmask_b32_e64 v44, v44, 0x6f, vcc_lo
	s_delay_alu instid0(VALU_DEP_4) | instskip(NEXT) | instid1(VALU_DEP_3)
	v_cndmask_b32_e32 v43, v45, v43, vcc_lo
	v_cndmask_b32_e64 v178, v178, 0xffffff92, vcc_lo
	s_delay_alu instid0(VALU_DEP_3) | instskip(NEXT) | instid1(VALU_DEP_3)
	v_lshl_add_u32 v45, 0x200000, v44, -1
	v_lshrrev_b32_e32 v46, v44, v43
	v_lshlrev_b32_e64 v56, v44, 0x100000
	s_delay_alu instid0(VALU_DEP_4) | instskip(NEXT) | instid1(VALU_DEP_4)
	v_add_nc_u32_e32 v44, v44, v178
	v_and_b32_e32 v43, v45, v43
	s_delay_alu instid0(VALU_DEP_4) | instskip(NEXT) | instid1(VALU_DEP_2)
	v_bfe_u32 v47, v46, 21, 1
	v_cmp_eq_u32_e64 s13, v43, v56
	s_delay_alu instid0(VALU_DEP_2) | instskip(NEXT) | instid1(VALU_DEP_1)
	v_add_nc_u32_e32 v45, -1, v47
	v_cndmask_b32_e64 v43, 0, v45, s13
	v_lshrrev_b32_e32 v45, 23, v46
	s_mov_b32 s13, exec_lo
	s_delay_alu instid0(VALU_DEP_2) | instskip(NEXT) | instid1(VALU_DEP_2)
	v_add_nc_u32_e32 v43, v43, v46
	v_xor_b32_e32 v45, 1, v45
	s_delay_alu instid0(VALU_DEP_2) | instskip(NEXT) | instid1(VALU_DEP_1)
	v_and_b32_e32 v178, 0x1fffff, v43
	v_add_nc_u32_e32 v43, v178, v46
                                        ; implicit-def: $vgpr178
	s_delay_alu instid0(VALU_DEP_3)
	v_cmpx_ne_u32_e64 v44, v45
	s_xor_b32 s13, exec_lo, s13
; %bb.8181:                             ;   in Loop: Header=BB4_7553 Depth=3
	s_delay_alu instid0(VALU_DEP_2) | instskip(SKIP_2) | instid1(VALU_DEP_2)
	v_cmp_lt_u32_e32 vcc_lo, 0xffffff, v43
	v_sub_nc_u32_e32 v178, v44, v45
	v_cndmask_b32_e64 v44, 0, 1, vcc_lo
	v_add_co_ci_u32_e32 v178, vcc_lo, 0, v178, vcc_lo
	s_delay_alu instid0(VALU_DEP_2)
	v_lshrrev_b32_e32 v43, v44, v43
; %bb.8182:                             ;   in Loop: Header=BB4_7553 Depth=3
	s_and_not1_saveexec_b32 s13, s13
; %bb.8183:                             ;   in Loop: Header=BB4_7553 Depth=3
	s_delay_alu instid0(VALU_DEP_1)
	v_bfe_u32 v178, v43, 23, 1
; %bb.8184:                             ;   in Loop: Header=BB4_7553 Depth=3
	s_or_b32 exec_lo, exec_lo, s13
	v_lshrrev_b32_e32 v43, 21, v43
	s_delay_alu instid0(VALU_DEP_2) | instskip(SKIP_2) | instid1(VALU_DEP_2)
	v_cmp_gt_i32_e32 vcc_lo, 32, v178
	v_min_i32_e32 v44, 31, v178
	v_lshrrev_b32_e32 v41, 24, v41
	v_dual_cndmask_b32 v43, 3, v43 :: v_dual_lshlrev_b32 v44, 2, v44
	s_delay_alu instid0(VALU_DEP_2) | instskip(NEXT) | instid1(VALU_DEP_2)
	v_and_b32_e32 v41, 0x80, v41
	v_or_b32_e32 v178, v178, v43
	s_delay_alu instid0(VALU_DEP_3) | instskip(NEXT) | instid1(VALU_DEP_2)
	v_and_b32_e32 v44, 0xfc, v44
	v_cmp_ne_u32_e32 vcc_lo, 0, v178
	v_and_b32_e32 v45, 3, v43
	s_delay_alu instid0(VALU_DEP_1) | instskip(NEXT) | instid1(VALU_DEP_1)
	v_or3_b32 v41, v44, v41, v45
	v_cndmask_b32_e32 v178, 0, v41, vcc_lo
.LBB4_8185:                             ;   in Loop: Header=BB4_7553 Depth=3
	s_or_b32 exec_lo, exec_lo, s30
.LBB4_8186:                             ;   in Loop: Header=BB4_7553 Depth=3
	s_delay_alu instid0(SALU_CYCLE_1) | instskip(SKIP_3) | instid1(VALU_DEP_1)
	s_or_b32 exec_lo, exec_lo, s17
	v_lshrrev_b32_e32 v43, 24, v181
	s_mov_b32 s13, 0
	s_mov_b32 s30, exec_lo
                                        ; implicit-def: $sgpr17
	v_cmpx_lt_i16_e32 0x7f, v43
	s_xor_b32 s30, exec_lo, s30
	s_cbranch_execnz .LBB4_8704
; %bb.8187:                             ;   in Loop: Header=BB4_7553 Depth=3
	s_or_saveexec_b32 s30, s30
	v_mov_b32_e32 v41, s17
	s_xor_b32 exec_lo, exec_lo, s30
	s_cbranch_execnz .LBB4_8707
.LBB4_8188:                             ;   in Loop: Header=BB4_7553 Depth=3
	s_or_b32 exec_lo, exec_lo, s30
	s_and_saveexec_b32 s17, s13
	s_cbranch_execz .LBB4_8190
.LBB4_8189:                             ;   in Loop: Header=BB4_7553 Depth=3
	v_bfe_u32 v41, v181, 24, 2
	s_delay_alu instid0(VALU_DEP_1) | instskip(NEXT) | instid1(VALU_DEP_1)
	v_clz_i32_u32_e32 v44, v41
	v_min_u32_e32 v44, 32, v44
	s_delay_alu instid0(VALU_DEP_1) | instskip(SKIP_1) | instid1(VALU_DEP_2)
	v_subrev_nc_u32_e32 v45, 29, v44
	v_sub_nc_u32_e32 v44, 30, v44
	v_lshlrev_b32_e32 v43, v45, v43
	v_bfe_u32 v45, v181, 26, 5
	v_and_b32_e32 v181, 0x80000000, v181
	s_delay_alu instid0(VALU_DEP_2) | instskip(NEXT) | instid1(VALU_DEP_4)
	v_cmp_eq_u32_e32 vcc_lo, 0, v45
	v_dual_cndmask_b32 v44, v45, v44 :: v_dual_and_b32 v43, 3, v43
	s_delay_alu instid0(VALU_DEP_1) | instskip(NEXT) | instid1(VALU_DEP_2)
	v_cndmask_b32_e32 v41, v41, v43, vcc_lo
	v_lshl_add_u32 v43, v44, 23, 0x37800000
	s_delay_alu instid0(VALU_DEP_2) | instskip(NEXT) | instid1(VALU_DEP_1)
	v_lshlrev_b32_e32 v41, 21, v41
	v_or3_b32 v41, v181, v43, v41
.LBB4_8190:                             ;   in Loop: Header=BB4_7553 Depth=3
	s_or_b32 exec_lo, exec_lo, s17
	v_lshrrev_b32_e32 v181, 24, v15
	s_mov_b32 s13, 0
	s_mov_b32 s30, exec_lo
                                        ; implicit-def: $sgpr17
	s_delay_alu instid0(VALU_DEP_1)
	v_cmpx_lt_i16_e64 0x7f, v181
	s_xor_b32 s30, exec_lo, s30
	s_cbranch_execnz .LBB4_8708
; %bb.8191:                             ;   in Loop: Header=BB4_7553 Depth=3
	s_or_saveexec_b32 s30, s30
	v_mov_b32_e32 v43, s17
	s_xor_b32 exec_lo, exec_lo, s30
	s_cbranch_execnz .LBB4_8711
.LBB4_8192:                             ;   in Loop: Header=BB4_7553 Depth=3
	s_or_b32 exec_lo, exec_lo, s30
	s_and_saveexec_b32 s17, s13
	s_cbranch_execz .LBB4_8194
.LBB4_8193:                             ;   in Loop: Header=BB4_7553 Depth=3
	v_bfe_u32 v43, v15, 24, 2
	s_delay_alu instid0(VALU_DEP_1) | instskip(NEXT) | instid1(VALU_DEP_1)
	v_clz_i32_u32_e32 v44, v43
	v_min_u32_e32 v44, 32, v44
	s_delay_alu instid0(VALU_DEP_1) | instskip(SKIP_1) | instid1(VALU_DEP_2)
	v_subrev_nc_u32_e32 v45, 29, v44
	v_sub_nc_u32_e32 v44, 30, v44
	v_lshlrev_b32_e32 v181, v45, v181
	v_bfe_u32 v45, v15, 26, 5
	v_and_b32_e32 v15, 0x80000000, v15
	s_delay_alu instid0(VALU_DEP_2) | instskip(NEXT) | instid1(VALU_DEP_4)
	v_cmp_eq_u32_e32 vcc_lo, 0, v45
	v_dual_cndmask_b32 v44, v45, v44 :: v_dual_and_b32 v181, 3, v181
	s_delay_alu instid0(VALU_DEP_1) | instskip(NEXT) | instid1(VALU_DEP_2)
	v_cndmask_b32_e32 v181, v43, v181, vcc_lo
	v_lshl_add_u32 v43, v44, 23, 0x37800000
	s_delay_alu instid0(VALU_DEP_2) | instskip(NEXT) | instid1(VALU_DEP_1)
	v_lshlrev_b32_e32 v181, 21, v181
	v_or3_b32 v43, v15, v43, v181
.LBB4_8194:                             ;   in Loop: Header=BB4_7553 Depth=3
	s_or_b32 exec_lo, exec_lo, s17
	s_delay_alu instid0(VALU_DEP_1) | instskip(NEXT) | instid1(VALU_DEP_1)
	v_add_f32_e32 v181, v41, v43
	v_and_b32_e32 v15, 0x7f800000, v181
	s_delay_alu instid0(VALU_DEP_1)
	v_cmp_ne_u32_e32 vcc_lo, 0x7f800000, v15
	v_mov_b32_e32 v15, 0x8000
	s_and_saveexec_b32 s17, vcc_lo
	s_cbranch_execz .LBB4_8202
; %bb.8195:                             ;   in Loop: Header=BB4_7553 Depth=3
	v_mov_b32_e32 v15, 0
	s_mov_b32 s30, exec_lo
	v_cmpx_ne_u32_e32 0, v181
	s_cbranch_execz .LBB4_8201
; %bb.8196:                             ;   in Loop: Header=BB4_7553 Depth=3
	v_bfe_u32 v15, v181, 23, 8
	v_and_b32_e32 v41, 0x7fffff, v181
	s_delay_alu instid0(VALU_DEP_2) | instskip(SKIP_1) | instid1(VALU_DEP_3)
	v_sub_nc_u32_e32 v43, 0x70, v15
	v_cmp_gt_u32_e32 vcc_lo, 0x71, v15
	v_or_b32_e32 v44, 0x800000, v41
	s_delay_alu instid0(VALU_DEP_3) | instskip(SKIP_2) | instid1(VALU_DEP_3)
	v_cndmask_b32_e32 v43, 0, v43, vcc_lo
	v_cmp_eq_u32_e32 vcc_lo, 0, v15
	v_add_nc_u32_e32 v15, 0xffffff91, v15
	v_cndmask_b32_e64 v43, v43, 0x6f, vcc_lo
	v_cndmask_b32_e32 v41, v44, v41, vcc_lo
	s_delay_alu instid0(VALU_DEP_3) | instskip(NEXT) | instid1(VALU_DEP_3)
	v_cndmask_b32_e64 v15, v15, 0xffffff92, vcc_lo
	v_lshl_add_u32 v44, 0x200000, v43, -1
	s_delay_alu instid0(VALU_DEP_3) | instskip(SKIP_1) | instid1(VALU_DEP_4)
	v_lshrrev_b32_e32 v45, v43, v41
	v_lshlrev_b32_e64 v47, v43, 0x100000
	v_add_nc_u32_e32 v43, v43, v15
	s_delay_alu instid0(VALU_DEP_4) | instskip(NEXT) | instid1(VALU_DEP_4)
	v_and_b32_e32 v41, v44, v41
	v_bfe_u32 v46, v45, 21, 1
	s_delay_alu instid0(VALU_DEP_2) | instskip(NEXT) | instid1(VALU_DEP_2)
	v_cmp_eq_u32_e64 s13, v41, v47
	v_add_nc_u32_e32 v44, -1, v46
	s_delay_alu instid0(VALU_DEP_1) | instskip(SKIP_2) | instid1(VALU_DEP_2)
	v_cndmask_b32_e64 v41, 0, v44, s13
	v_lshrrev_b32_e32 v44, 23, v45
	s_mov_b32 s13, exec_lo
	v_add_nc_u32_e32 v41, v41, v45
	s_delay_alu instid0(VALU_DEP_2) | instskip(NEXT) | instid1(VALU_DEP_2)
	v_xor_b32_e32 v44, 1, v44
	v_and_b32_e32 v15, 0x1fffff, v41
	s_delay_alu instid0(VALU_DEP_1) | instskip(NEXT) | instid1(VALU_DEP_3)
	v_add_nc_u32_e32 v41, v15, v45
                                        ; implicit-def: $vgpr15
	v_cmpx_ne_u32_e64 v43, v44
	s_xor_b32 s13, exec_lo, s13
; %bb.8197:                             ;   in Loop: Header=BB4_7553 Depth=3
	s_delay_alu instid0(VALU_DEP_2) | instskip(SKIP_2) | instid1(VALU_DEP_2)
	v_cmp_lt_u32_e32 vcc_lo, 0xffffff, v41
	v_sub_nc_u32_e32 v15, v43, v44
	v_cndmask_b32_e64 v43, 0, 1, vcc_lo
	v_add_co_ci_u32_e32 v15, vcc_lo, 0, v15, vcc_lo
	s_delay_alu instid0(VALU_DEP_2)
	v_lshrrev_b32_e32 v41, v43, v41
; %bb.8198:                             ;   in Loop: Header=BB4_7553 Depth=3
	s_and_not1_saveexec_b32 s13, s13
; %bb.8199:                             ;   in Loop: Header=BB4_7553 Depth=3
	s_delay_alu instid0(VALU_DEP_1)
	v_bfe_u32 v15, v41, 23, 1
; %bb.8200:                             ;   in Loop: Header=BB4_7553 Depth=3
	s_or_b32 exec_lo, exec_lo, s13
	v_lshrrev_b32_e32 v41, 21, v41
	s_delay_alu instid0(VALU_DEP_2) | instskip(SKIP_2) | instid1(VALU_DEP_3)
	v_min_i32_e32 v43, 31, v15
	v_cmp_gt_i32_e32 vcc_lo, 32, v15
	v_lshrrev_b32_e32 v181, 24, v181
	v_lshlrev_b32_e32 v43, 2, v43
	v_cndmask_b32_e32 v41, 3, v41, vcc_lo
	s_delay_alu instid0(VALU_DEP_3) | instskip(NEXT) | instid1(VALU_DEP_3)
	v_and_b32_e32 v181, 0x80, v181
	v_and_b32_e32 v43, 0xfc, v43
	s_delay_alu instid0(VALU_DEP_3) | instskip(SKIP_1) | instid1(VALU_DEP_2)
	v_and_b32_e32 v44, 3, v41
	v_or_b32_e32 v15, v15, v41
	v_or3_b32 v181, v181, v43, v44
	s_delay_alu instid0(VALU_DEP_2) | instskip(NEXT) | instid1(VALU_DEP_2)
	v_cmp_ne_u32_e32 vcc_lo, 0, v15
	v_lshlrev_b32_e32 v181, 8, v181
	s_delay_alu instid0(VALU_DEP_1)
	v_cndmask_b32_e32 v15, 0, v181, vcc_lo
.LBB4_8201:                             ;   in Loop: Header=BB4_7553 Depth=3
	s_or_b32 exec_lo, exec_lo, s30
.LBB4_8202:                             ;   in Loop: Header=BB4_7553 Depth=3
	s_delay_alu instid0(SALU_CYCLE_1) | instskip(SKIP_3) | instid1(VALU_DEP_1)
	s_or_b32 exec_lo, exec_lo, s17
	v_and_b32_e32 v41, 0xff, v176
	s_mov_b32 s13, 0
	s_mov_b32 s30, exec_lo
                                        ; implicit-def: $sgpr17
	v_cmpx_lt_i16_e32 0x7f, v41
	s_xor_b32 s30, exec_lo, s30
	s_cbranch_execnz .LBB4_8712
; %bb.8203:                             ;   in Loop: Header=BB4_7553 Depth=3
	s_or_saveexec_b32 s30, s30
	v_mov_b32_e32 v181, s17
	s_xor_b32 exec_lo, exec_lo, s30
	s_cbranch_execnz .LBB4_8715
.LBB4_8204:                             ;   in Loop: Header=BB4_7553 Depth=3
	s_or_b32 exec_lo, exec_lo, s30
	s_and_saveexec_b32 s17, s13
	s_cbranch_execz .LBB4_8206
.LBB4_8205:                             ;   in Loop: Header=BB4_7553 Depth=3
	v_and_b32_e32 v181, 3, v176
	v_bfe_u32 v44, v176, 2, 5
	s_delay_alu instid0(VALU_DEP_2) | instskip(NEXT) | instid1(VALU_DEP_2)
	v_clz_i32_u32_e32 v41, v181
	v_cmp_eq_u32_e32 vcc_lo, 0, v44
	s_delay_alu instid0(VALU_DEP_2) | instskip(NEXT) | instid1(VALU_DEP_1)
	v_min_u32_e32 v41, 32, v41
	v_subrev_nc_u32_e32 v43, 29, v41
	v_sub_nc_u32_e32 v41, 30, v41
	s_delay_alu instid0(VALU_DEP_2) | instskip(NEXT) | instid1(VALU_DEP_2)
	v_lshlrev_b32_e32 v43, v43, v176
	v_dual_cndmask_b32 v41, v44, v41 :: v_dual_lshlrev_b32 v176, 24, v176
	s_delay_alu instid0(VALU_DEP_2) | instskip(NEXT) | instid1(VALU_DEP_2)
	v_and_b32_e32 v43, 3, v43
	v_and_b32_e32 v176, 0x80000000, v176
	s_delay_alu instid0(VALU_DEP_3) | instskip(NEXT) | instid1(VALU_DEP_3)
	v_lshl_add_u32 v41, v41, 23, 0x37800000
	v_cndmask_b32_e32 v181, v181, v43, vcc_lo
	s_delay_alu instid0(VALU_DEP_1) | instskip(NEXT) | instid1(VALU_DEP_1)
	v_lshlrev_b32_e32 v181, 21, v181
	v_or3_b32 v181, v176, v41, v181
.LBB4_8206:                             ;   in Loop: Header=BB4_7553 Depth=3
	s_or_b32 exec_lo, exec_lo, s17
	s_waitcnt vmcnt(0)
	v_and_b32_e32 v41, 0xff, v8
	s_mov_b32 s13, 0
	s_mov_b32 s30, exec_lo
                                        ; implicit-def: $sgpr17
	s_delay_alu instid0(VALU_DEP_1)
	v_cmpx_lt_i16_e32 0x7f, v41
	s_xor_b32 s30, exec_lo, s30
	s_cbranch_execnz .LBB4_8716
; %bb.8207:                             ;   in Loop: Header=BB4_7553 Depth=3
	s_or_saveexec_b32 s30, s30
	v_mov_b32_e32 v176, s17
	s_xor_b32 exec_lo, exec_lo, s30
	s_cbranch_execnz .LBB4_8719
.LBB4_8208:                             ;   in Loop: Header=BB4_7553 Depth=3
	s_or_b32 exec_lo, exec_lo, s30
	s_and_saveexec_b32 s17, s13
	s_cbranch_execz .LBB4_8210
.LBB4_8209:                             ;   in Loop: Header=BB4_7553 Depth=3
	v_bfe_u32 v44, v8, 2, 5
	s_delay_alu instid0(VALU_DEP_1) | instskip(SKIP_1) | instid1(VALU_DEP_1)
	v_cmp_eq_u32_e32 vcc_lo, 0, v44
	v_and_b32_e32 v176, 3, v8
	v_clz_i32_u32_e32 v41, v176
	s_delay_alu instid0(VALU_DEP_1) | instskip(NEXT) | instid1(VALU_DEP_1)
	v_min_u32_e32 v41, 32, v41
	v_subrev_nc_u32_e32 v43, 29, v41
	v_sub_nc_u32_e32 v41, 30, v41
	s_delay_alu instid0(VALU_DEP_2) | instskip(NEXT) | instid1(VALU_DEP_2)
	v_lshlrev_b32_e32 v43, v43, v8
	v_cndmask_b32_e32 v41, v44, v41, vcc_lo
	s_delay_alu instid0(VALU_DEP_2) | instskip(SKIP_1) | instid1(VALU_DEP_3)
	v_and_b32_e32 v43, 3, v43
	v_lshlrev_b32_e32 v45, 24, v8
	v_lshl_add_u32 v41, v41, 23, 0x37800000
	s_delay_alu instid0(VALU_DEP_2) | instskip(NEXT) | instid1(VALU_DEP_1)
	v_dual_cndmask_b32 v176, v176, v43 :: v_dual_and_b32 v43, 0x80000000, v45
	v_lshlrev_b32_e32 v176, 21, v176
	s_delay_alu instid0(VALU_DEP_1)
	v_or3_b32 v176, v43, v41, v176
.LBB4_8210:                             ;   in Loop: Header=BB4_7553 Depth=3
	s_or_b32 exec_lo, exec_lo, s17
	s_delay_alu instid0(VALU_DEP_1) | instskip(NEXT) | instid1(VALU_DEP_1)
	v_add_f32_e32 v181, v181, v176
	v_and_b32_e32 v176, 0x7f800000, v181
	s_delay_alu instid0(VALU_DEP_1)
	v_cmp_ne_u32_e32 vcc_lo, 0x7f800000, v176
	v_mov_b32_e32 v176, 0x80
	s_and_saveexec_b32 s17, vcc_lo
	s_cbranch_execz .LBB4_8218
; %bb.8211:                             ;   in Loop: Header=BB4_7553 Depth=3
	v_mov_b32_e32 v176, 0
	s_mov_b32 s30, exec_lo
	v_cmpx_ne_u32_e32 0, v181
	s_cbranch_execz .LBB4_8217
; %bb.8212:                             ;   in Loop: Header=BB4_7553 Depth=3
	v_bfe_u32 v176, v181, 23, 8
	v_and_b32_e32 v41, 0x7fffff, v181
	s_delay_alu instid0(VALU_DEP_2) | instskip(SKIP_1) | instid1(VALU_DEP_3)
	v_sub_nc_u32_e32 v43, 0x70, v176
	v_cmp_gt_u32_e32 vcc_lo, 0x71, v176
	v_or_b32_e32 v44, 0x800000, v41
	s_delay_alu instid0(VALU_DEP_3) | instskip(SKIP_2) | instid1(VALU_DEP_3)
	v_cndmask_b32_e32 v43, 0, v43, vcc_lo
	v_cmp_eq_u32_e32 vcc_lo, 0, v176
	v_add_nc_u32_e32 v176, 0xffffff91, v176
	v_cndmask_b32_e64 v43, v43, 0x6f, vcc_lo
	v_cndmask_b32_e32 v41, v44, v41, vcc_lo
	s_delay_alu instid0(VALU_DEP_3) | instskip(NEXT) | instid1(VALU_DEP_3)
	v_cndmask_b32_e64 v176, v176, 0xffffff92, vcc_lo
	v_lshl_add_u32 v44, 0x200000, v43, -1
	s_delay_alu instid0(VALU_DEP_3) | instskip(SKIP_1) | instid1(VALU_DEP_4)
	v_lshrrev_b32_e32 v45, v43, v41
	v_lshlrev_b32_e64 v47, v43, 0x100000
	v_add_nc_u32_e32 v43, v43, v176
	s_delay_alu instid0(VALU_DEP_4) | instskip(NEXT) | instid1(VALU_DEP_4)
	v_and_b32_e32 v41, v44, v41
	v_bfe_u32 v46, v45, 21, 1
	s_delay_alu instid0(VALU_DEP_2) | instskip(NEXT) | instid1(VALU_DEP_2)
	v_cmp_eq_u32_e64 s13, v41, v47
	v_add_nc_u32_e32 v44, -1, v46
	s_delay_alu instid0(VALU_DEP_1) | instskip(SKIP_2) | instid1(VALU_DEP_2)
	v_cndmask_b32_e64 v41, 0, v44, s13
	v_lshrrev_b32_e32 v44, 23, v45
	s_mov_b32 s13, exec_lo
	v_add_nc_u32_e32 v41, v41, v45
	s_delay_alu instid0(VALU_DEP_2) | instskip(NEXT) | instid1(VALU_DEP_2)
	v_xor_b32_e32 v44, 1, v44
	v_and_b32_e32 v176, 0x1fffff, v41
	s_delay_alu instid0(VALU_DEP_1) | instskip(NEXT) | instid1(VALU_DEP_3)
	v_add_nc_u32_e32 v41, v176, v45
                                        ; implicit-def: $vgpr176
	v_cmpx_ne_u32_e64 v43, v44
	s_xor_b32 s13, exec_lo, s13
; %bb.8213:                             ;   in Loop: Header=BB4_7553 Depth=3
	s_delay_alu instid0(VALU_DEP_2) | instskip(SKIP_2) | instid1(VALU_DEP_2)
	v_cmp_lt_u32_e32 vcc_lo, 0xffffff, v41
	v_sub_nc_u32_e32 v176, v43, v44
	v_cndmask_b32_e64 v43, 0, 1, vcc_lo
	v_add_co_ci_u32_e32 v176, vcc_lo, 0, v176, vcc_lo
	s_delay_alu instid0(VALU_DEP_2)
	v_lshrrev_b32_e32 v41, v43, v41
; %bb.8214:                             ;   in Loop: Header=BB4_7553 Depth=3
	s_and_not1_saveexec_b32 s13, s13
; %bb.8215:                             ;   in Loop: Header=BB4_7553 Depth=3
	s_delay_alu instid0(VALU_DEP_1)
	v_bfe_u32 v176, v41, 23, 1
; %bb.8216:                             ;   in Loop: Header=BB4_7553 Depth=3
	s_or_b32 exec_lo, exec_lo, s13
	v_lshrrev_b32_e32 v41, 21, v41
	s_delay_alu instid0(VALU_DEP_2) | instskip(SKIP_2) | instid1(VALU_DEP_4)
	v_cmp_gt_i32_e32 vcc_lo, 32, v176
	v_lshrrev_b32_e32 v181, 24, v181
	v_min_i32_e32 v43, 31, v176
	v_cndmask_b32_e32 v41, 3, v41, vcc_lo
	s_delay_alu instid0(VALU_DEP_3) | instskip(NEXT) | instid1(VALU_DEP_2)
	v_and_b32_e32 v181, 0x80, v181
	v_or_b32_e32 v176, v176, v41
	v_and_b32_e32 v44, 3, v41
	s_delay_alu instid0(VALU_DEP_2) | instskip(SKIP_1) | instid1(VALU_DEP_1)
	v_cmp_ne_u32_e32 vcc_lo, 0, v176
	v_lshlrev_b32_e32 v43, 2, v43
	v_or3_b32 v181, v43, v181, v44
	s_delay_alu instid0(VALU_DEP_1)
	v_cndmask_b32_e32 v176, 0, v181, vcc_lo
.LBB4_8217:                             ;   in Loop: Header=BB4_7553 Depth=3
	s_or_b32 exec_lo, exec_lo, s30
.LBB4_8218:                             ;   in Loop: Header=BB4_7553 Depth=3
	s_delay_alu instid0(SALU_CYCLE_1) | instskip(SKIP_3) | instid1(VALU_DEP_1)
	s_or_b32 exec_lo, exec_lo, s17
	v_and_b32_e32 v41, 0xff, v165
	s_mov_b32 s13, 0
	s_mov_b32 s30, exec_lo
                                        ; implicit-def: $sgpr17
	v_cmpx_lt_i16_e32 0x7f, v41
	s_xor_b32 s30, exec_lo, s30
	s_cbranch_execnz .LBB4_8720
; %bb.8219:                             ;   in Loop: Header=BB4_7553 Depth=3
	s_or_saveexec_b32 s30, s30
	v_mov_b32_e32 v181, s17
	s_xor_b32 exec_lo, exec_lo, s30
	s_cbranch_execnz .LBB4_8723
.LBB4_8220:                             ;   in Loop: Header=BB4_7553 Depth=3
	s_or_b32 exec_lo, exec_lo, s30
	s_and_saveexec_b32 s17, s13
	s_cbranch_execz .LBB4_8222
.LBB4_8221:                             ;   in Loop: Header=BB4_7553 Depth=3
	v_and_b32_e32 v181, 3, v165
	v_bfe_u32 v44, v165, 2, 5
	s_delay_alu instid0(VALU_DEP_2) | instskip(NEXT) | instid1(VALU_DEP_2)
	v_clz_i32_u32_e32 v41, v181
	v_cmp_eq_u32_e32 vcc_lo, 0, v44
	s_delay_alu instid0(VALU_DEP_2) | instskip(NEXT) | instid1(VALU_DEP_1)
	v_min_u32_e32 v41, 32, v41
	v_subrev_nc_u32_e32 v43, 29, v41
	v_sub_nc_u32_e32 v41, 30, v41
	s_delay_alu instid0(VALU_DEP_2) | instskip(SKIP_1) | instid1(VALU_DEP_3)
	v_lshlrev_b32_e32 v43, v43, v165
	v_lshlrev_b32_e32 v165, 24, v165
	v_cndmask_b32_e32 v41, v44, v41, vcc_lo
	s_delay_alu instid0(VALU_DEP_3) | instskip(NEXT) | instid1(VALU_DEP_3)
	v_and_b32_e32 v43, 3, v43
	v_and_b32_e32 v165, 0x80000000, v165
	s_delay_alu instid0(VALU_DEP_3) | instskip(NEXT) | instid1(VALU_DEP_3)
	v_lshl_add_u32 v41, v41, 23, 0x37800000
	v_cndmask_b32_e32 v181, v181, v43, vcc_lo
	s_delay_alu instid0(VALU_DEP_1) | instskip(NEXT) | instid1(VALU_DEP_1)
	v_lshlrev_b32_e32 v181, 21, v181
	v_or3_b32 v181, v165, v41, v181
.LBB4_8222:                             ;   in Loop: Header=BB4_7553 Depth=3
	s_or_b32 exec_lo, exec_lo, s17
	v_lshrrev_b16 v165, 8, v8
	s_mov_b32 s13, 0
	s_mov_b32 s30, exec_lo
                                        ; implicit-def: $sgpr17
	s_delay_alu instid0(VALU_DEP_1)
	v_cmpx_lt_i16_e64 0x7f, v165
	s_xor_b32 s30, exec_lo, s30
	s_cbranch_execnz .LBB4_8724
; %bb.8223:                             ;   in Loop: Header=BB4_7553 Depth=3
	s_or_saveexec_b32 s30, s30
	v_mov_b32_e32 v41, s17
	s_xor_b32 exec_lo, exec_lo, s30
	s_cbranch_execnz .LBB4_8727
.LBB4_8224:                             ;   in Loop: Header=BB4_7553 Depth=3
	s_or_b32 exec_lo, exec_lo, s30
	s_and_saveexec_b32 s17, s13
	s_cbranch_execz .LBB4_8226
.LBB4_8225:                             ;   in Loop: Header=BB4_7553 Depth=3
	v_and_b32_e32 v41, 0xffff, v165
	v_lshlrev_b32_e32 v165, 24, v165
	s_delay_alu instid0(VALU_DEP_2) | instskip(NEXT) | instid1(VALU_DEP_2)
	v_and_b32_e32 v43, 3, v41
	v_and_b32_e32 v165, 0x80000000, v165
	s_delay_alu instid0(VALU_DEP_2) | instskip(NEXT) | instid1(VALU_DEP_1)
	v_clz_i32_u32_e32 v44, v43
	v_min_u32_e32 v44, 32, v44
	s_delay_alu instid0(VALU_DEP_1) | instskip(SKIP_1) | instid1(VALU_DEP_2)
	v_subrev_nc_u32_e32 v45, 29, v44
	v_sub_nc_u32_e32 v44, 30, v44
	v_lshlrev_b32_e32 v45, v45, v41
	v_bfe_u32 v41, v41, 2, 5
	s_delay_alu instid0(VALU_DEP_2) | instskip(NEXT) | instid1(VALU_DEP_2)
	v_and_b32_e32 v45, 3, v45
	v_cmp_eq_u32_e32 vcc_lo, 0, v41
	v_cndmask_b32_e32 v41, v41, v44, vcc_lo
	s_delay_alu instid0(VALU_DEP_3) | instskip(NEXT) | instid1(VALU_DEP_2)
	v_cndmask_b32_e32 v43, v43, v45, vcc_lo
	v_lshl_add_u32 v41, v41, 23, 0x37800000
	s_delay_alu instid0(VALU_DEP_2) | instskip(NEXT) | instid1(VALU_DEP_1)
	v_lshlrev_b32_e32 v43, 21, v43
	v_or3_b32 v41, v165, v41, v43
.LBB4_8226:                             ;   in Loop: Header=BB4_7553 Depth=3
	s_or_b32 exec_lo, exec_lo, s17
	s_delay_alu instid0(VALU_DEP_1) | instskip(NEXT) | instid1(VALU_DEP_1)
	v_add_f32_e32 v181, v181, v41
	v_and_b32_e32 v165, 0x7f800000, v181
	s_delay_alu instid0(VALU_DEP_1)
	v_cmp_ne_u32_e32 vcc_lo, 0x7f800000, v165
	v_mov_b32_e32 v165, 0x80
	s_and_saveexec_b32 s17, vcc_lo
	s_cbranch_execz .LBB4_8234
; %bb.8227:                             ;   in Loop: Header=BB4_7553 Depth=3
	v_mov_b32_e32 v165, 0
	s_mov_b32 s30, exec_lo
	v_cmpx_ne_u32_e32 0, v181
	s_cbranch_execz .LBB4_8233
; %bb.8228:                             ;   in Loop: Header=BB4_7553 Depth=3
	v_bfe_u32 v165, v181, 23, 8
	v_and_b32_e32 v41, 0x7fffff, v181
	s_delay_alu instid0(VALU_DEP_2) | instskip(SKIP_1) | instid1(VALU_DEP_3)
	v_sub_nc_u32_e32 v43, 0x70, v165
	v_cmp_gt_u32_e32 vcc_lo, 0x71, v165
	v_or_b32_e32 v44, 0x800000, v41
	s_delay_alu instid0(VALU_DEP_3) | instskip(SKIP_2) | instid1(VALU_DEP_3)
	v_cndmask_b32_e32 v43, 0, v43, vcc_lo
	v_cmp_eq_u32_e32 vcc_lo, 0, v165
	v_add_nc_u32_e32 v165, 0xffffff91, v165
	v_cndmask_b32_e64 v43, v43, 0x6f, vcc_lo
	v_cndmask_b32_e32 v41, v44, v41, vcc_lo
	s_delay_alu instid0(VALU_DEP_3) | instskip(NEXT) | instid1(VALU_DEP_3)
	v_cndmask_b32_e64 v165, v165, 0xffffff92, vcc_lo
	v_lshl_add_u32 v44, 0x200000, v43, -1
	s_delay_alu instid0(VALU_DEP_3) | instskip(SKIP_1) | instid1(VALU_DEP_4)
	v_lshrrev_b32_e32 v45, v43, v41
	v_lshlrev_b32_e64 v47, v43, 0x100000
	v_add_nc_u32_e32 v43, v43, v165
	s_delay_alu instid0(VALU_DEP_4) | instskip(NEXT) | instid1(VALU_DEP_4)
	v_and_b32_e32 v41, v44, v41
	v_bfe_u32 v46, v45, 21, 1
	s_delay_alu instid0(VALU_DEP_2) | instskip(NEXT) | instid1(VALU_DEP_2)
	v_cmp_eq_u32_e64 s13, v41, v47
	v_add_nc_u32_e32 v44, -1, v46
	s_delay_alu instid0(VALU_DEP_1) | instskip(SKIP_2) | instid1(VALU_DEP_2)
	v_cndmask_b32_e64 v41, 0, v44, s13
	v_lshrrev_b32_e32 v44, 23, v45
	s_mov_b32 s13, exec_lo
	v_add_nc_u32_e32 v41, v41, v45
	s_delay_alu instid0(VALU_DEP_2) | instskip(NEXT) | instid1(VALU_DEP_2)
	v_xor_b32_e32 v44, 1, v44
	v_and_b32_e32 v165, 0x1fffff, v41
	s_delay_alu instid0(VALU_DEP_1) | instskip(NEXT) | instid1(VALU_DEP_3)
	v_add_nc_u32_e32 v41, v165, v45
                                        ; implicit-def: $vgpr165
	v_cmpx_ne_u32_e64 v43, v44
	s_xor_b32 s13, exec_lo, s13
; %bb.8229:                             ;   in Loop: Header=BB4_7553 Depth=3
	s_delay_alu instid0(VALU_DEP_2) | instskip(SKIP_2) | instid1(VALU_DEP_2)
	v_cmp_lt_u32_e32 vcc_lo, 0xffffff, v41
	v_sub_nc_u32_e32 v165, v43, v44
	v_cndmask_b32_e64 v43, 0, 1, vcc_lo
	v_add_co_ci_u32_e32 v165, vcc_lo, 0, v165, vcc_lo
	s_delay_alu instid0(VALU_DEP_2)
	v_lshrrev_b32_e32 v41, v43, v41
; %bb.8230:                             ;   in Loop: Header=BB4_7553 Depth=3
	s_and_not1_saveexec_b32 s13, s13
; %bb.8231:                             ;   in Loop: Header=BB4_7553 Depth=3
	s_delay_alu instid0(VALU_DEP_1)
	v_bfe_u32 v165, v41, 23, 1
; %bb.8232:                             ;   in Loop: Header=BB4_7553 Depth=3
	s_or_b32 exec_lo, exec_lo, s13
	v_lshrrev_b32_e32 v41, 21, v41
	s_delay_alu instid0(VALU_DEP_2) | instskip(SKIP_2) | instid1(VALU_DEP_4)
	v_cmp_gt_i32_e32 vcc_lo, 32, v165
	v_lshrrev_b32_e32 v181, 24, v181
	v_min_i32_e32 v43, 31, v165
	v_cndmask_b32_e32 v41, 3, v41, vcc_lo
	s_delay_alu instid0(VALU_DEP_3) | instskip(NEXT) | instid1(VALU_DEP_3)
	v_and_b32_e32 v181, 0x80, v181
	v_lshlrev_b32_e32 v43, 2, v43
	s_delay_alu instid0(VALU_DEP_3) | instskip(SKIP_1) | instid1(VALU_DEP_2)
	v_and_b32_e32 v44, 3, v41
	v_or_b32_e32 v165, v165, v41
	v_or3_b32 v181, v43, v181, v44
	s_delay_alu instid0(VALU_DEP_2) | instskip(NEXT) | instid1(VALU_DEP_2)
	v_cmp_ne_u32_e32 vcc_lo, 0, v165
	v_cndmask_b32_e32 v165, 0, v181, vcc_lo
.LBB4_8233:                             ;   in Loop: Header=BB4_7553 Depth=3
	s_or_b32 exec_lo, exec_lo, s30
.LBB4_8234:                             ;   in Loop: Header=BB4_7553 Depth=3
	s_delay_alu instid0(SALU_CYCLE_1) | instskip(SKIP_3) | instid1(VALU_DEP_1)
	s_or_b32 exec_lo, exec_lo, s17
	v_and_b32_e32 v41, 0xff, v164
	s_mov_b32 s13, 0
	s_mov_b32 s30, exec_lo
                                        ; implicit-def: $sgpr17
	v_cmpx_lt_i16_e32 0x7f, v41
	s_xor_b32 s30, exec_lo, s30
	s_cbranch_execnz .LBB4_8728
; %bb.8235:                             ;   in Loop: Header=BB4_7553 Depth=3
	s_or_saveexec_b32 s30, s30
	v_mov_b32_e32 v181, s17
	s_xor_b32 exec_lo, exec_lo, s30
	s_cbranch_execnz .LBB4_8731
.LBB4_8236:                             ;   in Loop: Header=BB4_7553 Depth=3
	s_or_b32 exec_lo, exec_lo, s30
	s_and_saveexec_b32 s17, s13
	s_cbranch_execz .LBB4_8238
.LBB4_8237:                             ;   in Loop: Header=BB4_7553 Depth=3
	v_and_b32_e32 v181, 3, v164
	v_bfe_u32 v44, v164, 2, 5
	s_delay_alu instid0(VALU_DEP_2) | instskip(NEXT) | instid1(VALU_DEP_2)
	v_clz_i32_u32_e32 v41, v181
	v_cmp_eq_u32_e32 vcc_lo, 0, v44
	s_delay_alu instid0(VALU_DEP_2) | instskip(NEXT) | instid1(VALU_DEP_1)
	v_min_u32_e32 v41, 32, v41
	v_subrev_nc_u32_e32 v43, 29, v41
	v_sub_nc_u32_e32 v41, 30, v41
	s_delay_alu instid0(VALU_DEP_2) | instskip(NEXT) | instid1(VALU_DEP_2)
	v_lshlrev_b32_e32 v43, v43, v164
	v_dual_cndmask_b32 v41, v44, v41 :: v_dual_lshlrev_b32 v164, 24, v164
	s_delay_alu instid0(VALU_DEP_2) | instskip(NEXT) | instid1(VALU_DEP_2)
	v_and_b32_e32 v43, 3, v43
	v_and_b32_e32 v164, 0x80000000, v164
	s_delay_alu instid0(VALU_DEP_3) | instskip(NEXT) | instid1(VALU_DEP_3)
	v_lshl_add_u32 v41, v41, 23, 0x37800000
	v_cndmask_b32_e32 v181, v181, v43, vcc_lo
	s_delay_alu instid0(VALU_DEP_1) | instskip(NEXT) | instid1(VALU_DEP_1)
	v_lshlrev_b32_e32 v181, 21, v181
	v_or3_b32 v181, v164, v41, v181
.LBB4_8238:                             ;   in Loop: Header=BB4_7553 Depth=3
	s_or_b32 exec_lo, exec_lo, s17
	v_lshrrev_b32_e32 v164, 16, v8
	s_mov_b32 s13, 0
	s_mov_b32 s30, exec_lo
                                        ; implicit-def: $sgpr17
	s_delay_alu instid0(VALU_DEP_1) | instskip(NEXT) | instid1(VALU_DEP_1)
	v_and_b32_e32 v43, 0xff, v164
	v_cmpx_lt_i16_e32 0x7f, v43
	s_xor_b32 s30, exec_lo, s30
	s_cbranch_execnz .LBB4_8732
; %bb.8239:                             ;   in Loop: Header=BB4_7553 Depth=3
	s_or_saveexec_b32 s30, s30
	v_mov_b32_e32 v41, s17
	s_xor_b32 exec_lo, exec_lo, s30
	s_cbranch_execnz .LBB4_8735
.LBB4_8240:                             ;   in Loop: Header=BB4_7553 Depth=3
	s_or_b32 exec_lo, exec_lo, s30
	s_and_saveexec_b32 s17, s13
	s_cbranch_execz .LBB4_8242
.LBB4_8241:                             ;   in Loop: Header=BB4_7553 Depth=3
	v_bfe_u32 v41, v8, 16, 2
	v_lshlrev_b32_e32 v45, 8, v8
	s_delay_alu instid0(VALU_DEP_2) | instskip(NEXT) | instid1(VALU_DEP_1)
	v_clz_i32_u32_e32 v43, v41
	v_min_u32_e32 v43, 32, v43
	s_delay_alu instid0(VALU_DEP_1) | instskip(SKIP_1) | instid1(VALU_DEP_2)
	v_subrev_nc_u32_e32 v44, 29, v43
	v_sub_nc_u32_e32 v43, 30, v43
	v_lshlrev_b32_e32 v164, v44, v164
	v_bfe_u32 v44, v8, 18, 5
	s_delay_alu instid0(VALU_DEP_1) | instskip(NEXT) | instid1(VALU_DEP_3)
	v_cmp_eq_u32_e32 vcc_lo, 0, v44
	v_dual_cndmask_b32 v43, v44, v43 :: v_dual_and_b32 v164, 3, v164
	s_delay_alu instid0(VALU_DEP_1) | instskip(NEXT) | instid1(VALU_DEP_2)
	v_dual_cndmask_b32 v164, v41, v164 :: v_dual_and_b32 v41, 0x80000000, v45
	v_lshl_add_u32 v43, v43, 23, 0x37800000
	s_delay_alu instid0(VALU_DEP_2) | instskip(NEXT) | instid1(VALU_DEP_1)
	v_lshlrev_b32_e32 v164, 21, v164
	v_or3_b32 v41, v41, v43, v164
.LBB4_8242:                             ;   in Loop: Header=BB4_7553 Depth=3
	s_or_b32 exec_lo, exec_lo, s17
	s_delay_alu instid0(VALU_DEP_1) | instskip(NEXT) | instid1(VALU_DEP_1)
	v_add_f32_e32 v181, v181, v41
	v_and_b32_e32 v164, 0x7f800000, v181
	s_delay_alu instid0(VALU_DEP_1)
	v_cmp_ne_u32_e32 vcc_lo, 0x7f800000, v164
	v_mov_b32_e32 v164, 0x80
	s_and_saveexec_b32 s17, vcc_lo
	s_cbranch_execz .LBB4_8250
; %bb.8243:                             ;   in Loop: Header=BB4_7553 Depth=3
	v_mov_b32_e32 v164, 0
	s_mov_b32 s30, exec_lo
	v_cmpx_ne_u32_e32 0, v181
	s_cbranch_execz .LBB4_8249
; %bb.8244:                             ;   in Loop: Header=BB4_7553 Depth=3
	v_bfe_u32 v164, v181, 23, 8
	v_and_b32_e32 v41, 0x7fffff, v181
	s_delay_alu instid0(VALU_DEP_2) | instskip(SKIP_1) | instid1(VALU_DEP_3)
	v_sub_nc_u32_e32 v43, 0x70, v164
	v_cmp_gt_u32_e32 vcc_lo, 0x71, v164
	v_or_b32_e32 v44, 0x800000, v41
	s_delay_alu instid0(VALU_DEP_3) | instskip(SKIP_2) | instid1(VALU_DEP_3)
	v_cndmask_b32_e32 v43, 0, v43, vcc_lo
	v_cmp_eq_u32_e32 vcc_lo, 0, v164
	v_add_nc_u32_e32 v164, 0xffffff91, v164
	v_cndmask_b32_e64 v43, v43, 0x6f, vcc_lo
	v_cndmask_b32_e32 v41, v44, v41, vcc_lo
	s_delay_alu instid0(VALU_DEP_3) | instskip(NEXT) | instid1(VALU_DEP_3)
	v_cndmask_b32_e64 v164, v164, 0xffffff92, vcc_lo
	v_lshl_add_u32 v44, 0x200000, v43, -1
	s_delay_alu instid0(VALU_DEP_3) | instskip(SKIP_1) | instid1(VALU_DEP_4)
	v_lshrrev_b32_e32 v45, v43, v41
	v_lshlrev_b32_e64 v47, v43, 0x100000
	v_add_nc_u32_e32 v43, v43, v164
	s_delay_alu instid0(VALU_DEP_4) | instskip(NEXT) | instid1(VALU_DEP_4)
	v_and_b32_e32 v41, v44, v41
	v_bfe_u32 v46, v45, 21, 1
	s_delay_alu instid0(VALU_DEP_2) | instskip(NEXT) | instid1(VALU_DEP_2)
	v_cmp_eq_u32_e64 s13, v41, v47
	v_add_nc_u32_e32 v44, -1, v46
	s_delay_alu instid0(VALU_DEP_1) | instskip(SKIP_2) | instid1(VALU_DEP_2)
	v_cndmask_b32_e64 v41, 0, v44, s13
	v_lshrrev_b32_e32 v44, 23, v45
	s_mov_b32 s13, exec_lo
	v_add_nc_u32_e32 v41, v41, v45
	s_delay_alu instid0(VALU_DEP_2) | instskip(NEXT) | instid1(VALU_DEP_2)
	v_xor_b32_e32 v44, 1, v44
	v_and_b32_e32 v164, 0x1fffff, v41
	s_delay_alu instid0(VALU_DEP_1) | instskip(NEXT) | instid1(VALU_DEP_3)
	v_add_nc_u32_e32 v41, v164, v45
                                        ; implicit-def: $vgpr164
	v_cmpx_ne_u32_e64 v43, v44
	s_xor_b32 s13, exec_lo, s13
; %bb.8245:                             ;   in Loop: Header=BB4_7553 Depth=3
	s_delay_alu instid0(VALU_DEP_2) | instskip(SKIP_2) | instid1(VALU_DEP_2)
	v_cmp_lt_u32_e32 vcc_lo, 0xffffff, v41
	v_sub_nc_u32_e32 v164, v43, v44
	v_cndmask_b32_e64 v43, 0, 1, vcc_lo
	v_add_co_ci_u32_e32 v164, vcc_lo, 0, v164, vcc_lo
	s_delay_alu instid0(VALU_DEP_2)
	v_lshrrev_b32_e32 v41, v43, v41
; %bb.8246:                             ;   in Loop: Header=BB4_7553 Depth=3
	s_and_not1_saveexec_b32 s13, s13
; %bb.8247:                             ;   in Loop: Header=BB4_7553 Depth=3
	s_delay_alu instid0(VALU_DEP_1)
	v_bfe_u32 v164, v41, 23, 1
; %bb.8248:                             ;   in Loop: Header=BB4_7553 Depth=3
	s_or_b32 exec_lo, exec_lo, s13
	v_lshrrev_b32_e32 v41, 21, v41
	s_delay_alu instid0(VALU_DEP_2) | instskip(SKIP_2) | instid1(VALU_DEP_4)
	v_cmp_gt_i32_e32 vcc_lo, 32, v164
	v_lshrrev_b32_e32 v181, 24, v181
	v_min_i32_e32 v43, 31, v164
	v_cndmask_b32_e32 v41, 3, v41, vcc_lo
	s_delay_alu instid0(VALU_DEP_3) | instskip(NEXT) | instid1(VALU_DEP_2)
	v_and_b32_e32 v181, 0x80, v181
	v_or_b32_e32 v164, v164, v41
	v_and_b32_e32 v44, 3, v41
	s_delay_alu instid0(VALU_DEP_2) | instskip(SKIP_1) | instid1(VALU_DEP_1)
	v_cmp_ne_u32_e32 vcc_lo, 0, v164
	v_lshlrev_b32_e32 v43, 2, v43
	v_or3_b32 v181, v43, v181, v44
	s_delay_alu instid0(VALU_DEP_1)
	v_cndmask_b32_e32 v164, 0, v181, vcc_lo
.LBB4_8249:                             ;   in Loop: Header=BB4_7553 Depth=3
	s_or_b32 exec_lo, exec_lo, s30
.LBB4_8250:                             ;   in Loop: Header=BB4_7553 Depth=3
	s_delay_alu instid0(SALU_CYCLE_1) | instskip(SKIP_3) | instid1(VALU_DEP_1)
	s_or_b32 exec_lo, exec_lo, s17
	v_and_b32_e32 v41, 0xff, v162
	s_mov_b32 s13, 0
	s_mov_b32 s30, exec_lo
                                        ; implicit-def: $sgpr17
	v_cmpx_lt_i16_e32 0x7f, v41
	s_xor_b32 s30, exec_lo, s30
	s_cbranch_execnz .LBB4_8736
; %bb.8251:                             ;   in Loop: Header=BB4_7553 Depth=3
	s_or_saveexec_b32 s30, s30
	v_mov_b32_e32 v181, s17
	s_xor_b32 exec_lo, exec_lo, s30
	s_cbranch_execnz .LBB4_8739
.LBB4_8252:                             ;   in Loop: Header=BB4_7553 Depth=3
	s_or_b32 exec_lo, exec_lo, s30
	s_and_saveexec_b32 s17, s13
	s_cbranch_execz .LBB4_8254
.LBB4_8253:                             ;   in Loop: Header=BB4_7553 Depth=3
	v_lshlrev_b32_e32 v162, 8, v162
	s_delay_alu instid0(VALU_DEP_1) | instskip(SKIP_1) | instid1(VALU_DEP_2)
	v_and_b32_e32 v181, 0xff00, v162
	v_bfe_u32 v162, v162, 10, 5
	v_bfe_u32 v43, v181, 8, 2
	s_delay_alu instid0(VALU_DEP_2) | instskip(NEXT) | instid1(VALU_DEP_2)
	v_cmp_eq_u32_e32 vcc_lo, 0, v162
	v_clz_i32_u32_e32 v44, v43
	s_delay_alu instid0(VALU_DEP_1) | instskip(NEXT) | instid1(VALU_DEP_1)
	v_min_u32_e32 v44, 32, v44
	v_subrev_nc_u32_e32 v45, 29, v44
	v_sub_nc_u32_e32 v44, 30, v44
	s_delay_alu instid0(VALU_DEP_1) | instskip(SKIP_1) | instid1(VALU_DEP_2)
	v_dual_cndmask_b32 v162, v162, v44 :: v_dual_lshlrev_b32 v41, v45, v41
	v_lshlrev_b32_e32 v181, 16, v181
	v_and_b32_e32 v41, 3, v41
	s_delay_alu instid0(VALU_DEP_3) | instskip(NEXT) | instid1(VALU_DEP_3)
	v_lshl_add_u32 v162, v162, 23, 0x37800000
	v_and_b32_e32 v181, 0x80000000, v181
	s_delay_alu instid0(VALU_DEP_3) | instskip(NEXT) | instid1(VALU_DEP_1)
	v_cndmask_b32_e32 v41, v43, v41, vcc_lo
	v_lshlrev_b32_e32 v41, 21, v41
	s_delay_alu instid0(VALU_DEP_1)
	v_or3_b32 v181, v181, v162, v41
.LBB4_8254:                             ;   in Loop: Header=BB4_7553 Depth=3
	s_or_b32 exec_lo, exec_lo, s17
	v_lshrrev_b32_e32 v162, 24, v8
	s_mov_b32 s13, 0
	s_mov_b32 s30, exec_lo
                                        ; implicit-def: $sgpr17
	s_delay_alu instid0(VALU_DEP_1)
	v_cmpx_lt_i16_e64 0x7f, v162
	s_xor_b32 s30, exec_lo, s30
	s_cbranch_execnz .LBB4_8740
; %bb.8255:                             ;   in Loop: Header=BB4_7553 Depth=3
	s_or_saveexec_b32 s30, s30
	v_mov_b32_e32 v41, s17
	s_xor_b32 exec_lo, exec_lo, s30
	s_cbranch_execnz .LBB4_8743
.LBB4_8256:                             ;   in Loop: Header=BB4_7553 Depth=3
	s_or_b32 exec_lo, exec_lo, s30
	s_and_saveexec_b32 s17, s13
	s_cbranch_execz .LBB4_8258
.LBB4_8257:                             ;   in Loop: Header=BB4_7553 Depth=3
	v_bfe_u32 v41, v8, 24, 2
	s_delay_alu instid0(VALU_DEP_1) | instskip(NEXT) | instid1(VALU_DEP_1)
	v_clz_i32_u32_e32 v43, v41
	v_min_u32_e32 v43, 32, v43
	s_delay_alu instid0(VALU_DEP_1) | instskip(SKIP_1) | instid1(VALU_DEP_2)
	v_subrev_nc_u32_e32 v44, 29, v43
	v_sub_nc_u32_e32 v43, 30, v43
	v_lshlrev_b32_e32 v162, v44, v162
	v_bfe_u32 v44, v8, 26, 5
	v_and_b32_e32 v8, 0x80000000, v8
	s_delay_alu instid0(VALU_DEP_2) | instskip(NEXT) | instid1(VALU_DEP_4)
	v_cmp_eq_u32_e32 vcc_lo, 0, v44
	v_dual_cndmask_b32 v43, v44, v43 :: v_dual_and_b32 v162, 3, v162
	s_delay_alu instid0(VALU_DEP_1) | instskip(NEXT) | instid1(VALU_DEP_2)
	v_cndmask_b32_e32 v162, v41, v162, vcc_lo
	v_lshl_add_u32 v41, v43, 23, 0x37800000
	s_delay_alu instid0(VALU_DEP_2) | instskip(NEXT) | instid1(VALU_DEP_1)
	v_lshlrev_b32_e32 v162, 21, v162
	v_or3_b32 v41, v8, v41, v162
.LBB4_8258:                             ;   in Loop: Header=BB4_7553 Depth=3
	s_or_b32 exec_lo, exec_lo, s17
	s_delay_alu instid0(VALU_DEP_1) | instskip(NEXT) | instid1(VALU_DEP_1)
	v_add_f32_e32 v162, v181, v41
	v_and_b32_e32 v8, 0x7f800000, v162
	s_delay_alu instid0(VALU_DEP_1)
	v_cmp_ne_u32_e32 vcc_lo, 0x7f800000, v8
	v_mov_b32_e32 v8, 0x80
	s_and_saveexec_b32 s17, vcc_lo
	s_cbranch_execz .LBB4_8266
; %bb.8259:                             ;   in Loop: Header=BB4_7553 Depth=3
	v_mov_b32_e32 v8, 0
	s_mov_b32 s30, exec_lo
	v_cmpx_ne_u32_e32 0, v162
	s_cbranch_execz .LBB4_8265
; %bb.8260:                             ;   in Loop: Header=BB4_7553 Depth=3
	v_bfe_u32 v8, v162, 23, 8
	v_and_b32_e32 v181, 0x7fffff, v162
	s_delay_alu instid0(VALU_DEP_2) | instskip(SKIP_1) | instid1(VALU_DEP_3)
	v_sub_nc_u32_e32 v41, 0x70, v8
	v_cmp_gt_u32_e32 vcc_lo, 0x71, v8
	v_or_b32_e32 v43, 0x800000, v181
	s_delay_alu instid0(VALU_DEP_3) | instskip(SKIP_2) | instid1(VALU_DEP_3)
	v_cndmask_b32_e32 v41, 0, v41, vcc_lo
	v_cmp_eq_u32_e32 vcc_lo, 0, v8
	v_add_nc_u32_e32 v8, 0xffffff91, v8
	v_cndmask_b32_e64 v41, v41, 0x6f, vcc_lo
	v_cndmask_b32_e32 v181, v43, v181, vcc_lo
	s_delay_alu instid0(VALU_DEP_3) | instskip(NEXT) | instid1(VALU_DEP_3)
	v_cndmask_b32_e64 v8, v8, 0xffffff92, vcc_lo
	v_lshl_add_u32 v43, 0x200000, v41, -1
	s_delay_alu instid0(VALU_DEP_3) | instskip(SKIP_1) | instid1(VALU_DEP_4)
	v_lshrrev_b32_e32 v44, v41, v181
	v_lshlrev_b32_e64 v46, v41, 0x100000
	v_add_nc_u32_e32 v41, v41, v8
	s_delay_alu instid0(VALU_DEP_4) | instskip(NEXT) | instid1(VALU_DEP_4)
	v_and_b32_e32 v181, v43, v181
	v_bfe_u32 v45, v44, 21, 1
	s_delay_alu instid0(VALU_DEP_2) | instskip(NEXT) | instid1(VALU_DEP_2)
	v_cmp_eq_u32_e64 s13, v181, v46
	v_add_nc_u32_e32 v43, -1, v45
	s_delay_alu instid0(VALU_DEP_1) | instskip(SKIP_2) | instid1(VALU_DEP_2)
	v_cndmask_b32_e64 v181, 0, v43, s13
	v_lshrrev_b32_e32 v43, 23, v44
	s_mov_b32 s13, exec_lo
	v_add_nc_u32_e32 v181, v181, v44
	s_delay_alu instid0(VALU_DEP_2) | instskip(NEXT) | instid1(VALU_DEP_2)
	v_xor_b32_e32 v43, 1, v43
	v_and_b32_e32 v8, 0x1fffff, v181
	s_delay_alu instid0(VALU_DEP_1) | instskip(NEXT) | instid1(VALU_DEP_3)
	v_add_nc_u32_e32 v181, v8, v44
                                        ; implicit-def: $vgpr8
	v_cmpx_ne_u32_e64 v41, v43
	s_xor_b32 s13, exec_lo, s13
; %bb.8261:                             ;   in Loop: Header=BB4_7553 Depth=3
	s_delay_alu instid0(VALU_DEP_2) | instskip(SKIP_2) | instid1(VALU_DEP_2)
	v_cmp_lt_u32_e32 vcc_lo, 0xffffff, v181
	v_sub_nc_u32_e32 v8, v41, v43
	v_cndmask_b32_e64 v41, 0, 1, vcc_lo
	v_add_co_ci_u32_e32 v8, vcc_lo, 0, v8, vcc_lo
	s_delay_alu instid0(VALU_DEP_2)
	v_lshrrev_b32_e32 v181, v41, v181
; %bb.8262:                             ;   in Loop: Header=BB4_7553 Depth=3
	s_and_not1_saveexec_b32 s13, s13
; %bb.8263:                             ;   in Loop: Header=BB4_7553 Depth=3
	s_delay_alu instid0(VALU_DEP_1)
	v_bfe_u32 v8, v181, 23, 1
; %bb.8264:                             ;   in Loop: Header=BB4_7553 Depth=3
	s_or_b32 exec_lo, exec_lo, s13
	v_lshrrev_b32_e32 v181, 21, v181
	s_delay_alu instid0(VALU_DEP_2) | instskip(SKIP_2) | instid1(VALU_DEP_2)
	v_cmp_gt_i32_e32 vcc_lo, 32, v8
	v_lshrrev_b32_e32 v162, 24, v162
	v_min_i32_e32 v41, 31, v8
	v_dual_cndmask_b32 v181, 3, v181 :: v_dual_and_b32 v162, 0x80, v162
	s_delay_alu instid0(VALU_DEP_2) | instskip(NEXT) | instid1(VALU_DEP_2)
	v_lshlrev_b32_e32 v41, 2, v41
	v_or_b32_e32 v8, v8, v181
	s_delay_alu instid0(VALU_DEP_1) | instskip(SKIP_1) | instid1(VALU_DEP_1)
	v_cmp_ne_u32_e32 vcc_lo, 0, v8
	v_and_b32_e32 v43, 3, v181
	v_or3_b32 v162, v41, v162, v43
	s_delay_alu instid0(VALU_DEP_1)
	v_cndmask_b32_e32 v8, 0, v162, vcc_lo
.LBB4_8265:                             ;   in Loop: Header=BB4_7553 Depth=3
	s_or_b32 exec_lo, exec_lo, s30
.LBB4_8266:                             ;   in Loop: Header=BB4_7553 Depth=3
	s_delay_alu instid0(SALU_CYCLE_1) | instskip(SKIP_3) | instid1(VALU_DEP_1)
	s_or_b32 exec_lo, exec_lo, s17
	v_or_b32_e32 v167, v167, v161
	s_mov_b32 s13, 0
	s_mov_b32 s30, exec_lo
                                        ; implicit-def: $sgpr17
	v_and_b32_e32 v162, 0xff, v167
	s_delay_alu instid0(VALU_DEP_1)
	v_cmpx_lt_i16_e64 0x7f, v162
	s_xor_b32 s30, exec_lo, s30
	s_cbranch_execnz .LBB4_8744
; %bb.8267:                             ;   in Loop: Header=BB4_7553 Depth=3
	s_or_saveexec_b32 s30, s30
	v_mov_b32_e32 v161, s17
	s_xor_b32 exec_lo, exec_lo, s30
	s_cbranch_execnz .LBB4_8747
.LBB4_8268:                             ;   in Loop: Header=BB4_7553 Depth=3
	s_or_b32 exec_lo, exec_lo, s30
	s_and_saveexec_b32 s17, s13
	s_cbranch_execz .LBB4_8270
.LBB4_8269:                             ;   in Loop: Header=BB4_7553 Depth=3
	v_bfe_u32 v41, v167, 2, 5
	v_lshlrev_b32_e32 v43, 24, v167
	s_delay_alu instid0(VALU_DEP_2) | instskip(SKIP_1) | instid1(VALU_DEP_1)
	v_cmp_eq_u32_e32 vcc_lo, 0, v41
	v_and_b32_e32 v161, 3, v167
	v_clz_i32_u32_e32 v162, v161
	s_delay_alu instid0(VALU_DEP_1) | instskip(NEXT) | instid1(VALU_DEP_1)
	v_min_u32_e32 v162, 32, v162
	v_subrev_nc_u32_e32 v181, 29, v162
	v_sub_nc_u32_e32 v162, 30, v162
	s_delay_alu instid0(VALU_DEP_2) | instskip(NEXT) | instid1(VALU_DEP_1)
	v_lshlrev_b32_e32 v181, v181, v167
	v_dual_cndmask_b32 v162, v41, v162 :: v_dual_and_b32 v181, 3, v181
	s_delay_alu instid0(VALU_DEP_1) | instskip(NEXT) | instid1(VALU_DEP_2)
	v_lshl_add_u32 v162, v162, 23, 0x37800000
	v_cndmask_b32_e32 v161, v161, v181, vcc_lo
	v_and_b32_e32 v181, 0x80000000, v43
	s_delay_alu instid0(VALU_DEP_2) | instskip(NEXT) | instid1(VALU_DEP_1)
	v_lshlrev_b32_e32 v161, 21, v161
	v_or3_b32 v161, v181, v162, v161
.LBB4_8270:                             ;   in Loop: Header=BB4_7553 Depth=3
	s_or_b32 exec_lo, exec_lo, s17
	v_and_b32_e32 v181, 0xff, v9
	s_mov_b32 s13, 0
	s_mov_b32 s30, exec_lo
                                        ; implicit-def: $sgpr17
	s_delay_alu instid0(VALU_DEP_1)
	v_cmpx_lt_i16_e64 0x7f, v181
	s_xor_b32 s30, exec_lo, s30
	s_cbranch_execnz .LBB4_8748
; %bb.8271:                             ;   in Loop: Header=BB4_7553 Depth=3
	s_or_saveexec_b32 s30, s30
	v_mov_b32_e32 v162, s17
	s_xor_b32 exec_lo, exec_lo, s30
	s_cbranch_execnz .LBB4_8751
.LBB4_8272:                             ;   in Loop: Header=BB4_7553 Depth=3
	s_or_b32 exec_lo, exec_lo, s30
	s_and_saveexec_b32 s17, s13
	s_cbranch_execz .LBB4_8274
.LBB4_8273:                             ;   in Loop: Header=BB4_7553 Depth=3
	v_and_b32_e32 v162, 3, v9
	v_bfe_u32 v43, v9, 2, 5
	v_lshlrev_b32_e32 v44, 24, v9
	s_delay_alu instid0(VALU_DEP_3) | instskip(NEXT) | instid1(VALU_DEP_3)
	v_clz_i32_u32_e32 v181, v162
	v_cmp_eq_u32_e32 vcc_lo, 0, v43
	s_delay_alu instid0(VALU_DEP_2) | instskip(NEXT) | instid1(VALU_DEP_1)
	v_min_u32_e32 v181, 32, v181
	v_subrev_nc_u32_e32 v41, 29, v181
	v_sub_nc_u32_e32 v181, 30, v181
	s_delay_alu instid0(VALU_DEP_2) | instskip(NEXT) | instid1(VALU_DEP_1)
	v_lshlrev_b32_e32 v41, v41, v9
	v_and_b32_e32 v41, 3, v41
	s_delay_alu instid0(VALU_DEP_1) | instskip(NEXT) | instid1(VALU_DEP_1)
	v_dual_cndmask_b32 v162, v162, v41 :: v_dual_and_b32 v41, 0x80000000, v44
	v_dual_cndmask_b32 v181, v43, v181 :: v_dual_lshlrev_b32 v162, 21, v162
	s_delay_alu instid0(VALU_DEP_1) | instskip(NEXT) | instid1(VALU_DEP_1)
	v_lshl_add_u32 v181, v181, 23, 0x37800000
	v_or3_b32 v162, v41, v181, v162
.LBB4_8274:                             ;   in Loop: Header=BB4_7553 Depth=3
	s_or_b32 exec_lo, exec_lo, s17
	s_delay_alu instid0(VALU_DEP_1) | instskip(NEXT) | instid1(VALU_DEP_1)
	v_add_f32_e32 v162, v161, v162
	v_and_b32_e32 v161, 0x7f800000, v162
	s_delay_alu instid0(VALU_DEP_1)
	v_cmp_ne_u32_e32 vcc_lo, 0x7f800000, v161
	v_mov_b32_e32 v161, 0x80
	s_and_saveexec_b32 s17, vcc_lo
	s_cbranch_execz .LBB4_8282
; %bb.8275:                             ;   in Loop: Header=BB4_7553 Depth=3
	v_mov_b32_e32 v161, 0
	s_mov_b32 s30, exec_lo
	v_cmpx_ne_u32_e32 0, v162
	s_cbranch_execz .LBB4_8281
; %bb.8276:                             ;   in Loop: Header=BB4_7553 Depth=3
	v_bfe_u32 v161, v162, 23, 8
	v_and_b32_e32 v181, 0x7fffff, v162
	s_delay_alu instid0(VALU_DEP_2) | instskip(SKIP_1) | instid1(VALU_DEP_3)
	v_sub_nc_u32_e32 v41, 0x70, v161
	v_cmp_gt_u32_e32 vcc_lo, 0x71, v161
	v_or_b32_e32 v43, 0x800000, v181
	s_delay_alu instid0(VALU_DEP_3) | instskip(SKIP_2) | instid1(VALU_DEP_3)
	v_cndmask_b32_e32 v41, 0, v41, vcc_lo
	v_cmp_eq_u32_e32 vcc_lo, 0, v161
	v_add_nc_u32_e32 v161, 0xffffff91, v161
	v_cndmask_b32_e64 v41, v41, 0x6f, vcc_lo
	v_cndmask_b32_e32 v181, v43, v181, vcc_lo
	s_delay_alu instid0(VALU_DEP_3) | instskip(NEXT) | instid1(VALU_DEP_3)
	v_cndmask_b32_e64 v161, v161, 0xffffff92, vcc_lo
	v_lshl_add_u32 v43, 0x200000, v41, -1
	s_delay_alu instid0(VALU_DEP_3) | instskip(SKIP_1) | instid1(VALU_DEP_4)
	v_lshrrev_b32_e32 v44, v41, v181
	v_lshlrev_b32_e64 v46, v41, 0x100000
	v_add_nc_u32_e32 v41, v41, v161
	s_delay_alu instid0(VALU_DEP_4) | instskip(NEXT) | instid1(VALU_DEP_4)
	v_and_b32_e32 v181, v43, v181
	v_bfe_u32 v45, v44, 21, 1
	s_delay_alu instid0(VALU_DEP_2) | instskip(NEXT) | instid1(VALU_DEP_2)
	v_cmp_eq_u32_e64 s13, v181, v46
	v_add_nc_u32_e32 v43, -1, v45
	s_delay_alu instid0(VALU_DEP_1) | instskip(SKIP_2) | instid1(VALU_DEP_2)
	v_cndmask_b32_e64 v181, 0, v43, s13
	v_lshrrev_b32_e32 v43, 23, v44
	s_mov_b32 s13, exec_lo
	v_add_nc_u32_e32 v181, v181, v44
	s_delay_alu instid0(VALU_DEP_2) | instskip(NEXT) | instid1(VALU_DEP_2)
	v_xor_b32_e32 v43, 1, v43
	v_and_b32_e32 v161, 0x1fffff, v181
	s_delay_alu instid0(VALU_DEP_1) | instskip(NEXT) | instid1(VALU_DEP_3)
	v_add_nc_u32_e32 v181, v161, v44
                                        ; implicit-def: $vgpr161
	v_cmpx_ne_u32_e64 v41, v43
	s_xor_b32 s13, exec_lo, s13
; %bb.8277:                             ;   in Loop: Header=BB4_7553 Depth=3
	s_delay_alu instid0(VALU_DEP_2) | instskip(SKIP_2) | instid1(VALU_DEP_2)
	v_cmp_lt_u32_e32 vcc_lo, 0xffffff, v181
	v_sub_nc_u32_e32 v161, v41, v43
	v_cndmask_b32_e64 v41, 0, 1, vcc_lo
	v_add_co_ci_u32_e32 v161, vcc_lo, 0, v161, vcc_lo
	s_delay_alu instid0(VALU_DEP_2)
	v_lshrrev_b32_e32 v181, v41, v181
; %bb.8278:                             ;   in Loop: Header=BB4_7553 Depth=3
	s_and_not1_saveexec_b32 s13, s13
; %bb.8279:                             ;   in Loop: Header=BB4_7553 Depth=3
	s_delay_alu instid0(VALU_DEP_1)
	v_bfe_u32 v161, v181, 23, 1
; %bb.8280:                             ;   in Loop: Header=BB4_7553 Depth=3
	s_or_b32 exec_lo, exec_lo, s13
	v_lshrrev_b32_e32 v181, 21, v181
	s_delay_alu instid0(VALU_DEP_2) | instskip(SKIP_2) | instid1(VALU_DEP_2)
	v_cmp_gt_i32_e32 vcc_lo, 32, v161
	v_lshrrev_b32_e32 v162, 24, v162
	v_min_i32_e32 v41, 31, v161
	v_dual_cndmask_b32 v181, 3, v181 :: v_dual_and_b32 v162, 0x80, v162
	s_delay_alu instid0(VALU_DEP_2) | instskip(NEXT) | instid1(VALU_DEP_2)
	v_lshlrev_b32_e32 v41, 2, v41
	v_and_b32_e32 v43, 3, v181
	v_or_b32_e32 v161, v161, v181
	s_delay_alu instid0(VALU_DEP_2) | instskip(NEXT) | instid1(VALU_DEP_2)
	v_or3_b32 v162, v41, v162, v43
	v_cmp_ne_u32_e32 vcc_lo, 0, v161
	s_delay_alu instid0(VALU_DEP_2)
	v_cndmask_b32_e32 v161, 0, v162, vcc_lo
.LBB4_8281:                             ;   in Loop: Header=BB4_7553 Depth=3
	s_or_b32 exec_lo, exec_lo, s30
.LBB4_8282:                             ;   in Loop: Header=BB4_7553 Depth=3
	s_delay_alu instid0(SALU_CYCLE_1) | instskip(SKIP_3) | instid1(VALU_DEP_1)
	s_or_b32 exec_lo, exec_lo, s17
	v_lshrrev_b16 v181, 8, v167
	s_mov_b32 s13, 0
	s_mov_b32 s30, exec_lo
                                        ; implicit-def: $sgpr17
	v_cmpx_lt_i16_e64 0x7f, v181
	s_xor_b32 s30, exec_lo, s30
	s_cbranch_execnz .LBB4_8752
; %bb.8283:                             ;   in Loop: Header=BB4_7553 Depth=3
	s_or_saveexec_b32 s30, s30
	v_mov_b32_e32 v162, s17
	s_xor_b32 exec_lo, exec_lo, s30
	s_cbranch_execnz .LBB4_8755
.LBB4_8284:                             ;   in Loop: Header=BB4_7553 Depth=3
	s_or_b32 exec_lo, exec_lo, s30
	s_and_saveexec_b32 s17, s13
	s_cbranch_execz .LBB4_8286
.LBB4_8285:                             ;   in Loop: Header=BB4_7553 Depth=3
	v_and_b32_e32 v162, 0xffff, v181
	v_lshlrev_b32_e32 v181, 24, v181
	s_delay_alu instid0(VALU_DEP_2) | instskip(NEXT) | instid1(VALU_DEP_2)
	v_and_b32_e32 v41, 3, v162
	v_and_b32_e32 v181, 0x80000000, v181
	s_delay_alu instid0(VALU_DEP_2) | instskip(NEXT) | instid1(VALU_DEP_1)
	v_clz_i32_u32_e32 v43, v41
	v_min_u32_e32 v43, 32, v43
	s_delay_alu instid0(VALU_DEP_1) | instskip(SKIP_1) | instid1(VALU_DEP_2)
	v_subrev_nc_u32_e32 v44, 29, v43
	v_sub_nc_u32_e32 v43, 30, v43
	v_lshlrev_b32_e32 v44, v44, v162
	v_bfe_u32 v162, v162, 2, 5
	s_delay_alu instid0(VALU_DEP_2) | instskip(NEXT) | instid1(VALU_DEP_2)
	v_and_b32_e32 v44, 3, v44
	v_cmp_eq_u32_e32 vcc_lo, 0, v162
	s_delay_alu instid0(VALU_DEP_2) | instskip(NEXT) | instid1(VALU_DEP_1)
	v_dual_cndmask_b32 v162, v162, v43 :: v_dual_cndmask_b32 v41, v41, v44
	v_lshl_add_u32 v162, v162, 23, 0x37800000
	s_delay_alu instid0(VALU_DEP_2) | instskip(NEXT) | instid1(VALU_DEP_1)
	v_lshlrev_b32_e32 v41, 21, v41
	v_or3_b32 v162, v181, v162, v41
.LBB4_8286:                             ;   in Loop: Header=BB4_7553 Depth=3
	s_or_b32 exec_lo, exec_lo, s17
	v_lshrrev_b16 v181, 8, v9
	s_mov_b32 s13, 0
	s_mov_b32 s30, exec_lo
                                        ; implicit-def: $sgpr17
	s_delay_alu instid0(VALU_DEP_1)
	v_cmpx_lt_i16_e64 0x7f, v181
	s_xor_b32 s30, exec_lo, s30
	s_cbranch_execnz .LBB4_8756
; %bb.8287:                             ;   in Loop: Header=BB4_7553 Depth=3
	s_or_saveexec_b32 s30, s30
	v_mov_b32_e32 v41, s17
	s_xor_b32 exec_lo, exec_lo, s30
	s_cbranch_execnz .LBB4_8759
.LBB4_8288:                             ;   in Loop: Header=BB4_7553 Depth=3
	s_or_b32 exec_lo, exec_lo, s30
	s_and_saveexec_b32 s17, s13
	s_cbranch_execz .LBB4_8290
.LBB4_8289:                             ;   in Loop: Header=BB4_7553 Depth=3
	v_and_b32_e32 v41, 0xffff, v181
	v_lshlrev_b32_e32 v181, 24, v181
	s_delay_alu instid0(VALU_DEP_2) | instskip(NEXT) | instid1(VALU_DEP_2)
	v_and_b32_e32 v43, 3, v41
	v_and_b32_e32 v181, 0x80000000, v181
	s_delay_alu instid0(VALU_DEP_2) | instskip(NEXT) | instid1(VALU_DEP_1)
	v_clz_i32_u32_e32 v44, v43
	v_min_u32_e32 v44, 32, v44
	s_delay_alu instid0(VALU_DEP_1) | instskip(SKIP_1) | instid1(VALU_DEP_2)
	v_subrev_nc_u32_e32 v45, 29, v44
	v_sub_nc_u32_e32 v44, 30, v44
	v_lshlrev_b32_e32 v45, v45, v41
	v_bfe_u32 v41, v41, 2, 5
	s_delay_alu instid0(VALU_DEP_2) | instskip(NEXT) | instid1(VALU_DEP_2)
	v_and_b32_e32 v45, 3, v45
	v_cmp_eq_u32_e32 vcc_lo, 0, v41
	v_cndmask_b32_e32 v41, v41, v44, vcc_lo
	s_delay_alu instid0(VALU_DEP_3) | instskip(NEXT) | instid1(VALU_DEP_2)
	v_cndmask_b32_e32 v43, v43, v45, vcc_lo
	v_lshl_add_u32 v41, v41, 23, 0x37800000
	s_delay_alu instid0(VALU_DEP_2) | instskip(NEXT) | instid1(VALU_DEP_1)
	v_lshlrev_b32_e32 v43, 21, v43
	v_or3_b32 v41, v181, v41, v43
.LBB4_8290:                             ;   in Loop: Header=BB4_7553 Depth=3
	s_or_b32 exec_lo, exec_lo, s17
	s_delay_alu instid0(VALU_DEP_1) | instskip(NEXT) | instid1(VALU_DEP_1)
	v_add_f32_e32 v181, v162, v41
	v_and_b32_e32 v162, 0x7f800000, v181
	s_delay_alu instid0(VALU_DEP_1)
	v_cmp_ne_u32_e32 vcc_lo, 0x7f800000, v162
	v_mov_b32_e32 v162, 0x8000
	s_and_saveexec_b32 s17, vcc_lo
	s_cbranch_execz .LBB4_8298
; %bb.8291:                             ;   in Loop: Header=BB4_7553 Depth=3
	v_mov_b32_e32 v162, 0
	s_mov_b32 s30, exec_lo
	v_cmpx_ne_u32_e32 0, v181
	s_cbranch_execz .LBB4_8297
; %bb.8292:                             ;   in Loop: Header=BB4_7553 Depth=3
	v_bfe_u32 v162, v181, 23, 8
	v_and_b32_e32 v41, 0x7fffff, v181
	s_delay_alu instid0(VALU_DEP_2) | instskip(SKIP_1) | instid1(VALU_DEP_3)
	v_sub_nc_u32_e32 v43, 0x70, v162
	v_cmp_gt_u32_e32 vcc_lo, 0x71, v162
	v_or_b32_e32 v44, 0x800000, v41
	s_delay_alu instid0(VALU_DEP_3) | instskip(SKIP_2) | instid1(VALU_DEP_3)
	v_cndmask_b32_e32 v43, 0, v43, vcc_lo
	v_cmp_eq_u32_e32 vcc_lo, 0, v162
	v_add_nc_u32_e32 v162, 0xffffff91, v162
	v_cndmask_b32_e64 v43, v43, 0x6f, vcc_lo
	v_cndmask_b32_e32 v41, v44, v41, vcc_lo
	s_delay_alu instid0(VALU_DEP_3) | instskip(NEXT) | instid1(VALU_DEP_3)
	v_cndmask_b32_e64 v162, v162, 0xffffff92, vcc_lo
	v_lshl_add_u32 v44, 0x200000, v43, -1
	s_delay_alu instid0(VALU_DEP_3) | instskip(SKIP_1) | instid1(VALU_DEP_4)
	v_lshrrev_b32_e32 v45, v43, v41
	v_lshlrev_b32_e64 v47, v43, 0x100000
	v_add_nc_u32_e32 v43, v43, v162
	s_delay_alu instid0(VALU_DEP_4) | instskip(NEXT) | instid1(VALU_DEP_4)
	v_and_b32_e32 v41, v44, v41
	v_bfe_u32 v46, v45, 21, 1
	s_delay_alu instid0(VALU_DEP_2) | instskip(NEXT) | instid1(VALU_DEP_2)
	v_cmp_eq_u32_e64 s13, v41, v47
	v_add_nc_u32_e32 v44, -1, v46
	s_delay_alu instid0(VALU_DEP_1) | instskip(SKIP_2) | instid1(VALU_DEP_2)
	v_cndmask_b32_e64 v41, 0, v44, s13
	v_lshrrev_b32_e32 v44, 23, v45
	s_mov_b32 s13, exec_lo
	v_add_nc_u32_e32 v41, v41, v45
	s_delay_alu instid0(VALU_DEP_2) | instskip(NEXT) | instid1(VALU_DEP_2)
	v_xor_b32_e32 v44, 1, v44
	v_and_b32_e32 v162, 0x1fffff, v41
	s_delay_alu instid0(VALU_DEP_1) | instskip(NEXT) | instid1(VALU_DEP_3)
	v_add_nc_u32_e32 v41, v162, v45
                                        ; implicit-def: $vgpr162
	v_cmpx_ne_u32_e64 v43, v44
	s_xor_b32 s13, exec_lo, s13
; %bb.8293:                             ;   in Loop: Header=BB4_7553 Depth=3
	s_delay_alu instid0(VALU_DEP_2) | instskip(SKIP_2) | instid1(VALU_DEP_2)
	v_cmp_lt_u32_e32 vcc_lo, 0xffffff, v41
	v_sub_nc_u32_e32 v162, v43, v44
	v_cndmask_b32_e64 v43, 0, 1, vcc_lo
	v_add_co_ci_u32_e32 v162, vcc_lo, 0, v162, vcc_lo
	s_delay_alu instid0(VALU_DEP_2)
	v_lshrrev_b32_e32 v41, v43, v41
; %bb.8294:                             ;   in Loop: Header=BB4_7553 Depth=3
	s_and_not1_saveexec_b32 s13, s13
; %bb.8295:                             ;   in Loop: Header=BB4_7553 Depth=3
	s_delay_alu instid0(VALU_DEP_1)
	v_bfe_u32 v162, v41, 23, 1
; %bb.8296:                             ;   in Loop: Header=BB4_7553 Depth=3
	s_or_b32 exec_lo, exec_lo, s13
	v_lshrrev_b32_e32 v41, 21, v41
	s_delay_alu instid0(VALU_DEP_2) | instskip(SKIP_2) | instid1(VALU_DEP_4)
	v_cmp_gt_i32_e32 vcc_lo, 32, v162
	v_min_i32_e32 v43, 31, v162
	v_lshrrev_b32_e32 v181, 24, v181
	v_cndmask_b32_e32 v41, 3, v41, vcc_lo
	s_delay_alu instid0(VALU_DEP_2) | instskip(NEXT) | instid1(VALU_DEP_2)
	v_and_b32_e32 v181, 0x80, v181
	v_or_b32_e32 v162, v162, v41
	v_and_b32_e32 v44, 3, v41
	s_delay_alu instid0(VALU_DEP_2) | instskip(SKIP_1) | instid1(VALU_DEP_1)
	v_cmp_ne_u32_e32 vcc_lo, 0, v162
	v_lshlrev_b32_e32 v43, 2, v43
	v_and_b32_e32 v43, 0xfc, v43
	s_delay_alu instid0(VALU_DEP_1) | instskip(NEXT) | instid1(VALU_DEP_1)
	v_or3_b32 v181, v181, v43, v44
	v_lshlrev_b32_e32 v181, 8, v181
	s_delay_alu instid0(VALU_DEP_1)
	v_cndmask_b32_e32 v162, 0, v181, vcc_lo
.LBB4_8297:                             ;   in Loop: Header=BB4_7553 Depth=3
	s_or_b32 exec_lo, exec_lo, s30
.LBB4_8298:                             ;   in Loop: Header=BB4_7553 Depth=3
	s_delay_alu instid0(SALU_CYCLE_1) | instskip(SKIP_3) | instid1(VALU_DEP_1)
	s_or_b32 exec_lo, exec_lo, s17
	v_or_b32_e32 v163, v163, v160
	s_mov_b32 s13, 0
	s_mov_b32 s30, exec_lo
                                        ; implicit-def: $sgpr17
	v_and_b32_e32 v181, 0xff, v163
	s_delay_alu instid0(VALU_DEP_1)
	v_cmpx_lt_i16_e64 0x7f, v181
	s_xor_b32 s30, exec_lo, s30
	s_cbranch_execnz .LBB4_8760
; %bb.8299:                             ;   in Loop: Header=BB4_7553 Depth=3
	s_or_saveexec_b32 s30, s30
	v_mov_b32_e32 v160, s17
	s_xor_b32 exec_lo, exec_lo, s30
	s_cbranch_execnz .LBB4_8763
.LBB4_8300:                             ;   in Loop: Header=BB4_7553 Depth=3
	s_or_b32 exec_lo, exec_lo, s30
	v_lshl_or_b32 v163, v163, 16, v167
	s_and_saveexec_b32 s17, s13
	s_cbranch_execz .LBB4_8302
.LBB4_8301:                             ;   in Loop: Header=BB4_7553 Depth=3
	s_delay_alu instid0(VALU_DEP_1) | instskip(SKIP_1) | instid1(VALU_DEP_2)
	v_bfe_u32 v160, v163, 16, 2
	v_lshrrev_b32_e32 v181, 16, v163
	v_clz_i32_u32_e32 v167, v160
	s_delay_alu instid0(VALU_DEP_1) | instskip(NEXT) | instid1(VALU_DEP_1)
	v_min_u32_e32 v167, 32, v167
	v_subrev_nc_u32_e32 v41, 29, v167
	v_sub_nc_u32_e32 v167, 30, v167
	s_delay_alu instid0(VALU_DEP_2) | instskip(SKIP_1) | instid1(VALU_DEP_2)
	v_lshlrev_b32_e32 v181, v41, v181
	v_bfe_u32 v41, v163, 18, 5
	v_and_b32_e32 v181, 3, v181
	s_delay_alu instid0(VALU_DEP_2) | instskip(NEXT) | instid1(VALU_DEP_2)
	v_cmp_eq_u32_e32 vcc_lo, 0, v41
	v_dual_cndmask_b32 v160, v160, v181 :: v_dual_lshlrev_b32 v43, 8, v163
	v_cndmask_b32_e32 v167, v41, v167, vcc_lo
	s_delay_alu instid0(VALU_DEP_2) | instskip(NEXT) | instid1(VALU_DEP_3)
	v_and_b32_e32 v181, 0x80000000, v43
	v_lshlrev_b32_e32 v160, 21, v160
	s_delay_alu instid0(VALU_DEP_3) | instskip(NEXT) | instid1(VALU_DEP_1)
	v_lshl_add_u32 v167, v167, 23, 0x37800000
	v_or3_b32 v160, v181, v167, v160
.LBB4_8302:                             ;   in Loop: Header=BB4_7553 Depth=3
	s_or_b32 exec_lo, exec_lo, s17
	v_lshrrev_b32_e32 v167, 16, v9
	s_mov_b32 s13, 0
	s_mov_b32 s30, exec_lo
                                        ; implicit-def: $sgpr17
	s_delay_alu instid0(VALU_DEP_1) | instskip(NEXT) | instid1(VALU_DEP_1)
	v_and_b32_e32 v41, 0xff, v167
	v_cmpx_lt_i16_e32 0x7f, v41
	s_xor_b32 s30, exec_lo, s30
	s_cbranch_execnz .LBB4_8764
; %bb.8303:                             ;   in Loop: Header=BB4_7553 Depth=3
	s_or_saveexec_b32 s30, s30
	v_mov_b32_e32 v181, s17
	s_xor_b32 exec_lo, exec_lo, s30
	s_cbranch_execnz .LBB4_8767
.LBB4_8304:                             ;   in Loop: Header=BB4_7553 Depth=3
	s_or_b32 exec_lo, exec_lo, s30
	s_and_saveexec_b32 s17, s13
	s_cbranch_execz .LBB4_8306
.LBB4_8305:                             ;   in Loop: Header=BB4_7553 Depth=3
	v_bfe_u32 v181, v9, 16, 2
	s_delay_alu instid0(VALU_DEP_1) | instskip(NEXT) | instid1(VALU_DEP_1)
	v_clz_i32_u32_e32 v41, v181
	v_min_u32_e32 v41, 32, v41
	s_delay_alu instid0(VALU_DEP_1) | instskip(SKIP_1) | instid1(VALU_DEP_2)
	v_subrev_nc_u32_e32 v43, 29, v41
	v_sub_nc_u32_e32 v41, 30, v41
	v_lshlrev_b32_e32 v167, v43, v167
	v_bfe_u32 v43, v9, 18, 5
	s_delay_alu instid0(VALU_DEP_2) | instskip(NEXT) | instid1(VALU_DEP_2)
	v_and_b32_e32 v167, 3, v167
	v_cmp_eq_u32_e32 vcc_lo, 0, v43
	s_delay_alu instid0(VALU_DEP_2) | instskip(SKIP_1) | instid1(VALU_DEP_2)
	v_dual_cndmask_b32 v167, v181, v167 :: v_dual_lshlrev_b32 v44, 8, v9
	v_cndmask_b32_e32 v41, v43, v41, vcc_lo
	v_and_b32_e32 v181, 0x80000000, v44
	s_delay_alu instid0(VALU_DEP_3) | instskip(NEXT) | instid1(VALU_DEP_3)
	v_lshlrev_b32_e32 v167, 21, v167
	v_lshl_add_u32 v41, v41, 23, 0x37800000
	s_delay_alu instid0(VALU_DEP_1)
	v_or3_b32 v181, v181, v41, v167
.LBB4_8306:                             ;   in Loop: Header=BB4_7553 Depth=3
	s_or_b32 exec_lo, exec_lo, s17
	s_delay_alu instid0(VALU_DEP_1) | instskip(NEXT) | instid1(VALU_DEP_1)
	v_add_f32_e32 v167, v160, v181
	v_and_b32_e32 v160, 0x7f800000, v167
	s_delay_alu instid0(VALU_DEP_1)
	v_cmp_ne_u32_e32 vcc_lo, 0x7f800000, v160
	v_mov_b32_e32 v160, 0x80
	s_and_saveexec_b32 s17, vcc_lo
	s_cbranch_execz .LBB4_8314
; %bb.8307:                             ;   in Loop: Header=BB4_7553 Depth=3
	v_mov_b32_e32 v160, 0
	s_mov_b32 s30, exec_lo
	v_cmpx_ne_u32_e32 0, v167
	s_cbranch_execz .LBB4_8313
; %bb.8308:                             ;   in Loop: Header=BB4_7553 Depth=3
	v_bfe_u32 v160, v167, 23, 8
	v_and_b32_e32 v181, 0x7fffff, v167
	s_delay_alu instid0(VALU_DEP_2) | instskip(SKIP_1) | instid1(VALU_DEP_3)
	v_sub_nc_u32_e32 v41, 0x70, v160
	v_cmp_gt_u32_e32 vcc_lo, 0x71, v160
	v_or_b32_e32 v43, 0x800000, v181
	s_delay_alu instid0(VALU_DEP_3) | instskip(SKIP_2) | instid1(VALU_DEP_3)
	v_cndmask_b32_e32 v41, 0, v41, vcc_lo
	v_cmp_eq_u32_e32 vcc_lo, 0, v160
	v_add_nc_u32_e32 v160, 0xffffff91, v160
	v_cndmask_b32_e64 v41, v41, 0x6f, vcc_lo
	v_cndmask_b32_e32 v181, v43, v181, vcc_lo
	s_delay_alu instid0(VALU_DEP_3) | instskip(NEXT) | instid1(VALU_DEP_3)
	v_cndmask_b32_e64 v160, v160, 0xffffff92, vcc_lo
	v_lshl_add_u32 v43, 0x200000, v41, -1
	s_delay_alu instid0(VALU_DEP_3) | instskip(SKIP_1) | instid1(VALU_DEP_4)
	v_lshrrev_b32_e32 v44, v41, v181
	v_lshlrev_b32_e64 v46, v41, 0x100000
	v_add_nc_u32_e32 v41, v41, v160
	s_delay_alu instid0(VALU_DEP_4) | instskip(NEXT) | instid1(VALU_DEP_4)
	v_and_b32_e32 v181, v43, v181
	v_bfe_u32 v45, v44, 21, 1
	s_delay_alu instid0(VALU_DEP_2) | instskip(NEXT) | instid1(VALU_DEP_2)
	v_cmp_eq_u32_e64 s13, v181, v46
	v_add_nc_u32_e32 v43, -1, v45
	s_delay_alu instid0(VALU_DEP_1) | instskip(SKIP_2) | instid1(VALU_DEP_2)
	v_cndmask_b32_e64 v181, 0, v43, s13
	v_lshrrev_b32_e32 v43, 23, v44
	s_mov_b32 s13, exec_lo
	v_add_nc_u32_e32 v181, v181, v44
	s_delay_alu instid0(VALU_DEP_2) | instskip(NEXT) | instid1(VALU_DEP_2)
	v_xor_b32_e32 v43, 1, v43
	v_and_b32_e32 v160, 0x1fffff, v181
	s_delay_alu instid0(VALU_DEP_1) | instskip(NEXT) | instid1(VALU_DEP_3)
	v_add_nc_u32_e32 v181, v160, v44
                                        ; implicit-def: $vgpr160
	v_cmpx_ne_u32_e64 v41, v43
	s_xor_b32 s13, exec_lo, s13
; %bb.8309:                             ;   in Loop: Header=BB4_7553 Depth=3
	s_delay_alu instid0(VALU_DEP_2) | instskip(SKIP_2) | instid1(VALU_DEP_2)
	v_cmp_lt_u32_e32 vcc_lo, 0xffffff, v181
	v_sub_nc_u32_e32 v160, v41, v43
	v_cndmask_b32_e64 v41, 0, 1, vcc_lo
	v_add_co_ci_u32_e32 v160, vcc_lo, 0, v160, vcc_lo
	s_delay_alu instid0(VALU_DEP_2)
	v_lshrrev_b32_e32 v181, v41, v181
; %bb.8310:                             ;   in Loop: Header=BB4_7553 Depth=3
	s_and_not1_saveexec_b32 s13, s13
; %bb.8311:                             ;   in Loop: Header=BB4_7553 Depth=3
	s_delay_alu instid0(VALU_DEP_1)
	v_bfe_u32 v160, v181, 23, 1
; %bb.8312:                             ;   in Loop: Header=BB4_7553 Depth=3
	s_or_b32 exec_lo, exec_lo, s13
	v_lshrrev_b32_e32 v181, 21, v181
	s_delay_alu instid0(VALU_DEP_2) | instskip(SKIP_2) | instid1(VALU_DEP_3)
	v_min_i32_e32 v41, 31, v160
	v_cmp_gt_i32_e32 vcc_lo, 32, v160
	v_lshrrev_b32_e32 v167, 24, v167
	v_lshlrev_b32_e32 v41, 2, v41
	v_cndmask_b32_e32 v181, 3, v181, vcc_lo
	s_delay_alu instid0(VALU_DEP_3) | instskip(NEXT) | instid1(VALU_DEP_3)
	v_and_b32_e32 v167, 0x80, v167
	v_and_b32_e32 v41, 0xfc, v41
	s_delay_alu instid0(VALU_DEP_3) | instskip(SKIP_1) | instid1(VALU_DEP_2)
	v_and_b32_e32 v43, 3, v181
	v_or_b32_e32 v160, v160, v181
	v_or3_b32 v167, v41, v167, v43
	s_delay_alu instid0(VALU_DEP_2) | instskip(NEXT) | instid1(VALU_DEP_2)
	v_cmp_ne_u32_e32 vcc_lo, 0, v160
	v_cndmask_b32_e32 v160, 0, v167, vcc_lo
.LBB4_8313:                             ;   in Loop: Header=BB4_7553 Depth=3
	s_or_b32 exec_lo, exec_lo, s30
.LBB4_8314:                             ;   in Loop: Header=BB4_7553 Depth=3
	s_delay_alu instid0(SALU_CYCLE_1) | instskip(SKIP_3) | instid1(VALU_DEP_1)
	s_or_b32 exec_lo, exec_lo, s17
	v_lshrrev_b32_e32 v181, 24, v163
	s_mov_b32 s13, 0
	s_mov_b32 s30, exec_lo
                                        ; implicit-def: $sgpr17
	v_cmpx_lt_i16_e64 0x7f, v181
	s_xor_b32 s30, exec_lo, s30
	s_cbranch_execnz .LBB4_8768
; %bb.8315:                             ;   in Loop: Header=BB4_7553 Depth=3
	s_or_saveexec_b32 s30, s30
	v_mov_b32_e32 v167, s17
	s_xor_b32 exec_lo, exec_lo, s30
	s_cbranch_execnz .LBB4_8771
.LBB4_8316:                             ;   in Loop: Header=BB4_7553 Depth=3
	s_or_b32 exec_lo, exec_lo, s30
	s_and_saveexec_b32 s17, s13
	s_cbranch_execz .LBB4_8318
.LBB4_8317:                             ;   in Loop: Header=BB4_7553 Depth=3
	v_bfe_u32 v167, v163, 24, 2
	s_delay_alu instid0(VALU_DEP_1) | instskip(NEXT) | instid1(VALU_DEP_1)
	v_clz_i32_u32_e32 v41, v167
	v_min_u32_e32 v41, 32, v41
	s_delay_alu instid0(VALU_DEP_1) | instskip(SKIP_1) | instid1(VALU_DEP_2)
	v_subrev_nc_u32_e32 v43, 29, v41
	v_sub_nc_u32_e32 v41, 30, v41
	v_lshlrev_b32_e32 v181, v43, v181
	v_bfe_u32 v43, v163, 26, 5
	v_and_b32_e32 v163, 0x80000000, v163
	s_delay_alu instid0(VALU_DEP_3) | instskip(NEXT) | instid1(VALU_DEP_3)
	v_and_b32_e32 v181, 3, v181
	v_cmp_eq_u32_e32 vcc_lo, 0, v43
	v_cndmask_b32_e32 v41, v43, v41, vcc_lo
	s_delay_alu instid0(VALU_DEP_3) | instskip(NEXT) | instid1(VALU_DEP_2)
	v_cndmask_b32_e32 v167, v167, v181, vcc_lo
	v_lshl_add_u32 v181, v41, 23, 0x37800000
	s_delay_alu instid0(VALU_DEP_2) | instskip(NEXT) | instid1(VALU_DEP_1)
	v_lshlrev_b32_e32 v167, 21, v167
	v_or3_b32 v167, v163, v181, v167
.LBB4_8318:                             ;   in Loop: Header=BB4_7553 Depth=3
	s_or_b32 exec_lo, exec_lo, s17
	v_lshrrev_b32_e32 v163, 24, v9
	s_mov_b32 s13, 0
	s_mov_b32 s30, exec_lo
                                        ; implicit-def: $sgpr17
	s_delay_alu instid0(VALU_DEP_1)
	v_cmpx_lt_i16_e64 0x7f, v163
	s_xor_b32 s30, exec_lo, s30
	s_cbranch_execnz .LBB4_8772
; %bb.8319:                             ;   in Loop: Header=BB4_7553 Depth=3
	s_or_saveexec_b32 s30, s30
	v_mov_b32_e32 v181, s17
	s_xor_b32 exec_lo, exec_lo, s30
	s_cbranch_execnz .LBB4_8775
.LBB4_8320:                             ;   in Loop: Header=BB4_7553 Depth=3
	s_or_b32 exec_lo, exec_lo, s30
	s_and_saveexec_b32 s17, s13
	s_cbranch_execz .LBB4_8322
.LBB4_8321:                             ;   in Loop: Header=BB4_7553 Depth=3
	v_bfe_u32 v181, v9, 24, 2
	s_delay_alu instid0(VALU_DEP_1) | instskip(NEXT) | instid1(VALU_DEP_1)
	v_clz_i32_u32_e32 v41, v181
	v_min_u32_e32 v41, 32, v41
	s_delay_alu instid0(VALU_DEP_1) | instskip(SKIP_1) | instid1(VALU_DEP_2)
	v_subrev_nc_u32_e32 v43, 29, v41
	v_sub_nc_u32_e32 v41, 30, v41
	v_lshlrev_b32_e32 v163, v43, v163
	v_bfe_u32 v43, v9, 26, 5
	v_and_b32_e32 v9, 0x80000000, v9
	s_delay_alu instid0(VALU_DEP_3) | instskip(NEXT) | instid1(VALU_DEP_3)
	v_and_b32_e32 v163, 3, v163
	v_cmp_eq_u32_e32 vcc_lo, 0, v43
	v_cndmask_b32_e32 v41, v43, v41, vcc_lo
	s_delay_alu instid0(VALU_DEP_3) | instskip(NEXT) | instid1(VALU_DEP_2)
	v_cndmask_b32_e32 v163, v181, v163, vcc_lo
	v_lshl_add_u32 v181, v41, 23, 0x37800000
	s_delay_alu instid0(VALU_DEP_2) | instskip(NEXT) | instid1(VALU_DEP_1)
	v_lshlrev_b32_e32 v163, 21, v163
	v_or3_b32 v181, v9, v181, v163
.LBB4_8322:                             ;   in Loop: Header=BB4_7553 Depth=3
	s_or_b32 exec_lo, exec_lo, s17
	s_delay_alu instid0(VALU_DEP_1) | instskip(NEXT) | instid1(VALU_DEP_1)
	v_add_f32_e32 v163, v167, v181
	v_and_b32_e32 v9, 0x7f800000, v163
	s_delay_alu instid0(VALU_DEP_1)
	v_cmp_ne_u32_e32 vcc_lo, 0x7f800000, v9
	v_mov_b32_e32 v9, 0x8000
	s_and_saveexec_b32 s17, vcc_lo
	s_cbranch_execz .LBB4_8330
; %bb.8323:                             ;   in Loop: Header=BB4_7553 Depth=3
	v_mov_b32_e32 v9, 0
	s_mov_b32 s30, exec_lo
	v_cmpx_ne_u32_e32 0, v163
	s_cbranch_execz .LBB4_8329
; %bb.8324:                             ;   in Loop: Header=BB4_7553 Depth=3
	v_bfe_u32 v9, v163, 23, 8
	v_and_b32_e32 v167, 0x7fffff, v163
	s_delay_alu instid0(VALU_DEP_2) | instskip(SKIP_1) | instid1(VALU_DEP_3)
	v_sub_nc_u32_e32 v181, 0x70, v9
	v_cmp_gt_u32_e32 vcc_lo, 0x71, v9
	v_or_b32_e32 v41, 0x800000, v167
	s_delay_alu instid0(VALU_DEP_3) | instskip(SKIP_2) | instid1(VALU_DEP_3)
	v_cndmask_b32_e32 v181, 0, v181, vcc_lo
	v_cmp_eq_u32_e32 vcc_lo, 0, v9
	v_add_nc_u32_e32 v9, 0xffffff91, v9
	v_cndmask_b32_e64 v181, v181, 0x6f, vcc_lo
	v_cndmask_b32_e32 v167, v41, v167, vcc_lo
	s_delay_alu instid0(VALU_DEP_3) | instskip(NEXT) | instid1(VALU_DEP_3)
	v_cndmask_b32_e64 v9, v9, 0xffffff92, vcc_lo
	v_lshl_add_u32 v41, 0x200000, v181, -1
	s_delay_alu instid0(VALU_DEP_3) | instskip(SKIP_1) | instid1(VALU_DEP_4)
	v_lshrrev_b32_e32 v43, v181, v167
	v_lshlrev_b32_e64 v45, v181, 0x100000
	v_add_nc_u32_e32 v181, v181, v9
	s_delay_alu instid0(VALU_DEP_4) | instskip(NEXT) | instid1(VALU_DEP_4)
	v_and_b32_e32 v167, v41, v167
	v_bfe_u32 v44, v43, 21, 1
	s_delay_alu instid0(VALU_DEP_2) | instskip(NEXT) | instid1(VALU_DEP_2)
	v_cmp_eq_u32_e64 s13, v167, v45
	v_add_nc_u32_e32 v41, -1, v44
	s_delay_alu instid0(VALU_DEP_1) | instskip(SKIP_2) | instid1(VALU_DEP_2)
	v_cndmask_b32_e64 v167, 0, v41, s13
	v_lshrrev_b32_e32 v41, 23, v43
	s_mov_b32 s13, exec_lo
	v_add_nc_u32_e32 v167, v167, v43
	s_delay_alu instid0(VALU_DEP_2) | instskip(NEXT) | instid1(VALU_DEP_2)
	v_xor_b32_e32 v41, 1, v41
	v_and_b32_e32 v9, 0x1fffff, v167
	s_delay_alu instid0(VALU_DEP_1) | instskip(NEXT) | instid1(VALU_DEP_3)
	v_add_nc_u32_e32 v167, v9, v43
                                        ; implicit-def: $vgpr9
	v_cmpx_ne_u32_e64 v181, v41
	s_xor_b32 s13, exec_lo, s13
; %bb.8325:                             ;   in Loop: Header=BB4_7553 Depth=3
	s_delay_alu instid0(VALU_DEP_2) | instskip(SKIP_2) | instid1(VALU_DEP_2)
	v_cmp_lt_u32_e32 vcc_lo, 0xffffff, v167
	v_sub_nc_u32_e32 v9, v181, v41
	v_cndmask_b32_e64 v181, 0, 1, vcc_lo
	v_add_co_ci_u32_e32 v9, vcc_lo, 0, v9, vcc_lo
	s_delay_alu instid0(VALU_DEP_2)
	v_lshrrev_b32_e32 v167, v181, v167
; %bb.8326:                             ;   in Loop: Header=BB4_7553 Depth=3
	s_and_not1_saveexec_b32 s13, s13
; %bb.8327:                             ;   in Loop: Header=BB4_7553 Depth=3
	s_delay_alu instid0(VALU_DEP_1)
	v_bfe_u32 v9, v167, 23, 1
; %bb.8328:                             ;   in Loop: Header=BB4_7553 Depth=3
	s_or_b32 exec_lo, exec_lo, s13
	v_lshrrev_b32_e32 v167, 21, v167
	s_delay_alu instid0(VALU_DEP_2) | instskip(SKIP_2) | instid1(VALU_DEP_3)
	v_min_i32_e32 v181, 31, v9
	v_cmp_gt_i32_e32 vcc_lo, 32, v9
	v_lshrrev_b32_e32 v163, 24, v163
	v_lshlrev_b32_e32 v181, 2, v181
	v_cndmask_b32_e32 v167, 3, v167, vcc_lo
	s_delay_alu instid0(VALU_DEP_3) | instskip(NEXT) | instid1(VALU_DEP_3)
	v_and_b32_e32 v163, 0x80, v163
	v_and_b32_e32 v181, 0xfc, v181
	s_delay_alu instid0(VALU_DEP_3) | instskip(SKIP_1) | instid1(VALU_DEP_2)
	v_and_b32_e32 v41, 3, v167
	v_or_b32_e32 v9, v9, v167
	v_or3_b32 v163, v163, v181, v41
	s_delay_alu instid0(VALU_DEP_2) | instskip(NEXT) | instid1(VALU_DEP_2)
	v_cmp_ne_u32_e32 vcc_lo, 0, v9
	v_lshlrev_b32_e32 v163, 8, v163
	s_delay_alu instid0(VALU_DEP_1)
	v_cndmask_b32_e32 v9, 0, v163, vcc_lo
.LBB4_8329:                             ;   in Loop: Header=BB4_7553 Depth=3
	s_or_b32 exec_lo, exec_lo, s30
.LBB4_8330:                             ;   in Loop: Header=BB4_7553 Depth=3
	s_delay_alu instid0(SALU_CYCLE_1) | instskip(SKIP_3) | instid1(VALU_DEP_1)
	s_or_b32 exec_lo, exec_lo, s17
	v_and_b32_e32 v167, 0xff, v150
	s_mov_b32 s13, 0
	s_mov_b32 s30, exec_lo
                                        ; implicit-def: $sgpr17
	v_cmpx_lt_i16_e64 0x7f, v167
	s_xor_b32 s30, exec_lo, s30
	s_cbranch_execnz .LBB4_8776
; %bb.8331:                             ;   in Loop: Header=BB4_7553 Depth=3
	s_or_saveexec_b32 s30, s30
	v_mov_b32_e32 v163, s17
	s_xor_b32 exec_lo, exec_lo, s30
	s_cbranch_execnz .LBB4_8779
.LBB4_8332:                             ;   in Loop: Header=BB4_7553 Depth=3
	s_or_b32 exec_lo, exec_lo, s30
	s_and_saveexec_b32 s17, s13
	s_cbranch_execz .LBB4_8334
.LBB4_8333:                             ;   in Loop: Header=BB4_7553 Depth=3
	v_and_b32_e32 v163, 3, v150
	v_bfe_u32 v41, v150, 2, 5
	s_delay_alu instid0(VALU_DEP_2) | instskip(NEXT) | instid1(VALU_DEP_2)
	v_clz_i32_u32_e32 v167, v163
	v_cmp_eq_u32_e32 vcc_lo, 0, v41
	s_delay_alu instid0(VALU_DEP_2) | instskip(NEXT) | instid1(VALU_DEP_1)
	v_min_u32_e32 v167, 32, v167
	v_subrev_nc_u32_e32 v181, 29, v167
	v_sub_nc_u32_e32 v167, 30, v167
	s_delay_alu instid0(VALU_DEP_2) | instskip(NEXT) | instid1(VALU_DEP_2)
	v_lshlrev_b32_e32 v181, v181, v150
	v_dual_cndmask_b32 v167, v41, v167 :: v_dual_lshlrev_b32 v150, 24, v150
	s_delay_alu instid0(VALU_DEP_2) | instskip(NEXT) | instid1(VALU_DEP_2)
	v_and_b32_e32 v181, 3, v181
	v_and_b32_e32 v150, 0x80000000, v150
	s_delay_alu instid0(VALU_DEP_3) | instskip(NEXT) | instid1(VALU_DEP_3)
	v_lshl_add_u32 v167, v167, 23, 0x37800000
	v_cndmask_b32_e32 v163, v163, v181, vcc_lo
	s_delay_alu instid0(VALU_DEP_1) | instskip(NEXT) | instid1(VALU_DEP_1)
	v_lshlrev_b32_e32 v163, 21, v163
	v_or3_b32 v163, v150, v167, v163
.LBB4_8334:                             ;   in Loop: Header=BB4_7553 Depth=3
	s_or_b32 exec_lo, exec_lo, s17
	v_and_b32_e32 v167, 0xff, v10
	s_mov_b32 s13, 0
	s_mov_b32 s30, exec_lo
                                        ; implicit-def: $sgpr17
	s_delay_alu instid0(VALU_DEP_1)
	v_cmpx_lt_i16_e64 0x7f, v167
	s_xor_b32 s30, exec_lo, s30
	s_cbranch_execnz .LBB4_8780
; %bb.8335:                             ;   in Loop: Header=BB4_7553 Depth=3
	s_or_saveexec_b32 s30, s30
	v_mov_b32_e32 v150, s17
	s_xor_b32 exec_lo, exec_lo, s30
	s_cbranch_execnz .LBB4_8783
.LBB4_8336:                             ;   in Loop: Header=BB4_7553 Depth=3
	s_or_b32 exec_lo, exec_lo, s30
	s_and_saveexec_b32 s17, s13
	s_cbranch_execz .LBB4_8338
.LBB4_8337:                             ;   in Loop: Header=BB4_7553 Depth=3
	v_bfe_u32 v41, v10, 2, 5
	s_delay_alu instid0(VALU_DEP_1) | instskip(SKIP_1) | instid1(VALU_DEP_1)
	v_cmp_eq_u32_e32 vcc_lo, 0, v41
	v_and_b32_e32 v150, 3, v10
	v_clz_i32_u32_e32 v167, v150
	s_delay_alu instid0(VALU_DEP_1) | instskip(NEXT) | instid1(VALU_DEP_1)
	v_min_u32_e32 v167, 32, v167
	v_subrev_nc_u32_e32 v181, 29, v167
	v_sub_nc_u32_e32 v167, 30, v167
	s_delay_alu instid0(VALU_DEP_2) | instskip(NEXT) | instid1(VALU_DEP_2)
	v_lshlrev_b32_e32 v181, v181, v10
	v_cndmask_b32_e32 v167, v41, v167, vcc_lo
	s_delay_alu instid0(VALU_DEP_2) | instskip(SKIP_1) | instid1(VALU_DEP_3)
	v_and_b32_e32 v181, 3, v181
	v_lshlrev_b32_e32 v43, 24, v10
	v_lshl_add_u32 v167, v167, 23, 0x37800000
	s_delay_alu instid0(VALU_DEP_2) | instskip(NEXT) | instid1(VALU_DEP_1)
	v_dual_cndmask_b32 v150, v150, v181 :: v_dual_and_b32 v181, 0x80000000, v43
	v_lshlrev_b32_e32 v150, 21, v150
	s_delay_alu instid0(VALU_DEP_1)
	v_or3_b32 v150, v181, v167, v150
.LBB4_8338:                             ;   in Loop: Header=BB4_7553 Depth=3
	s_or_b32 exec_lo, exec_lo, s17
	s_delay_alu instid0(VALU_DEP_1) | instskip(NEXT) | instid1(VALU_DEP_1)
	v_add_f32_e32 v163, v163, v150
	v_and_b32_e32 v150, 0x7f800000, v163
	s_delay_alu instid0(VALU_DEP_1)
	v_cmp_ne_u32_e32 vcc_lo, 0x7f800000, v150
	v_mov_b32_e32 v150, 0x80
	s_and_saveexec_b32 s17, vcc_lo
	s_cbranch_execz .LBB4_8346
; %bb.8339:                             ;   in Loop: Header=BB4_7553 Depth=3
	v_mov_b32_e32 v150, 0
	s_mov_b32 s30, exec_lo
	v_cmpx_ne_u32_e32 0, v163
	s_cbranch_execz .LBB4_8345
; %bb.8340:                             ;   in Loop: Header=BB4_7553 Depth=3
	v_bfe_u32 v150, v163, 23, 8
	v_and_b32_e32 v167, 0x7fffff, v163
	s_delay_alu instid0(VALU_DEP_2) | instskip(SKIP_1) | instid1(VALU_DEP_3)
	v_sub_nc_u32_e32 v181, 0x70, v150
	v_cmp_gt_u32_e32 vcc_lo, 0x71, v150
	v_or_b32_e32 v41, 0x800000, v167
	s_delay_alu instid0(VALU_DEP_3) | instskip(SKIP_2) | instid1(VALU_DEP_3)
	v_cndmask_b32_e32 v181, 0, v181, vcc_lo
	v_cmp_eq_u32_e32 vcc_lo, 0, v150
	v_add_nc_u32_e32 v150, 0xffffff91, v150
	v_cndmask_b32_e64 v181, v181, 0x6f, vcc_lo
	v_cndmask_b32_e32 v167, v41, v167, vcc_lo
	s_delay_alu instid0(VALU_DEP_3) | instskip(NEXT) | instid1(VALU_DEP_3)
	v_cndmask_b32_e64 v150, v150, 0xffffff92, vcc_lo
	v_lshl_add_u32 v41, 0x200000, v181, -1
	s_delay_alu instid0(VALU_DEP_3) | instskip(SKIP_1) | instid1(VALU_DEP_4)
	v_lshrrev_b32_e32 v43, v181, v167
	v_lshlrev_b32_e64 v45, v181, 0x100000
	v_add_nc_u32_e32 v181, v181, v150
	s_delay_alu instid0(VALU_DEP_4) | instskip(NEXT) | instid1(VALU_DEP_4)
	v_and_b32_e32 v167, v41, v167
	v_bfe_u32 v44, v43, 21, 1
	s_delay_alu instid0(VALU_DEP_2) | instskip(NEXT) | instid1(VALU_DEP_2)
	v_cmp_eq_u32_e64 s13, v167, v45
	v_add_nc_u32_e32 v41, -1, v44
	s_delay_alu instid0(VALU_DEP_1) | instskip(SKIP_2) | instid1(VALU_DEP_2)
	v_cndmask_b32_e64 v167, 0, v41, s13
	v_lshrrev_b32_e32 v41, 23, v43
	s_mov_b32 s13, exec_lo
	v_add_nc_u32_e32 v167, v167, v43
	s_delay_alu instid0(VALU_DEP_2) | instskip(NEXT) | instid1(VALU_DEP_2)
	v_xor_b32_e32 v41, 1, v41
	v_and_b32_e32 v150, 0x1fffff, v167
	s_delay_alu instid0(VALU_DEP_1) | instskip(NEXT) | instid1(VALU_DEP_3)
	v_add_nc_u32_e32 v167, v150, v43
                                        ; implicit-def: $vgpr150
	v_cmpx_ne_u32_e64 v181, v41
	s_xor_b32 s13, exec_lo, s13
; %bb.8341:                             ;   in Loop: Header=BB4_7553 Depth=3
	s_delay_alu instid0(VALU_DEP_2) | instskip(SKIP_2) | instid1(VALU_DEP_2)
	v_cmp_lt_u32_e32 vcc_lo, 0xffffff, v167
	v_sub_nc_u32_e32 v150, v181, v41
	v_cndmask_b32_e64 v181, 0, 1, vcc_lo
	v_add_co_ci_u32_e32 v150, vcc_lo, 0, v150, vcc_lo
	s_delay_alu instid0(VALU_DEP_2)
	v_lshrrev_b32_e32 v167, v181, v167
; %bb.8342:                             ;   in Loop: Header=BB4_7553 Depth=3
	s_and_not1_saveexec_b32 s13, s13
; %bb.8343:                             ;   in Loop: Header=BB4_7553 Depth=3
	s_delay_alu instid0(VALU_DEP_1)
	v_bfe_u32 v150, v167, 23, 1
; %bb.8344:                             ;   in Loop: Header=BB4_7553 Depth=3
	s_or_b32 exec_lo, exec_lo, s13
	v_lshrrev_b32_e32 v167, 21, v167
	s_delay_alu instid0(VALU_DEP_2) | instskip(SKIP_2) | instid1(VALU_DEP_4)
	v_cmp_gt_i32_e32 vcc_lo, 32, v150
	v_lshrrev_b32_e32 v163, 24, v163
	v_min_i32_e32 v181, 31, v150
	v_cndmask_b32_e32 v167, 3, v167, vcc_lo
	s_delay_alu instid0(VALU_DEP_3) | instskip(NEXT) | instid1(VALU_DEP_2)
	v_and_b32_e32 v163, 0x80, v163
	v_or_b32_e32 v150, v150, v167
	v_and_b32_e32 v41, 3, v167
	s_delay_alu instid0(VALU_DEP_2) | instskip(SKIP_1) | instid1(VALU_DEP_1)
	v_cmp_ne_u32_e32 vcc_lo, 0, v150
	v_lshlrev_b32_e32 v181, 2, v181
	v_or3_b32 v163, v181, v163, v41
	s_delay_alu instid0(VALU_DEP_1)
	v_cndmask_b32_e32 v150, 0, v163, vcc_lo
.LBB4_8345:                             ;   in Loop: Header=BB4_7553 Depth=3
	s_or_b32 exec_lo, exec_lo, s30
.LBB4_8346:                             ;   in Loop: Header=BB4_7553 Depth=3
	s_delay_alu instid0(SALU_CYCLE_1) | instskip(SKIP_3) | instid1(VALU_DEP_1)
	s_or_b32 exec_lo, exec_lo, s17
	v_and_b32_e32 v167, 0xff, v148
	s_mov_b32 s13, 0
	s_mov_b32 s30, exec_lo
                                        ; implicit-def: $sgpr17
	v_cmpx_lt_i16_e64 0x7f, v167
	s_xor_b32 s30, exec_lo, s30
	s_cbranch_execnz .LBB4_8784
; %bb.8347:                             ;   in Loop: Header=BB4_7553 Depth=3
	s_or_saveexec_b32 s30, s30
	v_mov_b32_e32 v163, s17
	s_xor_b32 exec_lo, exec_lo, s30
	s_cbranch_execnz .LBB4_8787
.LBB4_8348:                             ;   in Loop: Header=BB4_7553 Depth=3
	s_or_b32 exec_lo, exec_lo, s30
	s_and_saveexec_b32 s17, s13
	s_cbranch_execz .LBB4_8350
.LBB4_8349:                             ;   in Loop: Header=BB4_7553 Depth=3
	v_and_b32_e32 v163, 3, v148
	v_bfe_u32 v41, v148, 2, 5
	s_delay_alu instid0(VALU_DEP_2) | instskip(NEXT) | instid1(VALU_DEP_2)
	v_clz_i32_u32_e32 v167, v163
	v_cmp_eq_u32_e32 vcc_lo, 0, v41
	s_delay_alu instid0(VALU_DEP_2) | instskip(NEXT) | instid1(VALU_DEP_1)
	v_min_u32_e32 v167, 32, v167
	v_subrev_nc_u32_e32 v181, 29, v167
	v_sub_nc_u32_e32 v167, 30, v167
	s_delay_alu instid0(VALU_DEP_2) | instskip(NEXT) | instid1(VALU_DEP_2)
	v_lshlrev_b32_e32 v181, v181, v148
	v_dual_cndmask_b32 v167, v41, v167 :: v_dual_lshlrev_b32 v148, 24, v148
	s_delay_alu instid0(VALU_DEP_2) | instskip(NEXT) | instid1(VALU_DEP_2)
	v_and_b32_e32 v181, 3, v181
	v_and_b32_e32 v148, 0x80000000, v148
	s_delay_alu instid0(VALU_DEP_3) | instskip(NEXT) | instid1(VALU_DEP_3)
	v_lshl_add_u32 v167, v167, 23, 0x37800000
	v_cndmask_b32_e32 v163, v163, v181, vcc_lo
	s_delay_alu instid0(VALU_DEP_1) | instskip(NEXT) | instid1(VALU_DEP_1)
	v_lshlrev_b32_e32 v163, 21, v163
	v_or3_b32 v163, v148, v167, v163
.LBB4_8350:                             ;   in Loop: Header=BB4_7553 Depth=3
	s_or_b32 exec_lo, exec_lo, s17
	v_lshrrev_b16 v148, 8, v10
	s_mov_b32 s13, 0
	s_mov_b32 s30, exec_lo
                                        ; implicit-def: $sgpr17
	s_delay_alu instid0(VALU_DEP_1)
	v_cmpx_lt_i16_e64 0x7f, v148
	s_xor_b32 s30, exec_lo, s30
	s_cbranch_execnz .LBB4_8788
; %bb.8351:                             ;   in Loop: Header=BB4_7553 Depth=3
	s_or_saveexec_b32 s30, s30
	v_mov_b32_e32 v167, s17
	s_xor_b32 exec_lo, exec_lo, s30
	s_cbranch_execnz .LBB4_8791
.LBB4_8352:                             ;   in Loop: Header=BB4_7553 Depth=3
	s_or_b32 exec_lo, exec_lo, s30
	s_and_saveexec_b32 s17, s13
	s_cbranch_execz .LBB4_8354
.LBB4_8353:                             ;   in Loop: Header=BB4_7553 Depth=3
	v_and_b32_e32 v167, 0xffff, v148
	s_delay_alu instid0(VALU_DEP_1) | instskip(NEXT) | instid1(VALU_DEP_1)
	v_and_b32_e32 v181, 3, v167
	v_clz_i32_u32_e32 v41, v181
	s_delay_alu instid0(VALU_DEP_1) | instskip(NEXT) | instid1(VALU_DEP_1)
	v_min_u32_e32 v41, 32, v41
	v_subrev_nc_u32_e32 v43, 29, v41
	v_sub_nc_u32_e32 v41, 30, v41
	s_delay_alu instid0(VALU_DEP_2) | instskip(SKIP_1) | instid1(VALU_DEP_2)
	v_lshlrev_b32_e32 v43, v43, v167
	v_bfe_u32 v167, v167, 2, 5
	v_and_b32_e32 v43, 3, v43
	s_delay_alu instid0(VALU_DEP_2) | instskip(SKIP_1) | instid1(VALU_DEP_1)
	v_cmp_eq_u32_e32 vcc_lo, 0, v167
	v_dual_cndmask_b32 v167, v167, v41 :: v_dual_lshlrev_b32 v148, 24, v148
	v_dual_cndmask_b32 v181, v181, v43 :: v_dual_and_b32 v148, 0x80000000, v148
	s_delay_alu instid0(VALU_DEP_2) | instskip(NEXT) | instid1(VALU_DEP_2)
	v_lshl_add_u32 v167, v167, 23, 0x37800000
	v_lshlrev_b32_e32 v181, 21, v181
	s_delay_alu instid0(VALU_DEP_1)
	v_or3_b32 v167, v148, v167, v181
.LBB4_8354:                             ;   in Loop: Header=BB4_7553 Depth=3
	s_or_b32 exec_lo, exec_lo, s17
	s_delay_alu instid0(VALU_DEP_1) | instskip(NEXT) | instid1(VALU_DEP_1)
	v_add_f32_e32 v163, v163, v167
	v_and_b32_e32 v148, 0x7f800000, v163
	s_delay_alu instid0(VALU_DEP_1)
	v_cmp_ne_u32_e32 vcc_lo, 0x7f800000, v148
	v_mov_b32_e32 v148, 0x80
	s_and_saveexec_b32 s17, vcc_lo
	s_cbranch_execz .LBB4_8362
; %bb.8355:                             ;   in Loop: Header=BB4_7553 Depth=3
	v_mov_b32_e32 v148, 0
	s_mov_b32 s30, exec_lo
	v_cmpx_ne_u32_e32 0, v163
	s_cbranch_execz .LBB4_8361
; %bb.8356:                             ;   in Loop: Header=BB4_7553 Depth=3
	v_bfe_u32 v148, v163, 23, 8
	v_and_b32_e32 v167, 0x7fffff, v163
	s_delay_alu instid0(VALU_DEP_2) | instskip(SKIP_1) | instid1(VALU_DEP_3)
	v_sub_nc_u32_e32 v181, 0x70, v148
	v_cmp_gt_u32_e32 vcc_lo, 0x71, v148
	v_or_b32_e32 v41, 0x800000, v167
	s_delay_alu instid0(VALU_DEP_3) | instskip(SKIP_2) | instid1(VALU_DEP_3)
	v_cndmask_b32_e32 v181, 0, v181, vcc_lo
	v_cmp_eq_u32_e32 vcc_lo, 0, v148
	v_add_nc_u32_e32 v148, 0xffffff91, v148
	v_cndmask_b32_e64 v181, v181, 0x6f, vcc_lo
	v_cndmask_b32_e32 v167, v41, v167, vcc_lo
	s_delay_alu instid0(VALU_DEP_3) | instskip(NEXT) | instid1(VALU_DEP_3)
	v_cndmask_b32_e64 v148, v148, 0xffffff92, vcc_lo
	v_lshl_add_u32 v41, 0x200000, v181, -1
	s_delay_alu instid0(VALU_DEP_3) | instskip(SKIP_1) | instid1(VALU_DEP_4)
	v_lshrrev_b32_e32 v43, v181, v167
	v_lshlrev_b32_e64 v45, v181, 0x100000
	v_add_nc_u32_e32 v181, v181, v148
	s_delay_alu instid0(VALU_DEP_4) | instskip(NEXT) | instid1(VALU_DEP_4)
	v_and_b32_e32 v167, v41, v167
	v_bfe_u32 v44, v43, 21, 1
	s_delay_alu instid0(VALU_DEP_2) | instskip(NEXT) | instid1(VALU_DEP_2)
	v_cmp_eq_u32_e64 s13, v167, v45
	v_add_nc_u32_e32 v41, -1, v44
	s_delay_alu instid0(VALU_DEP_1) | instskip(SKIP_2) | instid1(VALU_DEP_2)
	v_cndmask_b32_e64 v167, 0, v41, s13
	v_lshrrev_b32_e32 v41, 23, v43
	s_mov_b32 s13, exec_lo
	v_add_nc_u32_e32 v167, v167, v43
	s_delay_alu instid0(VALU_DEP_2) | instskip(NEXT) | instid1(VALU_DEP_2)
	v_xor_b32_e32 v41, 1, v41
	v_and_b32_e32 v148, 0x1fffff, v167
	s_delay_alu instid0(VALU_DEP_1) | instskip(NEXT) | instid1(VALU_DEP_3)
	v_add_nc_u32_e32 v167, v148, v43
                                        ; implicit-def: $vgpr148
	v_cmpx_ne_u32_e64 v181, v41
	s_xor_b32 s13, exec_lo, s13
; %bb.8357:                             ;   in Loop: Header=BB4_7553 Depth=3
	s_delay_alu instid0(VALU_DEP_2) | instskip(SKIP_2) | instid1(VALU_DEP_2)
	v_cmp_lt_u32_e32 vcc_lo, 0xffffff, v167
	v_sub_nc_u32_e32 v148, v181, v41
	v_cndmask_b32_e64 v181, 0, 1, vcc_lo
	v_add_co_ci_u32_e32 v148, vcc_lo, 0, v148, vcc_lo
	s_delay_alu instid0(VALU_DEP_2)
	v_lshrrev_b32_e32 v167, v181, v167
; %bb.8358:                             ;   in Loop: Header=BB4_7553 Depth=3
	s_and_not1_saveexec_b32 s13, s13
; %bb.8359:                             ;   in Loop: Header=BB4_7553 Depth=3
	s_delay_alu instid0(VALU_DEP_1)
	v_bfe_u32 v148, v167, 23, 1
; %bb.8360:                             ;   in Loop: Header=BB4_7553 Depth=3
	s_or_b32 exec_lo, exec_lo, s13
	v_lshrrev_b32_e32 v167, 21, v167
	s_delay_alu instid0(VALU_DEP_2) | instskip(SKIP_2) | instid1(VALU_DEP_4)
	v_cmp_gt_i32_e32 vcc_lo, 32, v148
	v_lshrrev_b32_e32 v163, 24, v163
	v_min_i32_e32 v181, 31, v148
	v_cndmask_b32_e32 v167, 3, v167, vcc_lo
	s_delay_alu instid0(VALU_DEP_3) | instskip(NEXT) | instid1(VALU_DEP_2)
	v_and_b32_e32 v163, 0x80, v163
	v_or_b32_e32 v148, v148, v167
	v_and_b32_e32 v41, 3, v167
	s_delay_alu instid0(VALU_DEP_2) | instskip(SKIP_1) | instid1(VALU_DEP_1)
	v_cmp_ne_u32_e32 vcc_lo, 0, v148
	v_lshlrev_b32_e32 v181, 2, v181
	v_or3_b32 v163, v181, v163, v41
	s_delay_alu instid0(VALU_DEP_1)
	v_cndmask_b32_e32 v148, 0, v163, vcc_lo
.LBB4_8361:                             ;   in Loop: Header=BB4_7553 Depth=3
	s_or_b32 exec_lo, exec_lo, s30
.LBB4_8362:                             ;   in Loop: Header=BB4_7553 Depth=3
	s_delay_alu instid0(SALU_CYCLE_1) | instskip(SKIP_3) | instid1(VALU_DEP_1)
	s_or_b32 exec_lo, exec_lo, s17
	v_and_b32_e32 v167, 0xff, v147
	s_mov_b32 s13, 0
	s_mov_b32 s30, exec_lo
                                        ; implicit-def: $sgpr17
	v_cmpx_lt_i16_e64 0x7f, v167
	s_xor_b32 s30, exec_lo, s30
	s_cbranch_execnz .LBB4_8792
; %bb.8363:                             ;   in Loop: Header=BB4_7553 Depth=3
	s_or_saveexec_b32 s30, s30
	v_mov_b32_e32 v163, s17
	s_xor_b32 exec_lo, exec_lo, s30
	s_cbranch_execnz .LBB4_8795
.LBB4_8364:                             ;   in Loop: Header=BB4_7553 Depth=3
	s_or_b32 exec_lo, exec_lo, s30
	s_and_saveexec_b32 s17, s13
	s_cbranch_execz .LBB4_8366
.LBB4_8365:                             ;   in Loop: Header=BB4_7553 Depth=3
	v_and_b32_e32 v163, 3, v147
	v_bfe_u32 v41, v147, 2, 5
	s_delay_alu instid0(VALU_DEP_2) | instskip(NEXT) | instid1(VALU_DEP_2)
	v_clz_i32_u32_e32 v167, v163
	v_cmp_eq_u32_e32 vcc_lo, 0, v41
	s_delay_alu instid0(VALU_DEP_2) | instskip(NEXT) | instid1(VALU_DEP_1)
	v_min_u32_e32 v167, 32, v167
	v_subrev_nc_u32_e32 v181, 29, v167
	v_sub_nc_u32_e32 v167, 30, v167
	s_delay_alu instid0(VALU_DEP_2) | instskip(SKIP_1) | instid1(VALU_DEP_3)
	v_lshlrev_b32_e32 v181, v181, v147
	v_lshlrev_b32_e32 v147, 24, v147
	v_cndmask_b32_e32 v167, v41, v167, vcc_lo
	s_delay_alu instid0(VALU_DEP_3) | instskip(NEXT) | instid1(VALU_DEP_3)
	v_and_b32_e32 v181, 3, v181
	v_and_b32_e32 v147, 0x80000000, v147
	s_delay_alu instid0(VALU_DEP_3) | instskip(NEXT) | instid1(VALU_DEP_3)
	v_lshl_add_u32 v167, v167, 23, 0x37800000
	v_cndmask_b32_e32 v163, v163, v181, vcc_lo
	s_delay_alu instid0(VALU_DEP_1) | instskip(NEXT) | instid1(VALU_DEP_1)
	v_lshlrev_b32_e32 v163, 21, v163
	v_or3_b32 v163, v147, v167, v163
.LBB4_8366:                             ;   in Loop: Header=BB4_7553 Depth=3
	s_or_b32 exec_lo, exec_lo, s17
	v_lshrrev_b32_e32 v147, 16, v10
	s_mov_b32 s13, 0
	s_mov_b32 s30, exec_lo
                                        ; implicit-def: $sgpr17
	s_delay_alu instid0(VALU_DEP_1) | instskip(NEXT) | instid1(VALU_DEP_1)
	v_and_b32_e32 v181, 0xff, v147
	v_cmpx_lt_i16_e64 0x7f, v181
	s_xor_b32 s30, exec_lo, s30
	s_cbranch_execnz .LBB4_8796
; %bb.8367:                             ;   in Loop: Header=BB4_7553 Depth=3
	s_or_saveexec_b32 s30, s30
	v_mov_b32_e32 v167, s17
	s_xor_b32 exec_lo, exec_lo, s30
	s_cbranch_execnz .LBB4_8799
.LBB4_8368:                             ;   in Loop: Header=BB4_7553 Depth=3
	s_or_b32 exec_lo, exec_lo, s30
	s_and_saveexec_b32 s17, s13
	s_cbranch_execz .LBB4_8370
.LBB4_8369:                             ;   in Loop: Header=BB4_7553 Depth=3
	v_bfe_u32 v167, v10, 16, 2
	v_lshlrev_b32_e32 v43, 8, v10
	s_delay_alu instid0(VALU_DEP_2) | instskip(NEXT) | instid1(VALU_DEP_1)
	v_clz_i32_u32_e32 v181, v167
	v_min_u32_e32 v181, 32, v181
	s_delay_alu instid0(VALU_DEP_1) | instskip(SKIP_1) | instid1(VALU_DEP_2)
	v_subrev_nc_u32_e32 v41, 29, v181
	v_sub_nc_u32_e32 v181, 30, v181
	v_lshlrev_b32_e32 v147, v41, v147
	v_bfe_u32 v41, v10, 18, 5
	s_delay_alu instid0(VALU_DEP_2) | instskip(NEXT) | instid1(VALU_DEP_2)
	v_and_b32_e32 v147, 3, v147
	v_cmp_eq_u32_e32 vcc_lo, 0, v41
	v_cndmask_b32_e32 v181, v41, v181, vcc_lo
	s_delay_alu instid0(VALU_DEP_3) | instskip(SKIP_1) | instid1(VALU_DEP_3)
	v_cndmask_b32_e32 v147, v167, v147, vcc_lo
	v_and_b32_e32 v167, 0x80000000, v43
	v_lshl_add_u32 v181, v181, 23, 0x37800000
	s_delay_alu instid0(VALU_DEP_3) | instskip(NEXT) | instid1(VALU_DEP_1)
	v_lshlrev_b32_e32 v147, 21, v147
	v_or3_b32 v167, v167, v181, v147
.LBB4_8370:                             ;   in Loop: Header=BB4_7553 Depth=3
	s_or_b32 exec_lo, exec_lo, s17
	s_delay_alu instid0(VALU_DEP_1) | instskip(NEXT) | instid1(VALU_DEP_1)
	v_add_f32_e32 v163, v163, v167
	v_and_b32_e32 v147, 0x7f800000, v163
	s_delay_alu instid0(VALU_DEP_1)
	v_cmp_ne_u32_e32 vcc_lo, 0x7f800000, v147
	v_mov_b32_e32 v147, 0x80
	s_and_saveexec_b32 s17, vcc_lo
	s_cbranch_execz .LBB4_8378
; %bb.8371:                             ;   in Loop: Header=BB4_7553 Depth=3
	v_mov_b32_e32 v147, 0
	s_mov_b32 s30, exec_lo
	v_cmpx_ne_u32_e32 0, v163
	s_cbranch_execz .LBB4_8377
; %bb.8372:                             ;   in Loop: Header=BB4_7553 Depth=3
	v_bfe_u32 v147, v163, 23, 8
	v_and_b32_e32 v167, 0x7fffff, v163
	s_delay_alu instid0(VALU_DEP_2) | instskip(SKIP_1) | instid1(VALU_DEP_3)
	v_sub_nc_u32_e32 v181, 0x70, v147
	v_cmp_gt_u32_e32 vcc_lo, 0x71, v147
	v_or_b32_e32 v41, 0x800000, v167
	s_delay_alu instid0(VALU_DEP_3) | instskip(SKIP_2) | instid1(VALU_DEP_3)
	v_cndmask_b32_e32 v181, 0, v181, vcc_lo
	v_cmp_eq_u32_e32 vcc_lo, 0, v147
	v_add_nc_u32_e32 v147, 0xffffff91, v147
	v_cndmask_b32_e64 v181, v181, 0x6f, vcc_lo
	v_cndmask_b32_e32 v167, v41, v167, vcc_lo
	s_delay_alu instid0(VALU_DEP_3) | instskip(NEXT) | instid1(VALU_DEP_3)
	v_cndmask_b32_e64 v147, v147, 0xffffff92, vcc_lo
	v_lshl_add_u32 v41, 0x200000, v181, -1
	s_delay_alu instid0(VALU_DEP_3) | instskip(SKIP_1) | instid1(VALU_DEP_4)
	v_lshrrev_b32_e32 v43, v181, v167
	v_lshlrev_b32_e64 v45, v181, 0x100000
	v_add_nc_u32_e32 v181, v181, v147
	s_delay_alu instid0(VALU_DEP_4) | instskip(NEXT) | instid1(VALU_DEP_4)
	v_and_b32_e32 v167, v41, v167
	v_bfe_u32 v44, v43, 21, 1
	s_delay_alu instid0(VALU_DEP_2) | instskip(NEXT) | instid1(VALU_DEP_2)
	v_cmp_eq_u32_e64 s13, v167, v45
	v_add_nc_u32_e32 v41, -1, v44
	s_delay_alu instid0(VALU_DEP_1) | instskip(SKIP_2) | instid1(VALU_DEP_2)
	v_cndmask_b32_e64 v167, 0, v41, s13
	v_lshrrev_b32_e32 v41, 23, v43
	s_mov_b32 s13, exec_lo
	v_add_nc_u32_e32 v167, v167, v43
	s_delay_alu instid0(VALU_DEP_2) | instskip(NEXT) | instid1(VALU_DEP_2)
	v_xor_b32_e32 v41, 1, v41
	v_and_b32_e32 v147, 0x1fffff, v167
	s_delay_alu instid0(VALU_DEP_1) | instskip(NEXT) | instid1(VALU_DEP_3)
	v_add_nc_u32_e32 v167, v147, v43
                                        ; implicit-def: $vgpr147
	v_cmpx_ne_u32_e64 v181, v41
	s_xor_b32 s13, exec_lo, s13
; %bb.8373:                             ;   in Loop: Header=BB4_7553 Depth=3
	s_delay_alu instid0(VALU_DEP_2) | instskip(SKIP_2) | instid1(VALU_DEP_2)
	v_cmp_lt_u32_e32 vcc_lo, 0xffffff, v167
	v_sub_nc_u32_e32 v147, v181, v41
	v_cndmask_b32_e64 v181, 0, 1, vcc_lo
	v_add_co_ci_u32_e32 v147, vcc_lo, 0, v147, vcc_lo
	s_delay_alu instid0(VALU_DEP_2)
	v_lshrrev_b32_e32 v167, v181, v167
; %bb.8374:                             ;   in Loop: Header=BB4_7553 Depth=3
	s_and_not1_saveexec_b32 s13, s13
; %bb.8375:                             ;   in Loop: Header=BB4_7553 Depth=3
	s_delay_alu instid0(VALU_DEP_1)
	v_bfe_u32 v147, v167, 23, 1
; %bb.8376:                             ;   in Loop: Header=BB4_7553 Depth=3
	s_or_b32 exec_lo, exec_lo, s13
	v_lshrrev_b32_e32 v167, 21, v167
	s_delay_alu instid0(VALU_DEP_2) | instskip(SKIP_2) | instid1(VALU_DEP_4)
	v_cmp_gt_i32_e32 vcc_lo, 32, v147
	v_lshrrev_b32_e32 v163, 24, v163
	v_min_i32_e32 v181, 31, v147
	v_cndmask_b32_e32 v167, 3, v167, vcc_lo
	s_delay_alu instid0(VALU_DEP_3) | instskip(NEXT) | instid1(VALU_DEP_3)
	v_and_b32_e32 v163, 0x80, v163
	v_lshlrev_b32_e32 v181, 2, v181
	s_delay_alu instid0(VALU_DEP_3) | instskip(SKIP_1) | instid1(VALU_DEP_2)
	v_and_b32_e32 v41, 3, v167
	v_or_b32_e32 v147, v147, v167
	v_or3_b32 v163, v181, v163, v41
	s_delay_alu instid0(VALU_DEP_2) | instskip(NEXT) | instid1(VALU_DEP_2)
	v_cmp_ne_u32_e32 vcc_lo, 0, v147
	v_cndmask_b32_e32 v147, 0, v163, vcc_lo
.LBB4_8377:                             ;   in Loop: Header=BB4_7553 Depth=3
	s_or_b32 exec_lo, exec_lo, s30
.LBB4_8378:                             ;   in Loop: Header=BB4_7553 Depth=3
	s_delay_alu instid0(SALU_CYCLE_1) | instskip(SKIP_3) | instid1(VALU_DEP_1)
	s_or_b32 exec_lo, exec_lo, s17
	v_and_b32_e32 v167, 0xff, v144
	s_mov_b32 s13, 0
	s_mov_b32 s30, exec_lo
                                        ; implicit-def: $sgpr17
	v_cmpx_lt_i16_e64 0x7f, v167
	s_xor_b32 s30, exec_lo, s30
	s_cbranch_execnz .LBB4_8800
; %bb.8379:                             ;   in Loop: Header=BB4_7553 Depth=3
	s_or_saveexec_b32 s30, s30
	v_mov_b32_e32 v163, s17
	s_xor_b32 exec_lo, exec_lo, s30
	s_cbranch_execnz .LBB4_8803
.LBB4_8380:                             ;   in Loop: Header=BB4_7553 Depth=3
	s_or_b32 exec_lo, exec_lo, s30
	s_and_saveexec_b32 s17, s13
	s_cbranch_execz .LBB4_8382
.LBB4_8381:                             ;   in Loop: Header=BB4_7553 Depth=3
	v_lshlrev_b32_e32 v144, 8, v144
	s_delay_alu instid0(VALU_DEP_1) | instskip(SKIP_1) | instid1(VALU_DEP_2)
	v_and_b32_e32 v163, 0xff00, v144
	v_bfe_u32 v144, v144, 10, 5
	v_bfe_u32 v181, v163, 8, 2
	s_delay_alu instid0(VALU_DEP_2) | instskip(NEXT) | instid1(VALU_DEP_2)
	v_cmp_eq_u32_e32 vcc_lo, 0, v144
	v_clz_i32_u32_e32 v41, v181
	s_delay_alu instid0(VALU_DEP_1) | instskip(NEXT) | instid1(VALU_DEP_1)
	v_min_u32_e32 v41, 32, v41
	v_subrev_nc_u32_e32 v43, 29, v41
	v_sub_nc_u32_e32 v41, 30, v41
	s_delay_alu instid0(VALU_DEP_1) | instskip(SKIP_1) | instid1(VALU_DEP_2)
	v_dual_cndmask_b32 v144, v144, v41 :: v_dual_lshlrev_b32 v167, v43, v167
	v_lshlrev_b32_e32 v163, 16, v163
	v_and_b32_e32 v167, 3, v167
	s_delay_alu instid0(VALU_DEP_3) | instskip(NEXT) | instid1(VALU_DEP_3)
	v_lshl_add_u32 v144, v144, 23, 0x37800000
	v_and_b32_e32 v163, 0x80000000, v163
	s_delay_alu instid0(VALU_DEP_3) | instskip(NEXT) | instid1(VALU_DEP_1)
	v_cndmask_b32_e32 v167, v181, v167, vcc_lo
	v_lshlrev_b32_e32 v167, 21, v167
	s_delay_alu instid0(VALU_DEP_1)
	v_or3_b32 v163, v163, v144, v167
.LBB4_8382:                             ;   in Loop: Header=BB4_7553 Depth=3
	s_or_b32 exec_lo, exec_lo, s17
	v_lshrrev_b32_e32 v144, 24, v10
	s_mov_b32 s13, 0
	s_mov_b32 s30, exec_lo
                                        ; implicit-def: $sgpr17
	s_delay_alu instid0(VALU_DEP_1)
	v_cmpx_lt_i16_e64 0x7f, v144
	s_xor_b32 s30, exec_lo, s30
	s_cbranch_execnz .LBB4_8804
; %bb.8383:                             ;   in Loop: Header=BB4_7553 Depth=3
	s_or_saveexec_b32 s30, s30
	v_mov_b32_e32 v167, s17
	s_xor_b32 exec_lo, exec_lo, s30
	s_cbranch_execnz .LBB4_8807
.LBB4_8384:                             ;   in Loop: Header=BB4_7553 Depth=3
	s_or_b32 exec_lo, exec_lo, s30
	s_and_saveexec_b32 s17, s13
	s_cbranch_execz .LBB4_8386
.LBB4_8385:                             ;   in Loop: Header=BB4_7553 Depth=3
	v_bfe_u32 v167, v10, 24, 2
	s_delay_alu instid0(VALU_DEP_1) | instskip(NEXT) | instid1(VALU_DEP_1)
	v_clz_i32_u32_e32 v181, v167
	v_min_u32_e32 v181, 32, v181
	s_delay_alu instid0(VALU_DEP_1) | instskip(SKIP_1) | instid1(VALU_DEP_2)
	v_subrev_nc_u32_e32 v41, 29, v181
	v_sub_nc_u32_e32 v181, 30, v181
	v_lshlrev_b32_e32 v144, v41, v144
	v_bfe_u32 v41, v10, 26, 5
	v_and_b32_e32 v10, 0x80000000, v10
	s_delay_alu instid0(VALU_DEP_2) | instskip(NEXT) | instid1(VALU_DEP_4)
	v_cmp_eq_u32_e32 vcc_lo, 0, v41
	v_dual_cndmask_b32 v181, v41, v181 :: v_dual_and_b32 v144, 3, v144
	s_delay_alu instid0(VALU_DEP_1) | instskip(NEXT) | instid1(VALU_DEP_2)
	v_cndmask_b32_e32 v144, v167, v144, vcc_lo
	v_lshl_add_u32 v167, v181, 23, 0x37800000
	s_delay_alu instid0(VALU_DEP_2) | instskip(NEXT) | instid1(VALU_DEP_1)
	v_lshlrev_b32_e32 v144, 21, v144
	v_or3_b32 v167, v10, v167, v144
.LBB4_8386:                             ;   in Loop: Header=BB4_7553 Depth=3
	s_or_b32 exec_lo, exec_lo, s17
	s_delay_alu instid0(VALU_DEP_1) | instskip(NEXT) | instid1(VALU_DEP_1)
	v_add_f32_e32 v144, v163, v167
	v_and_b32_e32 v10, 0x7f800000, v144
	s_delay_alu instid0(VALU_DEP_1)
	v_cmp_ne_u32_e32 vcc_lo, 0x7f800000, v10
	v_mov_b32_e32 v10, 0x80
	s_and_saveexec_b32 s17, vcc_lo
	s_cbranch_execz .LBB4_8394
; %bb.8387:                             ;   in Loop: Header=BB4_7553 Depth=3
	v_mov_b32_e32 v10, 0
	s_mov_b32 s30, exec_lo
	v_cmpx_ne_u32_e32 0, v144
	s_cbranch_execz .LBB4_8393
; %bb.8388:                             ;   in Loop: Header=BB4_7553 Depth=3
	v_bfe_u32 v10, v144, 23, 8
	v_and_b32_e32 v163, 0x7fffff, v144
	s_delay_alu instid0(VALU_DEP_2) | instskip(SKIP_1) | instid1(VALU_DEP_3)
	v_sub_nc_u32_e32 v167, 0x70, v10
	v_cmp_gt_u32_e32 vcc_lo, 0x71, v10
	v_or_b32_e32 v181, 0x800000, v163
	s_delay_alu instid0(VALU_DEP_3) | instskip(SKIP_2) | instid1(VALU_DEP_3)
	v_cndmask_b32_e32 v167, 0, v167, vcc_lo
	v_cmp_eq_u32_e32 vcc_lo, 0, v10
	v_add_nc_u32_e32 v10, 0xffffff91, v10
	v_cndmask_b32_e64 v167, v167, 0x6f, vcc_lo
	v_cndmask_b32_e32 v163, v181, v163, vcc_lo
	s_delay_alu instid0(VALU_DEP_3) | instskip(NEXT) | instid1(VALU_DEP_3)
	v_cndmask_b32_e64 v10, v10, 0xffffff92, vcc_lo
	v_lshl_add_u32 v181, 0x200000, v167, -1
	s_delay_alu instid0(VALU_DEP_3) | instskip(SKIP_1) | instid1(VALU_DEP_4)
	v_lshrrev_b32_e32 v41, v167, v163
	v_lshlrev_b32_e64 v44, v167, 0x100000
	v_add_nc_u32_e32 v167, v167, v10
	s_delay_alu instid0(VALU_DEP_4) | instskip(NEXT) | instid1(VALU_DEP_4)
	v_and_b32_e32 v163, v181, v163
	v_bfe_u32 v43, v41, 21, 1
	s_delay_alu instid0(VALU_DEP_2) | instskip(NEXT) | instid1(VALU_DEP_2)
	v_cmp_eq_u32_e64 s13, v163, v44
	v_add_nc_u32_e32 v181, -1, v43
	s_delay_alu instid0(VALU_DEP_1) | instskip(SKIP_2) | instid1(VALU_DEP_2)
	v_cndmask_b32_e64 v163, 0, v181, s13
	v_lshrrev_b32_e32 v181, 23, v41
	s_mov_b32 s13, exec_lo
	v_add_nc_u32_e32 v163, v163, v41
	s_delay_alu instid0(VALU_DEP_2) | instskip(NEXT) | instid1(VALU_DEP_2)
	v_xor_b32_e32 v181, 1, v181
	v_and_b32_e32 v10, 0x1fffff, v163
	s_delay_alu instid0(VALU_DEP_1) | instskip(NEXT) | instid1(VALU_DEP_3)
	v_add_nc_u32_e32 v163, v10, v41
                                        ; implicit-def: $vgpr10
	v_cmpx_ne_u32_e64 v167, v181
	s_xor_b32 s13, exec_lo, s13
; %bb.8389:                             ;   in Loop: Header=BB4_7553 Depth=3
	s_delay_alu instid0(VALU_DEP_2) | instskip(SKIP_2) | instid1(VALU_DEP_2)
	v_cmp_lt_u32_e32 vcc_lo, 0xffffff, v163
	v_sub_nc_u32_e32 v10, v167, v181
	v_cndmask_b32_e64 v167, 0, 1, vcc_lo
	v_add_co_ci_u32_e32 v10, vcc_lo, 0, v10, vcc_lo
	s_delay_alu instid0(VALU_DEP_2)
	v_lshrrev_b32_e32 v163, v167, v163
; %bb.8390:                             ;   in Loop: Header=BB4_7553 Depth=3
	s_and_not1_saveexec_b32 s13, s13
; %bb.8391:                             ;   in Loop: Header=BB4_7553 Depth=3
	s_delay_alu instid0(VALU_DEP_1)
	v_bfe_u32 v10, v163, 23, 1
; %bb.8392:                             ;   in Loop: Header=BB4_7553 Depth=3
	s_or_b32 exec_lo, exec_lo, s13
	v_lshrrev_b32_e32 v163, 21, v163
	s_delay_alu instid0(VALU_DEP_2) | instskip(SKIP_2) | instid1(VALU_DEP_2)
	v_cmp_gt_i32_e32 vcc_lo, 32, v10
	v_lshrrev_b32_e32 v144, 24, v144
	v_min_i32_e32 v167, 31, v10
	v_dual_cndmask_b32 v163, 3, v163 :: v_dual_and_b32 v144, 0x80, v144
	s_delay_alu instid0(VALU_DEP_2) | instskip(NEXT) | instid1(VALU_DEP_2)
	v_lshlrev_b32_e32 v167, 2, v167
	v_or_b32_e32 v10, v10, v163
	s_delay_alu instid0(VALU_DEP_1) | instskip(SKIP_1) | instid1(VALU_DEP_1)
	v_cmp_ne_u32_e32 vcc_lo, 0, v10
	v_and_b32_e32 v181, 3, v163
	v_or3_b32 v144, v167, v144, v181
	s_delay_alu instid0(VALU_DEP_1)
	v_cndmask_b32_e32 v10, 0, v144, vcc_lo
.LBB4_8393:                             ;   in Loop: Header=BB4_7553 Depth=3
	s_or_b32 exec_lo, exec_lo, s30
.LBB4_8394:                             ;   in Loop: Header=BB4_7553 Depth=3
	s_delay_alu instid0(SALU_CYCLE_1) | instskip(SKIP_3) | instid1(VALU_DEP_1)
	s_or_b32 exec_lo, exec_lo, s17
	v_or_b32_e32 v149, v149, v135
	s_mov_b32 s13, 0
	s_mov_b32 s30, exec_lo
                                        ; implicit-def: $sgpr17
	v_and_b32_e32 v144, 0xff, v149
	s_delay_alu instid0(VALU_DEP_1)
	v_cmpx_lt_i16_e64 0x7f, v144
	s_xor_b32 s30, exec_lo, s30
	s_cbranch_execnz .LBB4_8808
; %bb.8395:                             ;   in Loop: Header=BB4_7553 Depth=3
	s_or_saveexec_b32 s30, s30
	v_mov_b32_e32 v135, s17
	s_xor_b32 exec_lo, exec_lo, s30
	s_cbranch_execnz .LBB4_8811
.LBB4_8396:                             ;   in Loop: Header=BB4_7553 Depth=3
	s_or_b32 exec_lo, exec_lo, s30
	s_and_saveexec_b32 s17, s13
	s_cbranch_execz .LBB4_8398
.LBB4_8397:                             ;   in Loop: Header=BB4_7553 Depth=3
	v_bfe_u32 v167, v149, 2, 5
	v_lshlrev_b32_e32 v181, 24, v149
	s_delay_alu instid0(VALU_DEP_2) | instskip(SKIP_1) | instid1(VALU_DEP_1)
	v_cmp_eq_u32_e32 vcc_lo, 0, v167
	v_and_b32_e32 v135, 3, v149
	v_clz_i32_u32_e32 v144, v135
	s_delay_alu instid0(VALU_DEP_1) | instskip(NEXT) | instid1(VALU_DEP_1)
	v_min_u32_e32 v144, 32, v144
	v_subrev_nc_u32_e32 v163, 29, v144
	v_sub_nc_u32_e32 v144, 30, v144
	s_delay_alu instid0(VALU_DEP_2) | instskip(NEXT) | instid1(VALU_DEP_1)
	v_lshlrev_b32_e32 v163, v163, v149
	v_dual_cndmask_b32 v144, v167, v144 :: v_dual_and_b32 v163, 3, v163
	s_delay_alu instid0(VALU_DEP_1) | instskip(NEXT) | instid1(VALU_DEP_2)
	v_lshl_add_u32 v144, v144, 23, 0x37800000
	v_cndmask_b32_e32 v135, v135, v163, vcc_lo
	v_and_b32_e32 v163, 0x80000000, v181
	s_delay_alu instid0(VALU_DEP_2) | instskip(NEXT) | instid1(VALU_DEP_1)
	v_lshlrev_b32_e32 v135, 21, v135
	v_or3_b32 v135, v163, v144, v135
.LBB4_8398:                             ;   in Loop: Header=BB4_7553 Depth=3
	s_or_b32 exec_lo, exec_lo, s17
	v_and_b32_e32 v163, 0xff, v11
	s_mov_b32 s13, 0
	s_mov_b32 s30, exec_lo
                                        ; implicit-def: $sgpr17
	s_delay_alu instid0(VALU_DEP_1)
	v_cmpx_lt_i16_e64 0x7f, v163
	s_xor_b32 s30, exec_lo, s30
	s_cbranch_execnz .LBB4_8812
; %bb.8399:                             ;   in Loop: Header=BB4_7553 Depth=3
	s_or_saveexec_b32 s30, s30
	v_mov_b32_e32 v144, s17
	s_xor_b32 exec_lo, exec_lo, s30
	s_cbranch_execnz .LBB4_8815
.LBB4_8400:                             ;   in Loop: Header=BB4_7553 Depth=3
	s_or_b32 exec_lo, exec_lo, s30
	s_and_saveexec_b32 s17, s13
	s_cbranch_execz .LBB4_8402
.LBB4_8401:                             ;   in Loop: Header=BB4_7553 Depth=3
	v_and_b32_e32 v144, 3, v11
	v_bfe_u32 v181, v11, 2, 5
	v_lshlrev_b32_e32 v41, 24, v11
	s_delay_alu instid0(VALU_DEP_3) | instskip(NEXT) | instid1(VALU_DEP_3)
	v_clz_i32_u32_e32 v163, v144
	v_cmp_eq_u32_e32 vcc_lo, 0, v181
	s_delay_alu instid0(VALU_DEP_2) | instskip(NEXT) | instid1(VALU_DEP_1)
	v_min_u32_e32 v163, 32, v163
	v_subrev_nc_u32_e32 v167, 29, v163
	v_sub_nc_u32_e32 v163, 30, v163
	s_delay_alu instid0(VALU_DEP_2) | instskip(NEXT) | instid1(VALU_DEP_1)
	v_lshlrev_b32_e32 v167, v167, v11
	v_and_b32_e32 v167, 3, v167
	s_delay_alu instid0(VALU_DEP_1) | instskip(NEXT) | instid1(VALU_DEP_1)
	v_dual_cndmask_b32 v144, v144, v167 :: v_dual_and_b32 v167, 0x80000000, v41
	v_dual_cndmask_b32 v163, v181, v163 :: v_dual_lshlrev_b32 v144, 21, v144
	s_delay_alu instid0(VALU_DEP_1) | instskip(NEXT) | instid1(VALU_DEP_1)
	v_lshl_add_u32 v163, v163, 23, 0x37800000
	v_or3_b32 v144, v167, v163, v144
.LBB4_8402:                             ;   in Loop: Header=BB4_7553 Depth=3
	s_or_b32 exec_lo, exec_lo, s17
	s_delay_alu instid0(VALU_DEP_1) | instskip(NEXT) | instid1(VALU_DEP_1)
	v_add_f32_e32 v144, v135, v144
	v_and_b32_e32 v135, 0x7f800000, v144
	s_delay_alu instid0(VALU_DEP_1)
	v_cmp_ne_u32_e32 vcc_lo, 0x7f800000, v135
	v_mov_b32_e32 v135, 0x80
	s_and_saveexec_b32 s17, vcc_lo
	s_cbranch_execz .LBB4_8410
; %bb.8403:                             ;   in Loop: Header=BB4_7553 Depth=3
	v_mov_b32_e32 v135, 0
	s_mov_b32 s30, exec_lo
	v_cmpx_ne_u32_e32 0, v144
	s_cbranch_execz .LBB4_8409
; %bb.8404:                             ;   in Loop: Header=BB4_7553 Depth=3
	v_bfe_u32 v135, v144, 23, 8
	v_and_b32_e32 v163, 0x7fffff, v144
	s_delay_alu instid0(VALU_DEP_2) | instskip(SKIP_1) | instid1(VALU_DEP_3)
	v_sub_nc_u32_e32 v167, 0x70, v135
	v_cmp_gt_u32_e32 vcc_lo, 0x71, v135
	v_or_b32_e32 v181, 0x800000, v163
	s_delay_alu instid0(VALU_DEP_3) | instskip(SKIP_2) | instid1(VALU_DEP_3)
	v_cndmask_b32_e32 v167, 0, v167, vcc_lo
	v_cmp_eq_u32_e32 vcc_lo, 0, v135
	v_add_nc_u32_e32 v135, 0xffffff91, v135
	v_cndmask_b32_e64 v167, v167, 0x6f, vcc_lo
	v_cndmask_b32_e32 v163, v181, v163, vcc_lo
	s_delay_alu instid0(VALU_DEP_3) | instskip(NEXT) | instid1(VALU_DEP_3)
	v_cndmask_b32_e64 v135, v135, 0xffffff92, vcc_lo
	v_lshl_add_u32 v181, 0x200000, v167, -1
	s_delay_alu instid0(VALU_DEP_3) | instskip(SKIP_1) | instid1(VALU_DEP_4)
	v_lshrrev_b32_e32 v41, v167, v163
	v_lshlrev_b32_e64 v44, v167, 0x100000
	v_add_nc_u32_e32 v167, v167, v135
	s_delay_alu instid0(VALU_DEP_4) | instskip(NEXT) | instid1(VALU_DEP_4)
	v_and_b32_e32 v163, v181, v163
	v_bfe_u32 v43, v41, 21, 1
	s_delay_alu instid0(VALU_DEP_2) | instskip(NEXT) | instid1(VALU_DEP_2)
	v_cmp_eq_u32_e64 s13, v163, v44
	v_add_nc_u32_e32 v181, -1, v43
	s_delay_alu instid0(VALU_DEP_1) | instskip(SKIP_2) | instid1(VALU_DEP_2)
	v_cndmask_b32_e64 v163, 0, v181, s13
	v_lshrrev_b32_e32 v181, 23, v41
	s_mov_b32 s13, exec_lo
	v_add_nc_u32_e32 v163, v163, v41
	s_delay_alu instid0(VALU_DEP_2) | instskip(NEXT) | instid1(VALU_DEP_2)
	v_xor_b32_e32 v181, 1, v181
	v_and_b32_e32 v135, 0x1fffff, v163
	s_delay_alu instid0(VALU_DEP_1) | instskip(NEXT) | instid1(VALU_DEP_3)
	v_add_nc_u32_e32 v163, v135, v41
                                        ; implicit-def: $vgpr135
	v_cmpx_ne_u32_e64 v167, v181
	s_xor_b32 s13, exec_lo, s13
; %bb.8405:                             ;   in Loop: Header=BB4_7553 Depth=3
	s_delay_alu instid0(VALU_DEP_2) | instskip(SKIP_2) | instid1(VALU_DEP_2)
	v_cmp_lt_u32_e32 vcc_lo, 0xffffff, v163
	v_sub_nc_u32_e32 v135, v167, v181
	v_cndmask_b32_e64 v167, 0, 1, vcc_lo
	v_add_co_ci_u32_e32 v135, vcc_lo, 0, v135, vcc_lo
	s_delay_alu instid0(VALU_DEP_2)
	v_lshrrev_b32_e32 v163, v167, v163
; %bb.8406:                             ;   in Loop: Header=BB4_7553 Depth=3
	s_and_not1_saveexec_b32 s13, s13
; %bb.8407:                             ;   in Loop: Header=BB4_7553 Depth=3
	s_delay_alu instid0(VALU_DEP_1)
	v_bfe_u32 v135, v163, 23, 1
; %bb.8408:                             ;   in Loop: Header=BB4_7553 Depth=3
	s_or_b32 exec_lo, exec_lo, s13
	v_lshrrev_b32_e32 v163, 21, v163
	s_delay_alu instid0(VALU_DEP_2) | instskip(SKIP_2) | instid1(VALU_DEP_2)
	v_cmp_gt_i32_e32 vcc_lo, 32, v135
	v_lshrrev_b32_e32 v144, 24, v144
	v_min_i32_e32 v167, 31, v135
	v_dual_cndmask_b32 v163, 3, v163 :: v_dual_and_b32 v144, 0x80, v144
	s_delay_alu instid0(VALU_DEP_2) | instskip(NEXT) | instid1(VALU_DEP_2)
	v_lshlrev_b32_e32 v167, 2, v167
	v_and_b32_e32 v181, 3, v163
	v_or_b32_e32 v135, v135, v163
	s_delay_alu instid0(VALU_DEP_2) | instskip(NEXT) | instid1(VALU_DEP_2)
	v_or3_b32 v144, v167, v144, v181
	v_cmp_ne_u32_e32 vcc_lo, 0, v135
	s_delay_alu instid0(VALU_DEP_2)
	v_cndmask_b32_e32 v135, 0, v144, vcc_lo
.LBB4_8409:                             ;   in Loop: Header=BB4_7553 Depth=3
	s_or_b32 exec_lo, exec_lo, s30
.LBB4_8410:                             ;   in Loop: Header=BB4_7553 Depth=3
	s_delay_alu instid0(SALU_CYCLE_1) | instskip(SKIP_3) | instid1(VALU_DEP_1)
	s_or_b32 exec_lo, exec_lo, s17
	v_lshrrev_b16 v163, 8, v149
	s_mov_b32 s13, 0
	s_mov_b32 s30, exec_lo
                                        ; implicit-def: $sgpr17
	v_cmpx_lt_i16_e64 0x7f, v163
	s_xor_b32 s30, exec_lo, s30
	s_cbranch_execnz .LBB4_8816
; %bb.8411:                             ;   in Loop: Header=BB4_7553 Depth=3
	s_or_saveexec_b32 s30, s30
	v_mov_b32_e32 v144, s17
	s_xor_b32 exec_lo, exec_lo, s30
	s_cbranch_execnz .LBB4_8819
.LBB4_8412:                             ;   in Loop: Header=BB4_7553 Depth=3
	s_or_b32 exec_lo, exec_lo, s30
	s_and_saveexec_b32 s17, s13
	s_cbranch_execz .LBB4_8414
.LBB4_8413:                             ;   in Loop: Header=BB4_7553 Depth=3
	v_and_b32_e32 v144, 0xffff, v163
	v_lshlrev_b32_e32 v163, 24, v163
	s_delay_alu instid0(VALU_DEP_2) | instskip(NEXT) | instid1(VALU_DEP_2)
	v_and_b32_e32 v167, 3, v144
	v_and_b32_e32 v163, 0x80000000, v163
	s_delay_alu instid0(VALU_DEP_2) | instskip(NEXT) | instid1(VALU_DEP_1)
	v_clz_i32_u32_e32 v181, v167
	v_min_u32_e32 v181, 32, v181
	s_delay_alu instid0(VALU_DEP_1) | instskip(SKIP_1) | instid1(VALU_DEP_2)
	v_subrev_nc_u32_e32 v41, 29, v181
	v_sub_nc_u32_e32 v181, 30, v181
	v_lshlrev_b32_e32 v41, v41, v144
	v_bfe_u32 v144, v144, 2, 5
	s_delay_alu instid0(VALU_DEP_2) | instskip(NEXT) | instid1(VALU_DEP_2)
	v_and_b32_e32 v41, 3, v41
	v_cmp_eq_u32_e32 vcc_lo, 0, v144
	v_cndmask_b32_e32 v144, v144, v181, vcc_lo
	s_delay_alu instid0(VALU_DEP_3) | instskip(NEXT) | instid1(VALU_DEP_2)
	v_cndmask_b32_e32 v167, v167, v41, vcc_lo
	v_lshl_add_u32 v144, v144, 23, 0x37800000
	s_delay_alu instid0(VALU_DEP_2) | instskip(NEXT) | instid1(VALU_DEP_1)
	v_lshlrev_b32_e32 v167, 21, v167
	v_or3_b32 v144, v163, v144, v167
.LBB4_8414:                             ;   in Loop: Header=BB4_7553 Depth=3
	s_or_b32 exec_lo, exec_lo, s17
	v_lshrrev_b16 v163, 8, v11
	s_mov_b32 s13, 0
	s_mov_b32 s30, exec_lo
                                        ; implicit-def: $sgpr17
	s_delay_alu instid0(VALU_DEP_1)
	v_cmpx_lt_i16_e64 0x7f, v163
	s_xor_b32 s30, exec_lo, s30
	s_cbranch_execnz .LBB4_8820
; %bb.8415:                             ;   in Loop: Header=BB4_7553 Depth=3
	s_or_saveexec_b32 s30, s30
	v_mov_b32_e32 v167, s17
	s_xor_b32 exec_lo, exec_lo, s30
	s_cbranch_execnz .LBB4_8823
.LBB4_8416:                             ;   in Loop: Header=BB4_7553 Depth=3
	s_or_b32 exec_lo, exec_lo, s30
	s_and_saveexec_b32 s17, s13
	s_cbranch_execz .LBB4_8418
.LBB4_8417:                             ;   in Loop: Header=BB4_7553 Depth=3
	v_and_b32_e32 v167, 0xffff, v163
	v_lshlrev_b32_e32 v163, 24, v163
	s_delay_alu instid0(VALU_DEP_2) | instskip(NEXT) | instid1(VALU_DEP_2)
	v_and_b32_e32 v181, 3, v167
	v_and_b32_e32 v163, 0x80000000, v163
	s_delay_alu instid0(VALU_DEP_2) | instskip(NEXT) | instid1(VALU_DEP_1)
	v_clz_i32_u32_e32 v41, v181
	v_min_u32_e32 v41, 32, v41
	s_delay_alu instid0(VALU_DEP_1) | instskip(SKIP_1) | instid1(VALU_DEP_2)
	v_subrev_nc_u32_e32 v43, 29, v41
	v_sub_nc_u32_e32 v41, 30, v41
	v_lshlrev_b32_e32 v43, v43, v167
	v_bfe_u32 v167, v167, 2, 5
	s_delay_alu instid0(VALU_DEP_2) | instskip(NEXT) | instid1(VALU_DEP_2)
	v_and_b32_e32 v43, 3, v43
	v_cmp_eq_u32_e32 vcc_lo, 0, v167
	v_cndmask_b32_e32 v167, v167, v41, vcc_lo
	s_delay_alu instid0(VALU_DEP_3) | instskip(NEXT) | instid1(VALU_DEP_2)
	v_cndmask_b32_e32 v181, v181, v43, vcc_lo
	v_lshl_add_u32 v167, v167, 23, 0x37800000
	s_delay_alu instid0(VALU_DEP_2) | instskip(NEXT) | instid1(VALU_DEP_1)
	v_lshlrev_b32_e32 v181, 21, v181
	v_or3_b32 v167, v163, v167, v181
.LBB4_8418:                             ;   in Loop: Header=BB4_7553 Depth=3
	s_or_b32 exec_lo, exec_lo, s17
	s_delay_alu instid0(VALU_DEP_1) | instskip(NEXT) | instid1(VALU_DEP_1)
	v_add_f32_e32 v163, v144, v167
	v_and_b32_e32 v144, 0x7f800000, v163
	s_delay_alu instid0(VALU_DEP_1)
	v_cmp_ne_u32_e32 vcc_lo, 0x7f800000, v144
	v_mov_b32_e32 v144, 0x8000
	s_and_saveexec_b32 s17, vcc_lo
	s_cbranch_execz .LBB4_8426
; %bb.8419:                             ;   in Loop: Header=BB4_7553 Depth=3
	v_mov_b32_e32 v144, 0
	s_mov_b32 s30, exec_lo
	v_cmpx_ne_u32_e32 0, v163
	s_cbranch_execz .LBB4_8425
; %bb.8420:                             ;   in Loop: Header=BB4_7553 Depth=3
	v_bfe_u32 v144, v163, 23, 8
	v_and_b32_e32 v167, 0x7fffff, v163
	s_delay_alu instid0(VALU_DEP_2) | instskip(SKIP_1) | instid1(VALU_DEP_3)
	v_sub_nc_u32_e32 v181, 0x70, v144
	v_cmp_gt_u32_e32 vcc_lo, 0x71, v144
	v_or_b32_e32 v41, 0x800000, v167
	s_delay_alu instid0(VALU_DEP_3) | instskip(SKIP_2) | instid1(VALU_DEP_3)
	v_cndmask_b32_e32 v181, 0, v181, vcc_lo
	v_cmp_eq_u32_e32 vcc_lo, 0, v144
	v_add_nc_u32_e32 v144, 0xffffff91, v144
	v_cndmask_b32_e64 v181, v181, 0x6f, vcc_lo
	v_cndmask_b32_e32 v167, v41, v167, vcc_lo
	s_delay_alu instid0(VALU_DEP_3) | instskip(NEXT) | instid1(VALU_DEP_3)
	v_cndmask_b32_e64 v144, v144, 0xffffff92, vcc_lo
	v_lshl_add_u32 v41, 0x200000, v181, -1
	s_delay_alu instid0(VALU_DEP_3) | instskip(SKIP_1) | instid1(VALU_DEP_4)
	v_lshrrev_b32_e32 v43, v181, v167
	v_lshlrev_b32_e64 v45, v181, 0x100000
	v_add_nc_u32_e32 v181, v181, v144
	s_delay_alu instid0(VALU_DEP_4) | instskip(NEXT) | instid1(VALU_DEP_4)
	v_and_b32_e32 v167, v41, v167
	v_bfe_u32 v44, v43, 21, 1
	s_delay_alu instid0(VALU_DEP_2) | instskip(NEXT) | instid1(VALU_DEP_2)
	v_cmp_eq_u32_e64 s13, v167, v45
	v_add_nc_u32_e32 v41, -1, v44
	s_delay_alu instid0(VALU_DEP_1) | instskip(SKIP_2) | instid1(VALU_DEP_2)
	v_cndmask_b32_e64 v167, 0, v41, s13
	v_lshrrev_b32_e32 v41, 23, v43
	s_mov_b32 s13, exec_lo
	v_add_nc_u32_e32 v167, v167, v43
	s_delay_alu instid0(VALU_DEP_2) | instskip(NEXT) | instid1(VALU_DEP_2)
	v_xor_b32_e32 v41, 1, v41
	v_and_b32_e32 v144, 0x1fffff, v167
	s_delay_alu instid0(VALU_DEP_1) | instskip(NEXT) | instid1(VALU_DEP_3)
	v_add_nc_u32_e32 v167, v144, v43
                                        ; implicit-def: $vgpr144
	v_cmpx_ne_u32_e64 v181, v41
	s_xor_b32 s13, exec_lo, s13
; %bb.8421:                             ;   in Loop: Header=BB4_7553 Depth=3
	s_delay_alu instid0(VALU_DEP_2) | instskip(SKIP_2) | instid1(VALU_DEP_2)
	v_cmp_lt_u32_e32 vcc_lo, 0xffffff, v167
	v_sub_nc_u32_e32 v144, v181, v41
	v_cndmask_b32_e64 v181, 0, 1, vcc_lo
	v_add_co_ci_u32_e32 v144, vcc_lo, 0, v144, vcc_lo
	s_delay_alu instid0(VALU_DEP_2)
	v_lshrrev_b32_e32 v167, v181, v167
; %bb.8422:                             ;   in Loop: Header=BB4_7553 Depth=3
	s_and_not1_saveexec_b32 s13, s13
; %bb.8423:                             ;   in Loop: Header=BB4_7553 Depth=3
	s_delay_alu instid0(VALU_DEP_1)
	v_bfe_u32 v144, v167, 23, 1
; %bb.8424:                             ;   in Loop: Header=BB4_7553 Depth=3
	s_or_b32 exec_lo, exec_lo, s13
	v_lshrrev_b32_e32 v167, 21, v167
	s_delay_alu instid0(VALU_DEP_2) | instskip(SKIP_2) | instid1(VALU_DEP_4)
	v_cmp_gt_i32_e32 vcc_lo, 32, v144
	v_min_i32_e32 v181, 31, v144
	v_lshrrev_b32_e32 v163, 24, v163
	v_cndmask_b32_e32 v167, 3, v167, vcc_lo
	s_delay_alu instid0(VALU_DEP_2) | instskip(NEXT) | instid1(VALU_DEP_2)
	v_and_b32_e32 v163, 0x80, v163
	v_or_b32_e32 v144, v144, v167
	v_and_b32_e32 v41, 3, v167
	s_delay_alu instid0(VALU_DEP_2) | instskip(SKIP_1) | instid1(VALU_DEP_1)
	v_cmp_ne_u32_e32 vcc_lo, 0, v144
	v_lshlrev_b32_e32 v181, 2, v181
	v_and_b32_e32 v181, 0xfc, v181
	s_delay_alu instid0(VALU_DEP_1) | instskip(NEXT) | instid1(VALU_DEP_1)
	v_or3_b32 v163, v163, v181, v41
	v_lshlrev_b32_e32 v163, 8, v163
	s_delay_alu instid0(VALU_DEP_1)
	v_cndmask_b32_e32 v144, 0, v163, vcc_lo
.LBB4_8425:                             ;   in Loop: Header=BB4_7553 Depth=3
	s_or_b32 exec_lo, exec_lo, s30
.LBB4_8426:                             ;   in Loop: Header=BB4_7553 Depth=3
	s_delay_alu instid0(SALU_CYCLE_1) | instskip(SKIP_3) | instid1(VALU_DEP_1)
	s_or_b32 exec_lo, exec_lo, s17
	v_or_b32_e32 v146, v146, v134
	s_mov_b32 s13, 0
	s_mov_b32 s30, exec_lo
                                        ; implicit-def: $sgpr17
	v_and_b32_e32 v163, 0xff, v146
	s_delay_alu instid0(VALU_DEP_1)
	v_cmpx_lt_i16_e64 0x7f, v163
	s_xor_b32 s30, exec_lo, s30
	s_cbranch_execnz .LBB4_8824
; %bb.8427:                             ;   in Loop: Header=BB4_7553 Depth=3
	s_or_saveexec_b32 s30, s30
	v_mov_b32_e32 v134, s17
	s_xor_b32 exec_lo, exec_lo, s30
	s_cbranch_execnz .LBB4_8827
.LBB4_8428:                             ;   in Loop: Header=BB4_7553 Depth=3
	s_or_b32 exec_lo, exec_lo, s30
	v_lshl_or_b32 v146, v146, 16, v149
	s_and_saveexec_b32 s17, s13
	s_cbranch_execz .LBB4_8430
.LBB4_8429:                             ;   in Loop: Header=BB4_7553 Depth=3
	s_delay_alu instid0(VALU_DEP_1) | instskip(SKIP_1) | instid1(VALU_DEP_2)
	v_bfe_u32 v134, v146, 16, 2
	v_lshrrev_b32_e32 v163, 16, v146
	v_clz_i32_u32_e32 v149, v134
	s_delay_alu instid0(VALU_DEP_1) | instskip(NEXT) | instid1(VALU_DEP_1)
	v_min_u32_e32 v149, 32, v149
	v_subrev_nc_u32_e32 v167, 29, v149
	v_sub_nc_u32_e32 v149, 30, v149
	s_delay_alu instid0(VALU_DEP_2) | instskip(SKIP_1) | instid1(VALU_DEP_2)
	v_lshlrev_b32_e32 v163, v167, v163
	v_bfe_u32 v167, v146, 18, 5
	v_and_b32_e32 v163, 3, v163
	s_delay_alu instid0(VALU_DEP_2) | instskip(NEXT) | instid1(VALU_DEP_2)
	v_cmp_eq_u32_e32 vcc_lo, 0, v167
	v_dual_cndmask_b32 v134, v134, v163 :: v_dual_lshlrev_b32 v181, 8, v146
	v_cndmask_b32_e32 v149, v167, v149, vcc_lo
	s_delay_alu instid0(VALU_DEP_2) | instskip(NEXT) | instid1(VALU_DEP_3)
	v_and_b32_e32 v163, 0x80000000, v181
	v_lshlrev_b32_e32 v134, 21, v134
	s_delay_alu instid0(VALU_DEP_3) | instskip(NEXT) | instid1(VALU_DEP_1)
	v_lshl_add_u32 v149, v149, 23, 0x37800000
	v_or3_b32 v134, v163, v149, v134
.LBB4_8430:                             ;   in Loop: Header=BB4_7553 Depth=3
	s_or_b32 exec_lo, exec_lo, s17
	v_lshrrev_b32_e32 v149, 16, v11
	s_mov_b32 s13, 0
	s_mov_b32 s30, exec_lo
                                        ; implicit-def: $sgpr17
	s_delay_alu instid0(VALU_DEP_1) | instskip(NEXT) | instid1(VALU_DEP_1)
	v_and_b32_e32 v167, 0xff, v149
	v_cmpx_lt_i16_e64 0x7f, v167
	s_xor_b32 s30, exec_lo, s30
	s_cbranch_execnz .LBB4_8828
; %bb.8431:                             ;   in Loop: Header=BB4_7553 Depth=3
	s_or_saveexec_b32 s30, s30
	v_mov_b32_e32 v163, s17
	s_xor_b32 exec_lo, exec_lo, s30
	s_cbranch_execnz .LBB4_8831
.LBB4_8432:                             ;   in Loop: Header=BB4_7553 Depth=3
	s_or_b32 exec_lo, exec_lo, s30
	s_and_saveexec_b32 s17, s13
	s_cbranch_execz .LBB4_8434
.LBB4_8433:                             ;   in Loop: Header=BB4_7553 Depth=3
	v_bfe_u32 v163, v11, 16, 2
	v_lshlrev_b32_e32 v41, 8, v11
	s_delay_alu instid0(VALU_DEP_2) | instskip(NEXT) | instid1(VALU_DEP_1)
	v_clz_i32_u32_e32 v167, v163
	v_min_u32_e32 v167, 32, v167
	s_delay_alu instid0(VALU_DEP_1) | instskip(SKIP_1) | instid1(VALU_DEP_2)
	v_subrev_nc_u32_e32 v181, 29, v167
	v_sub_nc_u32_e32 v167, 30, v167
	v_lshlrev_b32_e32 v149, v181, v149
	v_bfe_u32 v181, v11, 18, 5
	s_delay_alu instid0(VALU_DEP_2) | instskip(NEXT) | instid1(VALU_DEP_2)
	v_and_b32_e32 v149, 3, v149
	v_cmp_eq_u32_e32 vcc_lo, 0, v181
	v_cndmask_b32_e32 v167, v181, v167, vcc_lo
	s_delay_alu instid0(VALU_DEP_3) | instskip(SKIP_1) | instid1(VALU_DEP_3)
	v_cndmask_b32_e32 v149, v163, v149, vcc_lo
	v_and_b32_e32 v163, 0x80000000, v41
	v_lshl_add_u32 v167, v167, 23, 0x37800000
	s_delay_alu instid0(VALU_DEP_3) | instskip(NEXT) | instid1(VALU_DEP_1)
	v_lshlrev_b32_e32 v149, 21, v149
	v_or3_b32 v163, v163, v167, v149
.LBB4_8434:                             ;   in Loop: Header=BB4_7553 Depth=3
	s_or_b32 exec_lo, exec_lo, s17
	s_delay_alu instid0(VALU_DEP_1) | instskip(NEXT) | instid1(VALU_DEP_1)
	v_add_f32_e32 v149, v134, v163
	v_and_b32_e32 v134, 0x7f800000, v149
	s_delay_alu instid0(VALU_DEP_1)
	v_cmp_ne_u32_e32 vcc_lo, 0x7f800000, v134
	v_mov_b32_e32 v134, 0x80
	s_and_saveexec_b32 s17, vcc_lo
	s_cbranch_execz .LBB4_8442
; %bb.8435:                             ;   in Loop: Header=BB4_7553 Depth=3
	v_mov_b32_e32 v134, 0
	s_mov_b32 s30, exec_lo
	v_cmpx_ne_u32_e32 0, v149
	s_cbranch_execz .LBB4_8441
; %bb.8436:                             ;   in Loop: Header=BB4_7553 Depth=3
	v_bfe_u32 v134, v149, 23, 8
	v_and_b32_e32 v163, 0x7fffff, v149
	s_delay_alu instid0(VALU_DEP_2) | instskip(SKIP_1) | instid1(VALU_DEP_3)
	v_sub_nc_u32_e32 v167, 0x70, v134
	v_cmp_gt_u32_e32 vcc_lo, 0x71, v134
	v_or_b32_e32 v181, 0x800000, v163
	s_delay_alu instid0(VALU_DEP_3) | instskip(SKIP_2) | instid1(VALU_DEP_3)
	v_cndmask_b32_e32 v167, 0, v167, vcc_lo
	v_cmp_eq_u32_e32 vcc_lo, 0, v134
	v_add_nc_u32_e32 v134, 0xffffff91, v134
	v_cndmask_b32_e64 v167, v167, 0x6f, vcc_lo
	v_cndmask_b32_e32 v163, v181, v163, vcc_lo
	s_delay_alu instid0(VALU_DEP_3) | instskip(NEXT) | instid1(VALU_DEP_3)
	v_cndmask_b32_e64 v134, v134, 0xffffff92, vcc_lo
	v_lshl_add_u32 v181, 0x200000, v167, -1
	s_delay_alu instid0(VALU_DEP_3) | instskip(SKIP_1) | instid1(VALU_DEP_4)
	v_lshrrev_b32_e32 v41, v167, v163
	v_lshlrev_b32_e64 v44, v167, 0x100000
	v_add_nc_u32_e32 v167, v167, v134
	s_delay_alu instid0(VALU_DEP_4) | instskip(NEXT) | instid1(VALU_DEP_4)
	v_and_b32_e32 v163, v181, v163
	v_bfe_u32 v43, v41, 21, 1
	s_delay_alu instid0(VALU_DEP_2) | instskip(NEXT) | instid1(VALU_DEP_2)
	v_cmp_eq_u32_e64 s13, v163, v44
	v_add_nc_u32_e32 v181, -1, v43
	s_delay_alu instid0(VALU_DEP_1) | instskip(SKIP_2) | instid1(VALU_DEP_2)
	v_cndmask_b32_e64 v163, 0, v181, s13
	v_lshrrev_b32_e32 v181, 23, v41
	s_mov_b32 s13, exec_lo
	v_add_nc_u32_e32 v163, v163, v41
	s_delay_alu instid0(VALU_DEP_2) | instskip(NEXT) | instid1(VALU_DEP_2)
	v_xor_b32_e32 v181, 1, v181
	v_and_b32_e32 v134, 0x1fffff, v163
	s_delay_alu instid0(VALU_DEP_1) | instskip(NEXT) | instid1(VALU_DEP_3)
	v_add_nc_u32_e32 v163, v134, v41
                                        ; implicit-def: $vgpr134
	v_cmpx_ne_u32_e64 v167, v181
	s_xor_b32 s13, exec_lo, s13
; %bb.8437:                             ;   in Loop: Header=BB4_7553 Depth=3
	s_delay_alu instid0(VALU_DEP_2) | instskip(SKIP_2) | instid1(VALU_DEP_2)
	v_cmp_lt_u32_e32 vcc_lo, 0xffffff, v163
	v_sub_nc_u32_e32 v134, v167, v181
	v_cndmask_b32_e64 v167, 0, 1, vcc_lo
	v_add_co_ci_u32_e32 v134, vcc_lo, 0, v134, vcc_lo
	s_delay_alu instid0(VALU_DEP_2)
	v_lshrrev_b32_e32 v163, v167, v163
; %bb.8438:                             ;   in Loop: Header=BB4_7553 Depth=3
	s_and_not1_saveexec_b32 s13, s13
; %bb.8439:                             ;   in Loop: Header=BB4_7553 Depth=3
	s_delay_alu instid0(VALU_DEP_1)
	v_bfe_u32 v134, v163, 23, 1
; %bb.8440:                             ;   in Loop: Header=BB4_7553 Depth=3
	s_or_b32 exec_lo, exec_lo, s13
	v_lshrrev_b32_e32 v163, 21, v163
	s_delay_alu instid0(VALU_DEP_2) | instskip(SKIP_2) | instid1(VALU_DEP_3)
	v_min_i32_e32 v167, 31, v134
	v_cmp_gt_i32_e32 vcc_lo, 32, v134
	v_lshrrev_b32_e32 v149, 24, v149
	v_lshlrev_b32_e32 v167, 2, v167
	v_cndmask_b32_e32 v163, 3, v163, vcc_lo
	s_delay_alu instid0(VALU_DEP_3) | instskip(NEXT) | instid1(VALU_DEP_3)
	v_and_b32_e32 v149, 0x80, v149
	v_and_b32_e32 v167, 0xfc, v167
	s_delay_alu instid0(VALU_DEP_3) | instskip(SKIP_1) | instid1(VALU_DEP_2)
	v_and_b32_e32 v181, 3, v163
	v_or_b32_e32 v134, v134, v163
	v_or3_b32 v149, v167, v149, v181
	s_delay_alu instid0(VALU_DEP_2) | instskip(NEXT) | instid1(VALU_DEP_2)
	v_cmp_ne_u32_e32 vcc_lo, 0, v134
	v_cndmask_b32_e32 v134, 0, v149, vcc_lo
.LBB4_8441:                             ;   in Loop: Header=BB4_7553 Depth=3
	s_or_b32 exec_lo, exec_lo, s30
.LBB4_8442:                             ;   in Loop: Header=BB4_7553 Depth=3
	s_delay_alu instid0(SALU_CYCLE_1) | instskip(SKIP_3) | instid1(VALU_DEP_1)
	s_or_b32 exec_lo, exec_lo, s17
	v_lshrrev_b32_e32 v163, 24, v146
	s_mov_b32 s13, 0
	s_mov_b32 s30, exec_lo
                                        ; implicit-def: $sgpr17
	v_cmpx_lt_i16_e64 0x7f, v163
	s_xor_b32 s30, exec_lo, s30
	s_cbranch_execnz .LBB4_8832
; %bb.8443:                             ;   in Loop: Header=BB4_7553 Depth=3
	s_or_saveexec_b32 s30, s30
	v_mov_b32_e32 v149, s17
	s_xor_b32 exec_lo, exec_lo, s30
	s_cbranch_execnz .LBB4_8835
.LBB4_8444:                             ;   in Loop: Header=BB4_7553 Depth=3
	s_or_b32 exec_lo, exec_lo, s30
	s_and_saveexec_b32 s17, s13
	s_cbranch_execz .LBB4_8446
.LBB4_8445:                             ;   in Loop: Header=BB4_7553 Depth=3
	v_bfe_u32 v149, v146, 24, 2
	s_delay_alu instid0(VALU_DEP_1) | instskip(NEXT) | instid1(VALU_DEP_1)
	v_clz_i32_u32_e32 v167, v149
	v_min_u32_e32 v167, 32, v167
	s_delay_alu instid0(VALU_DEP_1) | instskip(SKIP_1) | instid1(VALU_DEP_2)
	v_subrev_nc_u32_e32 v181, 29, v167
	v_sub_nc_u32_e32 v167, 30, v167
	v_lshlrev_b32_e32 v163, v181, v163
	v_bfe_u32 v181, v146, 26, 5
	v_and_b32_e32 v146, 0x80000000, v146
	s_delay_alu instid0(VALU_DEP_3) | instskip(NEXT) | instid1(VALU_DEP_3)
	v_and_b32_e32 v163, 3, v163
	v_cmp_eq_u32_e32 vcc_lo, 0, v181
	v_cndmask_b32_e32 v167, v181, v167, vcc_lo
	s_delay_alu instid0(VALU_DEP_3) | instskip(NEXT) | instid1(VALU_DEP_2)
	v_cndmask_b32_e32 v149, v149, v163, vcc_lo
	v_lshl_add_u32 v163, v167, 23, 0x37800000
	s_delay_alu instid0(VALU_DEP_2) | instskip(NEXT) | instid1(VALU_DEP_1)
	v_lshlrev_b32_e32 v149, 21, v149
	v_or3_b32 v149, v146, v163, v149
.LBB4_8446:                             ;   in Loop: Header=BB4_7553 Depth=3
	s_or_b32 exec_lo, exec_lo, s17
	v_lshrrev_b32_e32 v146, 24, v11
	s_mov_b32 s13, 0
	s_mov_b32 s30, exec_lo
                                        ; implicit-def: $sgpr17
	s_delay_alu instid0(VALU_DEP_1)
	v_cmpx_lt_i16_e64 0x7f, v146
	s_xor_b32 s30, exec_lo, s30
	s_cbranch_execnz .LBB4_8836
; %bb.8447:                             ;   in Loop: Header=BB4_7553 Depth=3
	s_or_saveexec_b32 s30, s30
	v_mov_b32_e32 v163, s17
	s_xor_b32 exec_lo, exec_lo, s30
	s_cbranch_execnz .LBB4_8839
.LBB4_8448:                             ;   in Loop: Header=BB4_7553 Depth=3
	s_or_b32 exec_lo, exec_lo, s30
	s_and_saveexec_b32 s17, s13
	s_cbranch_execz .LBB4_8450
.LBB4_8449:                             ;   in Loop: Header=BB4_7553 Depth=3
	v_bfe_u32 v163, v11, 24, 2
	s_delay_alu instid0(VALU_DEP_1) | instskip(NEXT) | instid1(VALU_DEP_1)
	v_clz_i32_u32_e32 v167, v163
	v_min_u32_e32 v167, 32, v167
	s_delay_alu instid0(VALU_DEP_1) | instskip(SKIP_1) | instid1(VALU_DEP_2)
	v_subrev_nc_u32_e32 v181, 29, v167
	v_sub_nc_u32_e32 v167, 30, v167
	v_lshlrev_b32_e32 v146, v181, v146
	v_bfe_u32 v181, v11, 26, 5
	v_and_b32_e32 v11, 0x80000000, v11
	s_delay_alu instid0(VALU_DEP_2) | instskip(NEXT) | instid1(VALU_DEP_4)
	v_cmp_eq_u32_e32 vcc_lo, 0, v181
	v_dual_cndmask_b32 v167, v181, v167 :: v_dual_and_b32 v146, 3, v146
	s_delay_alu instid0(VALU_DEP_1) | instskip(NEXT) | instid1(VALU_DEP_2)
	v_cndmask_b32_e32 v146, v163, v146, vcc_lo
	v_lshl_add_u32 v163, v167, 23, 0x37800000
	s_delay_alu instid0(VALU_DEP_2) | instskip(NEXT) | instid1(VALU_DEP_1)
	v_lshlrev_b32_e32 v146, 21, v146
	v_or3_b32 v163, v11, v163, v146
.LBB4_8450:                             ;   in Loop: Header=BB4_7553 Depth=3
	s_or_b32 exec_lo, exec_lo, s17
	s_delay_alu instid0(VALU_DEP_1) | instskip(NEXT) | instid1(VALU_DEP_1)
	v_add_f32_e32 v11, v149, v163
	v_and_b32_e32 v146, 0x7f800000, v11
	s_delay_alu instid0(VALU_DEP_1)
	v_cmp_ne_u32_e32 vcc_lo, 0x7f800000, v146
	v_mov_b32_e32 v146, 0x8000
	s_and_saveexec_b32 s17, vcc_lo
	s_cbranch_execz .LBB4_7552
; %bb.8451:                             ;   in Loop: Header=BB4_7553 Depth=3
	v_mov_b32_e32 v146, 0
	s_mov_b32 s30, exec_lo
	v_cmpx_ne_u32_e32 0, v11
	s_cbranch_execz .LBB4_7551
; %bb.8452:                             ;   in Loop: Header=BB4_7553 Depth=3
	v_bfe_u32 v146, v11, 23, 8
	v_and_b32_e32 v149, 0x7fffff, v11
	s_delay_alu instid0(VALU_DEP_2) | instskip(SKIP_1) | instid1(VALU_DEP_3)
	v_sub_nc_u32_e32 v163, 0x70, v146
	v_cmp_gt_u32_e32 vcc_lo, 0x71, v146
	v_or_b32_e32 v167, 0x800000, v149
	s_delay_alu instid0(VALU_DEP_3) | instskip(SKIP_2) | instid1(VALU_DEP_3)
	v_cndmask_b32_e32 v163, 0, v163, vcc_lo
	v_cmp_eq_u32_e32 vcc_lo, 0, v146
	v_add_nc_u32_e32 v146, 0xffffff91, v146
	v_cndmask_b32_e64 v163, v163, 0x6f, vcc_lo
	v_cndmask_b32_e32 v149, v167, v149, vcc_lo
	s_delay_alu instid0(VALU_DEP_3) | instskip(NEXT) | instid1(VALU_DEP_3)
	v_cndmask_b32_e64 v146, v146, 0xffffff92, vcc_lo
	v_lshl_add_u32 v167, 0x200000, v163, -1
	s_delay_alu instid0(VALU_DEP_3) | instskip(SKIP_1) | instid1(VALU_DEP_4)
	v_lshrrev_b32_e32 v181, v163, v149
	v_lshlrev_b32_e64 v43, v163, 0x100000
	v_add_nc_u32_e32 v163, v163, v146
	s_delay_alu instid0(VALU_DEP_4) | instskip(NEXT) | instid1(VALU_DEP_4)
	v_and_b32_e32 v149, v167, v149
	v_bfe_u32 v41, v181, 21, 1
	s_delay_alu instid0(VALU_DEP_2) | instskip(NEXT) | instid1(VALU_DEP_2)
	v_cmp_eq_u32_e64 s13, v149, v43
	v_add_nc_u32_e32 v167, -1, v41
	s_delay_alu instid0(VALU_DEP_1) | instskip(SKIP_2) | instid1(VALU_DEP_2)
	v_cndmask_b32_e64 v149, 0, v167, s13
	v_lshrrev_b32_e32 v167, 23, v181
	s_mov_b32 s13, exec_lo
	v_add_nc_u32_e32 v149, v149, v181
	s_delay_alu instid0(VALU_DEP_2) | instskip(NEXT) | instid1(VALU_DEP_2)
	v_xor_b32_e32 v167, 1, v167
	v_and_b32_e32 v146, 0x1fffff, v149
	s_delay_alu instid0(VALU_DEP_1) | instskip(NEXT) | instid1(VALU_DEP_3)
	v_add_nc_u32_e32 v149, v146, v181
                                        ; implicit-def: $vgpr146
	v_cmpx_ne_u32_e64 v163, v167
	s_xor_b32 s13, exec_lo, s13
; %bb.8453:                             ;   in Loop: Header=BB4_7553 Depth=3
	s_delay_alu instid0(VALU_DEP_2) | instskip(SKIP_2) | instid1(VALU_DEP_2)
	v_cmp_lt_u32_e32 vcc_lo, 0xffffff, v149
	v_sub_nc_u32_e32 v146, v163, v167
	v_cndmask_b32_e64 v163, 0, 1, vcc_lo
	v_add_co_ci_u32_e32 v146, vcc_lo, 0, v146, vcc_lo
	s_delay_alu instid0(VALU_DEP_2)
	v_lshrrev_b32_e32 v149, v163, v149
; %bb.8454:                             ;   in Loop: Header=BB4_7553 Depth=3
	s_and_not1_saveexec_b32 s13, s13
	s_cbranch_execz .LBB4_7550
; %bb.8455:                             ;   in Loop: Header=BB4_7553 Depth=3
	s_delay_alu instid0(VALU_DEP_1)
	v_bfe_u32 v146, v149, 23, 1
	s_branch .LBB4_7550
.LBB4_8456:                             ;   in Loop: Header=BB4_7553 Depth=3
	s_mov_b32 s13, -1
	s_mov_b32 s34, exec_lo
                                        ; implicit-def: $sgpr30
	v_cmpx_eq_u16_e32 0x80, v13
; %bb.8457:                             ;   in Loop: Header=BB4_7553 Depth=3
	s_mov_b32 s30, 0x7f800001
	s_xor_b32 s13, exec_lo, -1
; %bb.8458:                             ;   in Loop: Header=BB4_7553 Depth=3
	s_or_b32 exec_lo, exec_lo, s34
	s_delay_alu instid0(SALU_CYCLE_1)
	s_and_b32 s13, s13, exec_lo
                                        ; implicit-def: $vgpr13
	s_or_saveexec_b32 s31, s31
	v_mov_b32_e32 v12, s30
	s_xor_b32 exec_lo, exec_lo, s31
	s_cbranch_execz .LBB4_7564
.LBB4_8459:                             ;   in Loop: Header=BB4_7553 Depth=3
	v_cmp_ne_u16_e32 vcc_lo, 0, v13
	v_mov_b32_e32 v12, 0
	s_and_not1_b32 s13, s13, exec_lo
	s_and_b32 vcc_lo, vcc_lo, exec_lo
	s_delay_alu instid0(SALU_CYCLE_1)
	s_or_b32 s13, s13, vcc_lo
	s_or_b32 exec_lo, exec_lo, s31
	s_and_saveexec_b32 s30, s13
	s_cbranch_execnz .LBB4_7565
	s_branch .LBB4_7566
.LBB4_8460:                             ;   in Loop: Header=BB4_7553 Depth=3
	s_mov_b32 s13, -1
	s_mov_b32 s34, exec_lo
                                        ; implicit-def: $sgpr30
	v_cmpx_eq_u16_e32 0x80, v12
; %bb.8461:                             ;   in Loop: Header=BB4_7553 Depth=3
	s_mov_b32 s30, 0x7f800001
	s_xor_b32 s13, exec_lo, -1
; %bb.8462:                             ;   in Loop: Header=BB4_7553 Depth=3
	s_or_b32 exec_lo, exec_lo, s34
	s_delay_alu instid0(SALU_CYCLE_1)
	s_and_b32 s13, s13, exec_lo
	s_or_saveexec_b32 s31, s31
	v_mov_b32_e32 v13, s30
	s_xor_b32 exec_lo, exec_lo, s31
	s_cbranch_execz .LBB4_7576
.LBB4_8463:                             ;   in Loop: Header=BB4_7553 Depth=3
	v_cmp_ne_u16_e32 vcc_lo, 0, v12
	v_mov_b32_e32 v13, 0
	s_and_not1_b32 s13, s13, exec_lo
	s_and_b32 vcc_lo, vcc_lo, exec_lo
	s_delay_alu instid0(SALU_CYCLE_1)
	s_or_b32 s13, s13, vcc_lo
	s_or_b32 exec_lo, exec_lo, s31
	s_and_saveexec_b32 s30, s13
	s_cbranch_execnz .LBB4_7577
	s_branch .LBB4_7578
.LBB4_8464:                             ;   in Loop: Header=BB4_7553 Depth=3
	s_mov_b32 s13, -1
	s_mov_b32 s34, exec_lo
                                        ; implicit-def: $sgpr30
	v_cmpx_eq_u16_e32 0x80, v14
; %bb.8465:                             ;   in Loop: Header=BB4_7553 Depth=3
	s_mov_b32 s30, 0x7f800001
	s_xor_b32 s13, exec_lo, -1
; %bb.8466:                             ;   in Loop: Header=BB4_7553 Depth=3
	s_or_b32 exec_lo, exec_lo, s34
	s_delay_alu instid0(SALU_CYCLE_1)
	s_and_b32 s13, s13, exec_lo
                                        ; implicit-def: $vgpr14
	s_or_saveexec_b32 s31, s31
	v_mov_b32_e32 v13, s30
	s_xor_b32 exec_lo, exec_lo, s31
	s_cbranch_execz .LBB4_7588
.LBB4_8467:                             ;   in Loop: Header=BB4_7553 Depth=3
	v_cmp_ne_u16_e32 vcc_lo, 0, v14
	v_mov_b32_e32 v13, 0
	s_and_not1_b32 s13, s13, exec_lo
	s_and_b32 vcc_lo, vcc_lo, exec_lo
	s_delay_alu instid0(SALU_CYCLE_1)
	s_or_b32 s13, s13, vcc_lo
	s_or_b32 exec_lo, exec_lo, s31
	s_and_saveexec_b32 s30, s13
	s_cbranch_execnz .LBB4_7589
	s_branch .LBB4_7590
.LBB4_8468:                             ;   in Loop: Header=BB4_7553 Depth=3
	s_mov_b32 s13, -1
	s_mov_b32 s34, exec_lo
                                        ; implicit-def: $sgpr30
	v_cmpx_eq_u16_e32 0x80, v12
; %bb.8469:                             ;   in Loop: Header=BB4_7553 Depth=3
	s_mov_b32 s30, 0x7f800001
	s_xor_b32 s13, exec_lo, -1
; %bb.8470:                             ;   in Loop: Header=BB4_7553 Depth=3
	s_or_b32 exec_lo, exec_lo, s34
	s_delay_alu instid0(SALU_CYCLE_1)
	s_and_b32 s13, s13, exec_lo
	s_or_saveexec_b32 s31, s31
	v_mov_b32_e32 v13, s30
	s_xor_b32 exec_lo, exec_lo, s31
	s_cbranch_execz .LBB4_7600
.LBB4_8471:                             ;   in Loop: Header=BB4_7553 Depth=3
	v_cmp_ne_u16_e32 vcc_lo, 0, v12
	v_mov_b32_e32 v13, 0
	s_and_not1_b32 s13, s13, exec_lo
	s_and_b32 vcc_lo, vcc_lo, exec_lo
	s_delay_alu instid0(SALU_CYCLE_1)
	s_or_b32 s13, s13, vcc_lo
	s_or_b32 exec_lo, exec_lo, s31
	s_and_saveexec_b32 s30, s13
	s_cbranch_execnz .LBB4_7601
	s_branch .LBB4_7602
.LBB4_8472:                             ;   in Loop: Header=BB4_7553 Depth=3
	s_mov_b32 s13, -1
	s_mov_b32 s34, exec_lo
                                        ; implicit-def: $sgpr30
	v_cmpx_eq_u16_e32 0x80, v12
; %bb.8473:                             ;   in Loop: Header=BB4_7553 Depth=3
	s_mov_b32 s30, 0x7f800001
	s_xor_b32 s13, exec_lo, -1
; %bb.8474:                             ;   in Loop: Header=BB4_7553 Depth=3
	s_or_b32 exec_lo, exec_lo, s34
	s_delay_alu instid0(SALU_CYCLE_1)
	s_and_b32 s13, s13, exec_lo
                                        ; implicit-def: $vgpr12
	s_or_saveexec_b32 s31, s31
	v_mov_b32_e32 v8, s30
	s_xor_b32 exec_lo, exec_lo, s31
	s_cbranch_execz .LBB4_7612
.LBB4_8475:                             ;   in Loop: Header=BB4_7553 Depth=3
	v_cmp_ne_u16_e32 vcc_lo, 0, v12
	v_mov_b32_e32 v8, 0
	s_and_not1_b32 s13, s13, exec_lo
	s_and_b32 vcc_lo, vcc_lo, exec_lo
	s_delay_alu instid0(SALU_CYCLE_1)
	s_or_b32 s13, s13, vcc_lo
	s_or_b32 exec_lo, exec_lo, s31
	s_and_saveexec_b32 s30, s13
	s_cbranch_execnz .LBB4_7613
	s_branch .LBB4_7614
.LBB4_8476:                             ;   in Loop: Header=BB4_7553 Depth=3
	s_mov_b32 s13, -1
	s_mov_b32 s34, exec_lo
                                        ; implicit-def: $sgpr30
	v_cmpx_eq_u16_e32 0x80, v8
; %bb.8477:                             ;   in Loop: Header=BB4_7553 Depth=3
	s_mov_b32 s30, 0x7f800001
	s_xor_b32 s13, exec_lo, -1
; %bb.8478:                             ;   in Loop: Header=BB4_7553 Depth=3
	s_or_b32 exec_lo, exec_lo, s34
	s_delay_alu instid0(SALU_CYCLE_1)
	s_and_b32 s13, s13, exec_lo
	s_or_saveexec_b32 s31, s31
	v_mov_b32_e32 v12, s30
	s_xor_b32 exec_lo, exec_lo, s31
	s_cbranch_execz .LBB4_7624
.LBB4_8479:                             ;   in Loop: Header=BB4_7553 Depth=3
	v_cmp_ne_u16_e32 vcc_lo, 0, v8
	v_mov_b32_e32 v12, 0
	s_and_not1_b32 s13, s13, exec_lo
	s_and_b32 vcc_lo, vcc_lo, exec_lo
	s_delay_alu instid0(SALU_CYCLE_1)
	s_or_b32 s13, s13, vcc_lo
	s_or_b32 exec_lo, exec_lo, s31
	s_and_saveexec_b32 s30, s13
	s_cbranch_execnz .LBB4_7625
	s_branch .LBB4_7626
.LBB4_8480:                             ;   in Loop: Header=BB4_7553 Depth=3
	s_mov_b32 s13, -1
	s_mov_b32 s34, exec_lo
                                        ; implicit-def: $sgpr30
	v_cmpx_eq_u16_e32 0x80, v13
; %bb.8481:                             ;   in Loop: Header=BB4_7553 Depth=3
	s_mov_b32 s30, 0x7f800001
	s_xor_b32 s13, exec_lo, -1
; %bb.8482:                             ;   in Loop: Header=BB4_7553 Depth=3
	s_or_b32 exec_lo, exec_lo, s34
	s_delay_alu instid0(SALU_CYCLE_1)
	s_and_b32 s13, s13, exec_lo
                                        ; implicit-def: $vgpr13
	s_or_saveexec_b32 s31, s31
	v_mov_b32_e32 v12, s30
	s_xor_b32 exec_lo, exec_lo, s31
	s_cbranch_execz .LBB4_7636
.LBB4_8483:                             ;   in Loop: Header=BB4_7553 Depth=3
	v_cmp_ne_u16_e32 vcc_lo, 0, v13
	v_mov_b32_e32 v12, 0
	s_and_not1_b32 s13, s13, exec_lo
	s_and_b32 vcc_lo, vcc_lo, exec_lo
	s_delay_alu instid0(SALU_CYCLE_1)
	s_or_b32 s13, s13, vcc_lo
	s_or_b32 exec_lo, exec_lo, s31
	s_and_saveexec_b32 s30, s13
	s_cbranch_execnz .LBB4_7637
	s_branch .LBB4_7638
.LBB4_8484:                             ;   in Loop: Header=BB4_7553 Depth=3
	s_mov_b32 s13, -1
	s_mov_b32 s34, exec_lo
                                        ; implicit-def: $sgpr30
	v_cmpx_eq_u16_e32 0x80, v8
; %bb.8485:                             ;   in Loop: Header=BB4_7553 Depth=3
	s_mov_b32 s30, 0x7f800001
	s_xor_b32 s13, exec_lo, -1
; %bb.8486:                             ;   in Loop: Header=BB4_7553 Depth=3
	s_or_b32 exec_lo, exec_lo, s34
	s_delay_alu instid0(SALU_CYCLE_1)
	s_and_b32 s13, s13, exec_lo
	s_or_saveexec_b32 s31, s31
	v_mov_b32_e32 v12, s30
	s_xor_b32 exec_lo, exec_lo, s31
	s_cbranch_execz .LBB4_7648
.LBB4_8487:                             ;   in Loop: Header=BB4_7553 Depth=3
	v_cmp_ne_u16_e32 vcc_lo, 0, v8
	v_mov_b32_e32 v12, 0
	s_and_not1_b32 s13, s13, exec_lo
	s_and_b32 vcc_lo, vcc_lo, exec_lo
	s_delay_alu instid0(SALU_CYCLE_1)
	s_or_b32 s13, s13, vcc_lo
	s_or_b32 exec_lo, exec_lo, s31
	s_and_saveexec_b32 s30, s13
	s_cbranch_execnz .LBB4_7649
	s_branch .LBB4_7650
.LBB4_8488:                             ;   in Loop: Header=BB4_7553 Depth=3
	s_mov_b32 s13, -1
	s_mov_b32 s34, exec_lo
                                        ; implicit-def: $sgpr30
	v_cmpx_eq_u16_e32 0x80, v9
; %bb.8489:                             ;   in Loop: Header=BB4_7553 Depth=3
	s_mov_b32 s30, 0x7f800001
	s_xor_b32 s13, exec_lo, -1
; %bb.8490:                             ;   in Loop: Header=BB4_7553 Depth=3
	s_or_b32 exec_lo, exec_lo, s34
	s_delay_alu instid0(SALU_CYCLE_1)
	s_and_b32 s13, s13, exec_lo
                                        ; implicit-def: $vgpr9
	s_or_saveexec_b32 s31, s31
	v_mov_b32_e32 v8, s30
	s_xor_b32 exec_lo, exec_lo, s31
	s_cbranch_execz .LBB4_7660
.LBB4_8491:                             ;   in Loop: Header=BB4_7553 Depth=3
	v_cmp_ne_u16_e32 vcc_lo, 0, v9
	v_mov_b32_e32 v8, 0
	s_and_not1_b32 s13, s13, exec_lo
	s_and_b32 vcc_lo, vcc_lo, exec_lo
	s_delay_alu instid0(SALU_CYCLE_1)
	s_or_b32 s13, s13, vcc_lo
	s_or_b32 exec_lo, exec_lo, s31
	s_and_saveexec_b32 s30, s13
	s_cbranch_execnz .LBB4_7661
	s_branch .LBB4_7662
.LBB4_8492:                             ;   in Loop: Header=BB4_7553 Depth=3
	s_mov_b32 s13, -1
	s_mov_b32 s34, exec_lo
                                        ; implicit-def: $sgpr30
	v_cmpx_eq_u16_e32 0x80, v8
; %bb.8493:                             ;   in Loop: Header=BB4_7553 Depth=3
	s_mov_b32 s30, 0x7f800001
	s_xor_b32 s13, exec_lo, -1
; %bb.8494:                             ;   in Loop: Header=BB4_7553 Depth=3
	s_or_b32 exec_lo, exec_lo, s34
	s_delay_alu instid0(SALU_CYCLE_1)
	s_and_b32 s13, s13, exec_lo
	s_or_saveexec_b32 s31, s31
	v_mov_b32_e32 v9, s30
	s_xor_b32 exec_lo, exec_lo, s31
	s_cbranch_execz .LBB4_7672
.LBB4_8495:                             ;   in Loop: Header=BB4_7553 Depth=3
	v_cmp_ne_u16_e32 vcc_lo, 0, v8
	v_mov_b32_e32 v9, 0
	s_and_not1_b32 s13, s13, exec_lo
	s_and_b32 vcc_lo, vcc_lo, exec_lo
	s_delay_alu instid0(SALU_CYCLE_1)
	s_or_b32 s13, s13, vcc_lo
	s_or_b32 exec_lo, exec_lo, s31
	s_and_saveexec_b32 s30, s13
	s_cbranch_execnz .LBB4_7673
	s_branch .LBB4_7674
.LBB4_8496:                             ;   in Loop: Header=BB4_7553 Depth=3
	s_mov_b32 s13, -1
	s_mov_b32 s34, exec_lo
                                        ; implicit-def: $sgpr30
	v_cmpx_eq_u16_e32 0x80, v12
; %bb.8497:                             ;   in Loop: Header=BB4_7553 Depth=3
	s_mov_b32 s30, 0x7f800001
	s_xor_b32 s13, exec_lo, -1
; %bb.8498:                             ;   in Loop: Header=BB4_7553 Depth=3
	s_or_b32 exec_lo, exec_lo, s34
	s_delay_alu instid0(SALU_CYCLE_1)
	s_and_b32 s13, s13, exec_lo
                                        ; implicit-def: $vgpr12
	s_or_saveexec_b32 s31, s31
	v_mov_b32_e32 v9, s30
	s_xor_b32 exec_lo, exec_lo, s31
	s_cbranch_execz .LBB4_7684
.LBB4_8499:                             ;   in Loop: Header=BB4_7553 Depth=3
	v_cmp_ne_u16_e32 vcc_lo, 0, v12
	v_mov_b32_e32 v9, 0
	s_and_not1_b32 s13, s13, exec_lo
	s_and_b32 vcc_lo, vcc_lo, exec_lo
	s_delay_alu instid0(SALU_CYCLE_1)
	s_or_b32 s13, s13, vcc_lo
	s_or_b32 exec_lo, exec_lo, s31
	s_and_saveexec_b32 s30, s13
	s_cbranch_execnz .LBB4_7685
	s_branch .LBB4_7686
.LBB4_8500:                             ;   in Loop: Header=BB4_7553 Depth=3
	s_mov_b32 s13, -1
	s_mov_b32 s34, exec_lo
                                        ; implicit-def: $sgpr30
	v_cmpx_eq_u16_e32 0x80, v8
; %bb.8501:                             ;   in Loop: Header=BB4_7553 Depth=3
	s_mov_b32 s30, 0x7f800001
	s_xor_b32 s13, exec_lo, -1
; %bb.8502:                             ;   in Loop: Header=BB4_7553 Depth=3
	s_or_b32 exec_lo, exec_lo, s34
	s_delay_alu instid0(SALU_CYCLE_1)
	s_and_b32 s13, s13, exec_lo
	s_or_saveexec_b32 s31, s31
	v_mov_b32_e32 v9, s30
	s_xor_b32 exec_lo, exec_lo, s31
	s_cbranch_execz .LBB4_7696
.LBB4_8503:                             ;   in Loop: Header=BB4_7553 Depth=3
	v_cmp_ne_u16_e32 vcc_lo, 0, v8
	v_mov_b32_e32 v9, 0
	s_and_not1_b32 s13, s13, exec_lo
	s_and_b32 vcc_lo, vcc_lo, exec_lo
	s_delay_alu instid0(SALU_CYCLE_1)
	s_or_b32 s13, s13, vcc_lo
	s_or_b32 exec_lo, exec_lo, s31
	s_and_saveexec_b32 s30, s13
	s_cbranch_execnz .LBB4_7697
	s_branch .LBB4_7698
.LBB4_8504:                             ;   in Loop: Header=BB4_7553 Depth=3
	s_mov_b32 s13, -1
	s_mov_b32 s34, exec_lo
                                        ; implicit-def: $sgpr30
	v_cmpx_eq_u16_e32 0x80, v9
; %bb.8505:                             ;   in Loop: Header=BB4_7553 Depth=3
	s_mov_b32 s30, 0x7f800001
	s_xor_b32 s13, exec_lo, -1
; %bb.8506:                             ;   in Loop: Header=BB4_7553 Depth=3
	s_or_b32 exec_lo, exec_lo, s34
	s_delay_alu instid0(SALU_CYCLE_1)
	s_and_b32 s13, s13, exec_lo
                                        ; implicit-def: $vgpr9
	s_or_saveexec_b32 s31, s31
	v_mov_b32_e32 v8, s30
	s_xor_b32 exec_lo, exec_lo, s31
	s_cbranch_execz .LBB4_7708
.LBB4_8507:                             ;   in Loop: Header=BB4_7553 Depth=3
	v_cmp_ne_u16_e32 vcc_lo, 0, v9
	v_mov_b32_e32 v8, 0
	s_and_not1_b32 s13, s13, exec_lo
	s_and_b32 vcc_lo, vcc_lo, exec_lo
	s_delay_alu instid0(SALU_CYCLE_1)
	s_or_b32 s13, s13, vcc_lo
	s_or_b32 exec_lo, exec_lo, s31
	s_and_saveexec_b32 s30, s13
	s_cbranch_execnz .LBB4_7709
	s_branch .LBB4_7710
.LBB4_8508:                             ;   in Loop: Header=BB4_7553 Depth=3
	s_mov_b32 s13, -1
	s_mov_b32 s34, exec_lo
                                        ; implicit-def: $sgpr30
	v_cmpx_eq_u16_e32 0x80, v8
; %bb.8509:                             ;   in Loop: Header=BB4_7553 Depth=3
	s_mov_b32 s30, 0x7f800001
	s_xor_b32 s13, exec_lo, -1
; %bb.8510:                             ;   in Loop: Header=BB4_7553 Depth=3
	s_or_b32 exec_lo, exec_lo, s34
	s_delay_alu instid0(SALU_CYCLE_1)
	s_and_b32 s13, s13, exec_lo
	s_or_saveexec_b32 s31, s31
	v_mov_b32_e32 v9, s30
	s_xor_b32 exec_lo, exec_lo, s31
	s_cbranch_execz .LBB4_7720
.LBB4_8511:                             ;   in Loop: Header=BB4_7553 Depth=3
	v_cmp_ne_u16_e32 vcc_lo, 0, v8
	v_mov_b32_e32 v9, 0
	s_and_not1_b32 s13, s13, exec_lo
	s_and_b32 vcc_lo, vcc_lo, exec_lo
	s_delay_alu instid0(SALU_CYCLE_1)
	s_or_b32 s13, s13, vcc_lo
	s_or_b32 exec_lo, exec_lo, s31
	s_and_saveexec_b32 s30, s13
	s_cbranch_execnz .LBB4_7721
	s_branch .LBB4_7722
.LBB4_8512:                             ;   in Loop: Header=BB4_7553 Depth=3
	s_mov_b32 s13, -1
	s_mov_b32 s34, exec_lo
                                        ; implicit-def: $sgpr30
	v_cmpx_eq_u16_e32 0x80, v10
; %bb.8513:                             ;   in Loop: Header=BB4_7553 Depth=3
	s_mov_b32 s30, 0x7f800001
	s_xor_b32 s13, exec_lo, -1
; %bb.8514:                             ;   in Loop: Header=BB4_7553 Depth=3
	s_or_b32 exec_lo, exec_lo, s34
	s_delay_alu instid0(SALU_CYCLE_1)
	s_and_b32 s13, s13, exec_lo
                                        ; implicit-def: $vgpr10
	s_or_saveexec_b32 s31, s31
	v_mov_b32_e32 v9, s30
	s_xor_b32 exec_lo, exec_lo, s31
	s_cbranch_execz .LBB4_7732
.LBB4_8515:                             ;   in Loop: Header=BB4_7553 Depth=3
	v_cmp_ne_u16_e32 vcc_lo, 0, v10
	v_mov_b32_e32 v9, 0
	s_and_not1_b32 s13, s13, exec_lo
	s_and_b32 vcc_lo, vcc_lo, exec_lo
	s_delay_alu instid0(SALU_CYCLE_1)
	s_or_b32 s13, s13, vcc_lo
	s_or_b32 exec_lo, exec_lo, s31
	s_and_saveexec_b32 s30, s13
	s_cbranch_execnz .LBB4_7733
	s_branch .LBB4_7734
.LBB4_8516:                             ;   in Loop: Header=BB4_7553 Depth=3
	s_mov_b32 s13, -1
	s_mov_b32 s34, exec_lo
                                        ; implicit-def: $sgpr30
	v_cmpx_eq_u16_e32 0x80, v8
; %bb.8517:                             ;   in Loop: Header=BB4_7553 Depth=3
	s_mov_b32 s30, 0x7f800001
	s_xor_b32 s13, exec_lo, -1
; %bb.8518:                             ;   in Loop: Header=BB4_7553 Depth=3
	s_or_b32 exec_lo, exec_lo, s34
	s_delay_alu instid0(SALU_CYCLE_1)
	s_and_b32 s13, s13, exec_lo
	s_or_saveexec_b32 s31, s31
	v_mov_b32_e32 v9, s30
	s_xor_b32 exec_lo, exec_lo, s31
	s_cbranch_execz .LBB4_7744
.LBB4_8519:                             ;   in Loop: Header=BB4_7553 Depth=3
	v_cmp_ne_u16_e32 vcc_lo, 0, v8
	v_mov_b32_e32 v9, 0
	s_and_not1_b32 s13, s13, exec_lo
	s_and_b32 vcc_lo, vcc_lo, exec_lo
	s_delay_alu instid0(SALU_CYCLE_1)
	s_or_b32 s13, s13, vcc_lo
	s_or_b32 exec_lo, exec_lo, s31
	s_and_saveexec_b32 s30, s13
	s_cbranch_execnz .LBB4_7745
	s_branch .LBB4_7746
.LBB4_8520:                             ;   in Loop: Header=BB4_7553 Depth=3
	s_mov_b32 s13, -1
	s_mov_b32 s34, exec_lo
                                        ; implicit-def: $sgpr30
	v_cmpx_eq_u16_e32 0x80, v13
; %bb.8521:                             ;   in Loop: Header=BB4_7553 Depth=3
	s_mov_b32 s30, 0x7f800001
	s_xor_b32 s13, exec_lo, -1
; %bb.8522:                             ;   in Loop: Header=BB4_7553 Depth=3
	s_or_b32 exec_lo, exec_lo, s34
	s_delay_alu instid0(SALU_CYCLE_1)
	s_and_b32 s13, s13, exec_lo
                                        ; implicit-def: $vgpr13
	s_or_saveexec_b32 s31, s31
	v_mov_b32_e32 v12, s30
	s_xor_b32 exec_lo, exec_lo, s31
	s_cbranch_execz .LBB4_7756
.LBB4_8523:                             ;   in Loop: Header=BB4_7553 Depth=3
	v_cmp_ne_u16_e32 vcc_lo, 0, v13
	v_mov_b32_e32 v12, 0
	s_and_not1_b32 s13, s13, exec_lo
	s_and_b32 vcc_lo, vcc_lo, exec_lo
	s_delay_alu instid0(SALU_CYCLE_1)
	s_or_b32 s13, s13, vcc_lo
	s_or_b32 exec_lo, exec_lo, s31
	s_and_saveexec_b32 s30, s13
	s_cbranch_execnz .LBB4_7757
	s_branch .LBB4_7758
.LBB4_8524:                             ;   in Loop: Header=BB4_7553 Depth=3
	s_mov_b32 s13, -1
	s_mov_b32 s34, exec_lo
                                        ; implicit-def: $sgpr30
	v_cmpx_eq_u16_e32 0x80, v12
; %bb.8525:                             ;   in Loop: Header=BB4_7553 Depth=3
	s_mov_b32 s30, 0x7f800001
	s_xor_b32 s13, exec_lo, -1
; %bb.8526:                             ;   in Loop: Header=BB4_7553 Depth=3
	s_or_b32 exec_lo, exec_lo, s34
	s_delay_alu instid0(SALU_CYCLE_1)
	s_and_b32 s13, s13, exec_lo
	s_or_saveexec_b32 s31, s31
	v_mov_b32_e32 v13, s30
	s_xor_b32 exec_lo, exec_lo, s31
	s_cbranch_execz .LBB4_7768
.LBB4_8527:                             ;   in Loop: Header=BB4_7553 Depth=3
	v_cmp_ne_u16_e32 vcc_lo, 0, v12
	v_mov_b32_e32 v13, 0
	s_and_not1_b32 s13, s13, exec_lo
	s_and_b32 vcc_lo, vcc_lo, exec_lo
	s_delay_alu instid0(SALU_CYCLE_1)
	s_or_b32 s13, s13, vcc_lo
	s_or_b32 exec_lo, exec_lo, s31
	s_and_saveexec_b32 s30, s13
	s_cbranch_execnz .LBB4_7769
	s_branch .LBB4_7770
.LBB4_8528:                             ;   in Loop: Header=BB4_7553 Depth=3
	s_mov_b32 s13, -1
	s_mov_b32 s34, exec_lo
                                        ; implicit-def: $sgpr30
	v_cmpx_eq_u16_e32 0x80, v14
; %bb.8529:                             ;   in Loop: Header=BB4_7553 Depth=3
	s_mov_b32 s30, 0x7f800001
	s_xor_b32 s13, exec_lo, -1
; %bb.8530:                             ;   in Loop: Header=BB4_7553 Depth=3
	s_or_b32 exec_lo, exec_lo, s34
	s_delay_alu instid0(SALU_CYCLE_1)
	s_and_b32 s13, s13, exec_lo
                                        ; implicit-def: $vgpr14
	s_or_saveexec_b32 s31, s31
	v_mov_b32_e32 v13, s30
	s_xor_b32 exec_lo, exec_lo, s31
	s_cbranch_execz .LBB4_7780
.LBB4_8531:                             ;   in Loop: Header=BB4_7553 Depth=3
	v_cmp_ne_u16_e32 vcc_lo, 0, v14
	v_mov_b32_e32 v13, 0
	s_and_not1_b32 s13, s13, exec_lo
	s_and_b32 vcc_lo, vcc_lo, exec_lo
	s_delay_alu instid0(SALU_CYCLE_1)
	s_or_b32 s13, s13, vcc_lo
	s_or_b32 exec_lo, exec_lo, s31
	s_and_saveexec_b32 s30, s13
	s_cbranch_execnz .LBB4_7781
	s_branch .LBB4_7782
.LBB4_8532:                             ;   in Loop: Header=BB4_7553 Depth=3
	s_mov_b32 s13, -1
	s_mov_b32 s34, exec_lo
                                        ; implicit-def: $sgpr30
	v_cmpx_eq_u16_e32 0x80, v12
; %bb.8533:                             ;   in Loop: Header=BB4_7553 Depth=3
	s_mov_b32 s30, 0x7f800001
	s_xor_b32 s13, exec_lo, -1
; %bb.8534:                             ;   in Loop: Header=BB4_7553 Depth=3
	s_or_b32 exec_lo, exec_lo, s34
	s_delay_alu instid0(SALU_CYCLE_1)
	s_and_b32 s13, s13, exec_lo
	s_or_saveexec_b32 s31, s31
	v_mov_b32_e32 v13, s30
	s_xor_b32 exec_lo, exec_lo, s31
	s_cbranch_execz .LBB4_7792
.LBB4_8535:                             ;   in Loop: Header=BB4_7553 Depth=3
	v_cmp_ne_u16_e32 vcc_lo, 0, v12
	v_mov_b32_e32 v13, 0
	s_and_not1_b32 s13, s13, exec_lo
	s_and_b32 vcc_lo, vcc_lo, exec_lo
	s_delay_alu instid0(SALU_CYCLE_1)
	s_or_b32 s13, s13, vcc_lo
	s_or_b32 exec_lo, exec_lo, s31
	s_and_saveexec_b32 s30, s13
	s_cbranch_execnz .LBB4_7793
	s_branch .LBB4_7794
.LBB4_8536:                             ;   in Loop: Header=BB4_7553 Depth=3
	s_mov_b32 s13, -1
	s_mov_b32 s34, exec_lo
                                        ; implicit-def: $sgpr30
	v_cmpx_eq_u16_e32 0x80, v12
; %bb.8537:                             ;   in Loop: Header=BB4_7553 Depth=3
	s_mov_b32 s30, 0x7f800001
	s_xor_b32 s13, exec_lo, -1
; %bb.8538:                             ;   in Loop: Header=BB4_7553 Depth=3
	s_or_b32 exec_lo, exec_lo, s34
	s_delay_alu instid0(SALU_CYCLE_1)
	s_and_b32 s13, s13, exec_lo
                                        ; implicit-def: $vgpr12
	s_or_saveexec_b32 s31, s31
	v_mov_b32_e32 v8, s30
	s_xor_b32 exec_lo, exec_lo, s31
	s_cbranch_execz .LBB4_7804
.LBB4_8539:                             ;   in Loop: Header=BB4_7553 Depth=3
	v_cmp_ne_u16_e32 vcc_lo, 0, v12
	v_mov_b32_e32 v8, 0
	s_and_not1_b32 s13, s13, exec_lo
	s_and_b32 vcc_lo, vcc_lo, exec_lo
	s_delay_alu instid0(SALU_CYCLE_1)
	s_or_b32 s13, s13, vcc_lo
	s_or_b32 exec_lo, exec_lo, s31
	s_and_saveexec_b32 s30, s13
	s_cbranch_execnz .LBB4_7805
	s_branch .LBB4_7806
.LBB4_8540:                             ;   in Loop: Header=BB4_7553 Depth=3
	s_mov_b32 s13, -1
	s_mov_b32 s34, exec_lo
                                        ; implicit-def: $sgpr30
	v_cmpx_eq_u16_e32 0x80, v8
; %bb.8541:                             ;   in Loop: Header=BB4_7553 Depth=3
	s_mov_b32 s30, 0x7f800001
	s_xor_b32 s13, exec_lo, -1
; %bb.8542:                             ;   in Loop: Header=BB4_7553 Depth=3
	s_or_b32 exec_lo, exec_lo, s34
	s_delay_alu instid0(SALU_CYCLE_1)
	s_and_b32 s13, s13, exec_lo
	s_or_saveexec_b32 s31, s31
	v_mov_b32_e32 v12, s30
	s_xor_b32 exec_lo, exec_lo, s31
	s_cbranch_execz .LBB4_7816
.LBB4_8543:                             ;   in Loop: Header=BB4_7553 Depth=3
	v_cmp_ne_u16_e32 vcc_lo, 0, v8
	v_mov_b32_e32 v12, 0
	s_and_not1_b32 s13, s13, exec_lo
	s_and_b32 vcc_lo, vcc_lo, exec_lo
	s_delay_alu instid0(SALU_CYCLE_1)
	s_or_b32 s13, s13, vcc_lo
	s_or_b32 exec_lo, exec_lo, s31
	s_and_saveexec_b32 s30, s13
	s_cbranch_execnz .LBB4_7817
	s_branch .LBB4_7818
.LBB4_8544:                             ;   in Loop: Header=BB4_7553 Depth=3
	s_mov_b32 s13, -1
	s_mov_b32 s34, exec_lo
                                        ; implicit-def: $sgpr30
	v_cmpx_eq_u16_e32 0x80, v13
; %bb.8545:                             ;   in Loop: Header=BB4_7553 Depth=3
	s_mov_b32 s30, 0x7f800001
	s_xor_b32 s13, exec_lo, -1
; %bb.8546:                             ;   in Loop: Header=BB4_7553 Depth=3
	s_or_b32 exec_lo, exec_lo, s34
	s_delay_alu instid0(SALU_CYCLE_1)
	s_and_b32 s13, s13, exec_lo
                                        ; implicit-def: $vgpr13
	s_or_saveexec_b32 s31, s31
	v_mov_b32_e32 v12, s30
	s_xor_b32 exec_lo, exec_lo, s31
	s_cbranch_execz .LBB4_7828
.LBB4_8547:                             ;   in Loop: Header=BB4_7553 Depth=3
	v_cmp_ne_u16_e32 vcc_lo, 0, v13
	v_mov_b32_e32 v12, 0
	s_and_not1_b32 s13, s13, exec_lo
	s_and_b32 vcc_lo, vcc_lo, exec_lo
	s_delay_alu instid0(SALU_CYCLE_1)
	s_or_b32 s13, s13, vcc_lo
	s_or_b32 exec_lo, exec_lo, s31
	s_and_saveexec_b32 s30, s13
	s_cbranch_execnz .LBB4_7829
	s_branch .LBB4_7830
.LBB4_8548:                             ;   in Loop: Header=BB4_7553 Depth=3
	s_mov_b32 s13, -1
	s_mov_b32 s34, exec_lo
                                        ; implicit-def: $sgpr30
	v_cmpx_eq_u16_e32 0x80, v8
; %bb.8549:                             ;   in Loop: Header=BB4_7553 Depth=3
	s_mov_b32 s30, 0x7f800001
	s_xor_b32 s13, exec_lo, -1
; %bb.8550:                             ;   in Loop: Header=BB4_7553 Depth=3
	s_or_b32 exec_lo, exec_lo, s34
	s_delay_alu instid0(SALU_CYCLE_1)
	s_and_b32 s13, s13, exec_lo
	s_or_saveexec_b32 s31, s31
	v_mov_b32_e32 v12, s30
	s_xor_b32 exec_lo, exec_lo, s31
	s_cbranch_execz .LBB4_7840
.LBB4_8551:                             ;   in Loop: Header=BB4_7553 Depth=3
	v_cmp_ne_u16_e32 vcc_lo, 0, v8
	v_mov_b32_e32 v12, 0
	s_and_not1_b32 s13, s13, exec_lo
	s_and_b32 vcc_lo, vcc_lo, exec_lo
	s_delay_alu instid0(SALU_CYCLE_1)
	s_or_b32 s13, s13, vcc_lo
	s_or_b32 exec_lo, exec_lo, s31
	s_and_saveexec_b32 s30, s13
	s_cbranch_execnz .LBB4_7841
	s_branch .LBB4_7842
.LBB4_8552:                             ;   in Loop: Header=BB4_7553 Depth=3
	s_mov_b32 s13, -1
	s_mov_b32 s34, exec_lo
                                        ; implicit-def: $sgpr30
	v_cmpx_eq_u16_e32 0x80, v9
; %bb.8553:                             ;   in Loop: Header=BB4_7553 Depth=3
	s_mov_b32 s30, 0x7f800001
	s_xor_b32 s13, exec_lo, -1
; %bb.8554:                             ;   in Loop: Header=BB4_7553 Depth=3
	s_or_b32 exec_lo, exec_lo, s34
	s_delay_alu instid0(SALU_CYCLE_1)
	s_and_b32 s13, s13, exec_lo
                                        ; implicit-def: $vgpr9
	s_or_saveexec_b32 s31, s31
	v_mov_b32_e32 v8, s30
	s_xor_b32 exec_lo, exec_lo, s31
	s_cbranch_execz .LBB4_7852
.LBB4_8555:                             ;   in Loop: Header=BB4_7553 Depth=3
	v_cmp_ne_u16_e32 vcc_lo, 0, v9
	v_mov_b32_e32 v8, 0
	s_and_not1_b32 s13, s13, exec_lo
	s_and_b32 vcc_lo, vcc_lo, exec_lo
	s_delay_alu instid0(SALU_CYCLE_1)
	s_or_b32 s13, s13, vcc_lo
	s_or_b32 exec_lo, exec_lo, s31
	s_and_saveexec_b32 s30, s13
	s_cbranch_execnz .LBB4_7853
	s_branch .LBB4_7854
.LBB4_8556:                             ;   in Loop: Header=BB4_7553 Depth=3
	s_mov_b32 s13, -1
	s_mov_b32 s34, exec_lo
                                        ; implicit-def: $sgpr30
	v_cmpx_eq_u16_e32 0x80, v8
; %bb.8557:                             ;   in Loop: Header=BB4_7553 Depth=3
	s_mov_b32 s30, 0x7f800001
	s_xor_b32 s13, exec_lo, -1
; %bb.8558:                             ;   in Loop: Header=BB4_7553 Depth=3
	s_or_b32 exec_lo, exec_lo, s34
	s_delay_alu instid0(SALU_CYCLE_1)
	s_and_b32 s13, s13, exec_lo
	s_or_saveexec_b32 s31, s31
	v_mov_b32_e32 v9, s30
	s_xor_b32 exec_lo, exec_lo, s31
	s_cbranch_execz .LBB4_7864
.LBB4_8559:                             ;   in Loop: Header=BB4_7553 Depth=3
	v_cmp_ne_u16_e32 vcc_lo, 0, v8
	v_mov_b32_e32 v9, 0
	s_and_not1_b32 s13, s13, exec_lo
	s_and_b32 vcc_lo, vcc_lo, exec_lo
	s_delay_alu instid0(SALU_CYCLE_1)
	s_or_b32 s13, s13, vcc_lo
	s_or_b32 exec_lo, exec_lo, s31
	s_and_saveexec_b32 s30, s13
	s_cbranch_execnz .LBB4_7865
	s_branch .LBB4_7866
.LBB4_8560:                             ;   in Loop: Header=BB4_7553 Depth=3
	s_mov_b32 s13, -1
	s_mov_b32 s34, exec_lo
                                        ; implicit-def: $sgpr30
	v_cmpx_eq_u16_e32 0x80, v12
; %bb.8561:                             ;   in Loop: Header=BB4_7553 Depth=3
	s_mov_b32 s30, 0x7f800001
	s_xor_b32 s13, exec_lo, -1
; %bb.8562:                             ;   in Loop: Header=BB4_7553 Depth=3
	s_or_b32 exec_lo, exec_lo, s34
	s_delay_alu instid0(SALU_CYCLE_1)
	s_and_b32 s13, s13, exec_lo
                                        ; implicit-def: $vgpr12
	s_or_saveexec_b32 s31, s31
	v_mov_b32_e32 v9, s30
	s_xor_b32 exec_lo, exec_lo, s31
	s_cbranch_execz .LBB4_7876
.LBB4_8563:                             ;   in Loop: Header=BB4_7553 Depth=3
	v_cmp_ne_u16_e32 vcc_lo, 0, v12
	v_mov_b32_e32 v9, 0
	s_and_not1_b32 s13, s13, exec_lo
	s_and_b32 vcc_lo, vcc_lo, exec_lo
	s_delay_alu instid0(SALU_CYCLE_1)
	s_or_b32 s13, s13, vcc_lo
	s_or_b32 exec_lo, exec_lo, s31
	s_and_saveexec_b32 s30, s13
	s_cbranch_execnz .LBB4_7877
	s_branch .LBB4_7878
.LBB4_8564:                             ;   in Loop: Header=BB4_7553 Depth=3
	s_mov_b32 s13, -1
	s_mov_b32 s34, exec_lo
                                        ; implicit-def: $sgpr30
	v_cmpx_eq_u16_e32 0x80, v8
; %bb.8565:                             ;   in Loop: Header=BB4_7553 Depth=3
	s_mov_b32 s30, 0x7f800001
	s_xor_b32 s13, exec_lo, -1
; %bb.8566:                             ;   in Loop: Header=BB4_7553 Depth=3
	s_or_b32 exec_lo, exec_lo, s34
	s_delay_alu instid0(SALU_CYCLE_1)
	s_and_b32 s13, s13, exec_lo
	s_or_saveexec_b32 s31, s31
	v_mov_b32_e32 v9, s30
	s_xor_b32 exec_lo, exec_lo, s31
	s_cbranch_execz .LBB4_7888
.LBB4_8567:                             ;   in Loop: Header=BB4_7553 Depth=3
	v_cmp_ne_u16_e32 vcc_lo, 0, v8
	v_mov_b32_e32 v9, 0
	s_and_not1_b32 s13, s13, exec_lo
	s_and_b32 vcc_lo, vcc_lo, exec_lo
	s_delay_alu instid0(SALU_CYCLE_1)
	s_or_b32 s13, s13, vcc_lo
	s_or_b32 exec_lo, exec_lo, s31
	s_and_saveexec_b32 s30, s13
	s_cbranch_execnz .LBB4_7889
	s_branch .LBB4_7890
.LBB4_8568:                             ;   in Loop: Header=BB4_7553 Depth=3
	s_mov_b32 s13, -1
	s_mov_b32 s34, exec_lo
                                        ; implicit-def: $sgpr30
	v_cmpx_eq_u16_e32 0x80, v9
; %bb.8569:                             ;   in Loop: Header=BB4_7553 Depth=3
	s_mov_b32 s30, 0x7f800001
	s_xor_b32 s13, exec_lo, -1
; %bb.8570:                             ;   in Loop: Header=BB4_7553 Depth=3
	s_or_b32 exec_lo, exec_lo, s34
	s_delay_alu instid0(SALU_CYCLE_1)
	s_and_b32 s13, s13, exec_lo
                                        ; implicit-def: $vgpr9
	s_or_saveexec_b32 s31, s31
	v_mov_b32_e32 v8, s30
	s_xor_b32 exec_lo, exec_lo, s31
	s_cbranch_execz .LBB4_7900
.LBB4_8571:                             ;   in Loop: Header=BB4_7553 Depth=3
	v_cmp_ne_u16_e32 vcc_lo, 0, v9
	v_mov_b32_e32 v8, 0
	s_and_not1_b32 s13, s13, exec_lo
	s_and_b32 vcc_lo, vcc_lo, exec_lo
	s_delay_alu instid0(SALU_CYCLE_1)
	s_or_b32 s13, s13, vcc_lo
	s_or_b32 exec_lo, exec_lo, s31
	s_and_saveexec_b32 s30, s13
	s_cbranch_execnz .LBB4_7901
	s_branch .LBB4_7902
.LBB4_8572:                             ;   in Loop: Header=BB4_7553 Depth=3
	s_mov_b32 s13, -1
	s_mov_b32 s34, exec_lo
                                        ; implicit-def: $sgpr30
	v_cmpx_eq_u16_e32 0x80, v8
; %bb.8573:                             ;   in Loop: Header=BB4_7553 Depth=3
	s_mov_b32 s30, 0x7f800001
	s_xor_b32 s13, exec_lo, -1
; %bb.8574:                             ;   in Loop: Header=BB4_7553 Depth=3
	s_or_b32 exec_lo, exec_lo, s34
	s_delay_alu instid0(SALU_CYCLE_1)
	s_and_b32 s13, s13, exec_lo
	s_or_saveexec_b32 s31, s31
	v_mov_b32_e32 v9, s30
	s_xor_b32 exec_lo, exec_lo, s31
	s_cbranch_execz .LBB4_7912
.LBB4_8575:                             ;   in Loop: Header=BB4_7553 Depth=3
	v_cmp_ne_u16_e32 vcc_lo, 0, v8
	v_mov_b32_e32 v9, 0
	s_and_not1_b32 s13, s13, exec_lo
	s_and_b32 vcc_lo, vcc_lo, exec_lo
	s_delay_alu instid0(SALU_CYCLE_1)
	s_or_b32 s13, s13, vcc_lo
	s_or_b32 exec_lo, exec_lo, s31
	s_and_saveexec_b32 s30, s13
	s_cbranch_execnz .LBB4_7913
	s_branch .LBB4_7914
.LBB4_8576:                             ;   in Loop: Header=BB4_7553 Depth=3
	s_mov_b32 s13, -1
	s_mov_b32 s34, exec_lo
                                        ; implicit-def: $sgpr30
	v_cmpx_eq_u16_e32 0x80, v10
; %bb.8577:                             ;   in Loop: Header=BB4_7553 Depth=3
	s_mov_b32 s30, 0x7f800001
	s_xor_b32 s13, exec_lo, -1
; %bb.8578:                             ;   in Loop: Header=BB4_7553 Depth=3
	s_or_b32 exec_lo, exec_lo, s34
	s_delay_alu instid0(SALU_CYCLE_1)
	s_and_b32 s13, s13, exec_lo
                                        ; implicit-def: $vgpr10
	s_or_saveexec_b32 s31, s31
	v_mov_b32_e32 v9, s30
	s_xor_b32 exec_lo, exec_lo, s31
	s_cbranch_execz .LBB4_7924
.LBB4_8579:                             ;   in Loop: Header=BB4_7553 Depth=3
	v_cmp_ne_u16_e32 vcc_lo, 0, v10
	v_mov_b32_e32 v9, 0
	s_and_not1_b32 s13, s13, exec_lo
	s_and_b32 vcc_lo, vcc_lo, exec_lo
	s_delay_alu instid0(SALU_CYCLE_1)
	s_or_b32 s13, s13, vcc_lo
	s_or_b32 exec_lo, exec_lo, s31
	s_and_saveexec_b32 s30, s13
	s_cbranch_execnz .LBB4_7925
	s_branch .LBB4_7926
.LBB4_8580:                             ;   in Loop: Header=BB4_7553 Depth=3
	s_mov_b32 s13, -1
	s_mov_b32 s34, exec_lo
                                        ; implicit-def: $sgpr30
	v_cmpx_eq_u16_e32 0x80, v8
; %bb.8581:                             ;   in Loop: Header=BB4_7553 Depth=3
	s_mov_b32 s30, 0x7f800001
	s_xor_b32 s13, exec_lo, -1
; %bb.8582:                             ;   in Loop: Header=BB4_7553 Depth=3
	s_or_b32 exec_lo, exec_lo, s34
	s_delay_alu instid0(SALU_CYCLE_1)
	s_and_b32 s13, s13, exec_lo
	s_or_saveexec_b32 s31, s31
	v_mov_b32_e32 v9, s30
	s_xor_b32 exec_lo, exec_lo, s31
	s_cbranch_execz .LBB4_7936
.LBB4_8583:                             ;   in Loop: Header=BB4_7553 Depth=3
	v_cmp_ne_u16_e32 vcc_lo, 0, v8
	v_mov_b32_e32 v9, 0
	s_and_not1_b32 s13, s13, exec_lo
	s_and_b32 vcc_lo, vcc_lo, exec_lo
	s_delay_alu instid0(SALU_CYCLE_1)
	s_or_b32 s13, s13, vcc_lo
	s_or_b32 exec_lo, exec_lo, s31
	s_and_saveexec_b32 s30, s13
	s_cbranch_execnz .LBB4_7937
	s_branch .LBB4_7938
.LBB4_8584:                             ;   in Loop: Header=BB4_7553 Depth=3
	s_mov_b32 s13, -1
	s_mov_b32 s31, exec_lo
                                        ; implicit-def: $sgpr17
	v_cmpx_eq_u16_e32 0x80, v46
; %bb.8585:                             ;   in Loop: Header=BB4_7553 Depth=3
	s_mov_b32 s17, 0x7f800001
	s_xor_b32 s13, exec_lo, -1
; %bb.8586:                             ;   in Loop: Header=BB4_7553 Depth=3
	s_or_b32 exec_lo, exec_lo, s31
	s_delay_alu instid0(SALU_CYCLE_1)
	s_and_b32 s13, s13, exec_lo
                                        ; implicit-def: $vgpr46
	s_or_saveexec_b32 s30, s30
	v_mov_b32_e32 v45, s17
	s_xor_b32 exec_lo, exec_lo, s30
	s_cbranch_execz .LBB4_7948
.LBB4_8587:                             ;   in Loop: Header=BB4_7553 Depth=3
	v_cmp_ne_u16_e32 vcc_lo, 0, v46
	v_mov_b32_e32 v45, 0
	s_and_not1_b32 s13, s13, exec_lo
	s_and_b32 s17, vcc_lo, exec_lo
	s_delay_alu instid0(SALU_CYCLE_1)
	s_or_b32 s13, s13, s17
	s_or_b32 exec_lo, exec_lo, s30
	s_and_saveexec_b32 s17, s13
	s_cbranch_execnz .LBB4_7949
	s_branch .LBB4_7950
.LBB4_8588:                             ;   in Loop: Header=BB4_7553 Depth=3
	s_mov_b32 s13, -1
	s_mov_b32 s31, exec_lo
                                        ; implicit-def: $sgpr17
	v_cmpx_eq_u16_e32 0x80, v46
; %bb.8589:                             ;   in Loop: Header=BB4_7553 Depth=3
	s_mov_b32 s17, 0x7f800001
	s_xor_b32 s13, exec_lo, -1
; %bb.8590:                             ;   in Loop: Header=BB4_7553 Depth=3
	s_or_b32 exec_lo, exec_lo, s31
	s_delay_alu instid0(SALU_CYCLE_1)
	s_and_b32 s13, s13, exec_lo
                                        ; implicit-def: $vgpr46
	s_or_saveexec_b32 s30, s30
	v_mov_b32_e32 v133, s17
	s_xor_b32 exec_lo, exec_lo, s30
	s_cbranch_execz .LBB4_7952
.LBB4_8591:                             ;   in Loop: Header=BB4_7553 Depth=3
	v_cmp_ne_u16_e32 vcc_lo, 0, v46
	v_mov_b32_e32 v133, 0
	s_and_not1_b32 s13, s13, exec_lo
	s_and_b32 s17, vcc_lo, exec_lo
	s_delay_alu instid0(SALU_CYCLE_1)
	s_or_b32 s13, s13, s17
	s_or_b32 exec_lo, exec_lo, s30
	s_and_saveexec_b32 s17, s13
	s_cbranch_execnz .LBB4_7953
	s_branch .LBB4_7954
.LBB4_8592:                             ;   in Loop: Header=BB4_7553 Depth=3
	s_mov_b32 s13, -1
	s_mov_b32 s31, exec_lo
                                        ; implicit-def: $sgpr17
	v_cmpx_eq_u16_e32 0x80, v46
; %bb.8593:                             ;   in Loop: Header=BB4_7553 Depth=3
	s_mov_b32 s17, 0x7f800001
	s_xor_b32 s13, exec_lo, -1
; %bb.8594:                             ;   in Loop: Header=BB4_7553 Depth=3
	s_or_b32 exec_lo, exec_lo, s31
	s_delay_alu instid0(SALU_CYCLE_1)
	s_and_b32 s13, s13, exec_lo
                                        ; implicit-def: $vgpr46
	s_or_saveexec_b32 s30, s30
	v_mov_b32_e32 v45, s17
	s_xor_b32 exec_lo, exec_lo, s30
	s_cbranch_execz .LBB4_7964
.LBB4_8595:                             ;   in Loop: Header=BB4_7553 Depth=3
	v_cmp_ne_u16_e32 vcc_lo, 0, v46
	v_mov_b32_e32 v45, 0
	s_and_not1_b32 s13, s13, exec_lo
	s_and_b32 s17, vcc_lo, exec_lo
	s_delay_alu instid0(SALU_CYCLE_1)
	s_or_b32 s13, s13, s17
	s_or_b32 exec_lo, exec_lo, s30
	s_and_saveexec_b32 s17, s13
	s_cbranch_execnz .LBB4_7965
	s_branch .LBB4_7966
.LBB4_8596:                             ;   in Loop: Header=BB4_7553 Depth=3
	s_mov_b32 s13, -1
	s_mov_b32 s31, exec_lo
                                        ; implicit-def: $sgpr17
	v_cmpx_eq_u16_e64 0x80, v145
; %bb.8597:                             ;   in Loop: Header=BB4_7553 Depth=3
	s_mov_b32 s17, 0x7f800001
	s_xor_b32 s13, exec_lo, -1
; %bb.8598:                             ;   in Loop: Header=BB4_7553 Depth=3
	s_or_b32 exec_lo, exec_lo, s31
	s_delay_alu instid0(SALU_CYCLE_1)
	s_and_b32 s13, s13, exec_lo
	s_or_saveexec_b32 s30, s30
	v_mov_b32_e32 v46, s17
	s_xor_b32 exec_lo, exec_lo, s30
	s_cbranch_execz .LBB4_7968
.LBB4_8599:                             ;   in Loop: Header=BB4_7553 Depth=3
	v_cmp_ne_u16_e64 vcc_lo, 0, v145
	v_mov_b32_e32 v46, 0
	s_and_not1_b32 s13, s13, exec_lo
	s_delay_alu instid0(VALU_DEP_2) | instskip(NEXT) | instid1(SALU_CYCLE_1)
	s_and_b32 s17, vcc_lo, exec_lo
	s_or_b32 s13, s13, s17
	s_or_b32 exec_lo, exec_lo, s30
	s_and_saveexec_b32 s17, s13
	s_cbranch_execnz .LBB4_7969
	s_branch .LBB4_7970
.LBB4_8600:                             ;   in Loop: Header=BB4_7553 Depth=3
	s_mov_b32 s13, -1
	s_mov_b32 s31, exec_lo
                                        ; implicit-def: $sgpr17
	v_cmpx_eq_u16_e32 0x80, v46
; %bb.8601:                             ;   in Loop: Header=BB4_7553 Depth=3
	s_mov_b32 s17, 0x7f800001
	s_xor_b32 s13, exec_lo, -1
; %bb.8602:                             ;   in Loop: Header=BB4_7553 Depth=3
	s_or_b32 exec_lo, exec_lo, s31
	s_delay_alu instid0(SALU_CYCLE_1)
	s_and_b32 s13, s13, exec_lo
                                        ; implicit-def: $vgpr46
	s_or_saveexec_b32 s30, s30
	v_mov_b32_e32 v45, s17
	s_xor_b32 exec_lo, exec_lo, s30
	s_cbranch_execz .LBB4_7980
.LBB4_8603:                             ;   in Loop: Header=BB4_7553 Depth=3
	v_cmp_ne_u16_e32 vcc_lo, 0, v46
	v_mov_b32_e32 v45, 0
	s_and_not1_b32 s13, s13, exec_lo
	s_and_b32 s17, vcc_lo, exec_lo
	s_delay_alu instid0(SALU_CYCLE_1)
	s_or_b32 s13, s13, s17
	s_or_b32 exec_lo, exec_lo, s30
	s_and_saveexec_b32 s17, s13
	s_cbranch_execnz .LBB4_7981
	s_branch .LBB4_7982
.LBB4_8604:                             ;   in Loop: Header=BB4_7553 Depth=3
	s_mov_b32 s13, -1
	s_mov_b32 s31, exec_lo
                                        ; implicit-def: $sgpr17
	v_cmpx_eq_u16_e32 0x80, v47
; %bb.8605:                             ;   in Loop: Header=BB4_7553 Depth=3
	s_mov_b32 s17, 0x7f800001
	s_xor_b32 s13, exec_lo, -1
; %bb.8606:                             ;   in Loop: Header=BB4_7553 Depth=3
	s_or_b32 exec_lo, exec_lo, s31
	s_delay_alu instid0(SALU_CYCLE_1)
	s_and_b32 s13, s13, exec_lo
                                        ; implicit-def: $vgpr47
	s_or_saveexec_b32 s30, s30
	v_mov_b32_e32 v46, s17
	s_xor_b32 exec_lo, exec_lo, s30
	s_cbranch_execz .LBB4_7984
.LBB4_8607:                             ;   in Loop: Header=BB4_7553 Depth=3
	v_cmp_ne_u16_e32 vcc_lo, 0, v47
	v_mov_b32_e32 v46, 0
	s_and_not1_b32 s13, s13, exec_lo
	s_and_b32 s17, vcc_lo, exec_lo
	s_delay_alu instid0(SALU_CYCLE_1)
	s_or_b32 s13, s13, s17
	s_or_b32 exec_lo, exec_lo, s30
	s_and_saveexec_b32 s17, s13
	s_cbranch_execnz .LBB4_7985
	s_branch .LBB4_7986
.LBB4_8608:                             ;   in Loop: Header=BB4_7553 Depth=3
	s_mov_b32 s13, -1
	s_mov_b32 s31, exec_lo
                                        ; implicit-def: $sgpr17
	v_cmpx_eq_u16_e32 0x80, v46
; %bb.8609:                             ;   in Loop: Header=BB4_7553 Depth=3
	s_mov_b32 s17, 0x7f800001
	s_xor_b32 s13, exec_lo, -1
; %bb.8610:                             ;   in Loop: Header=BB4_7553 Depth=3
	s_or_b32 exec_lo, exec_lo, s31
	s_delay_alu instid0(SALU_CYCLE_1)
	s_and_b32 s13, s13, exec_lo
	s_or_saveexec_b32 s30, s30
	v_mov_b32_e32 v45, s17
	s_xor_b32 exec_lo, exec_lo, s30
	s_cbranch_execz .LBB4_7996
.LBB4_8611:                             ;   in Loop: Header=BB4_7553 Depth=3
	v_cmp_ne_u16_e32 vcc_lo, 0, v46
	v_mov_b32_e32 v45, 0
	s_and_not1_b32 s13, s13, exec_lo
	s_and_b32 s17, vcc_lo, exec_lo
	s_delay_alu instid0(SALU_CYCLE_1)
	s_or_b32 s13, s13, s17
	s_or_b32 exec_lo, exec_lo, s30
	s_and_saveexec_b32 s17, s13
	s_cbranch_execnz .LBB4_7997
	s_branch .LBB4_7998
.LBB4_8612:                             ;   in Loop: Header=BB4_7553 Depth=3
	s_mov_b32 s13, -1
	s_mov_b32 s31, exec_lo
                                        ; implicit-def: $sgpr17
	v_cmpx_eq_u16_e64 0x80, v177
; %bb.8613:                             ;   in Loop: Header=BB4_7553 Depth=3
	s_mov_b32 s17, 0x7f800001
	s_xor_b32 s13, exec_lo, -1
; %bb.8614:                             ;   in Loop: Header=BB4_7553 Depth=3
	s_or_b32 exec_lo, exec_lo, s31
	s_delay_alu instid0(SALU_CYCLE_1)
	s_and_b32 s13, s13, exec_lo
	s_or_saveexec_b32 s30, s30
	v_mov_b32_e32 v46, s17
	s_xor_b32 exec_lo, exec_lo, s30
	s_cbranch_execz .LBB4_8000
.LBB4_8615:                             ;   in Loop: Header=BB4_7553 Depth=3
	v_cmp_ne_u16_e64 vcc_lo, 0, v177
	v_mov_b32_e32 v46, 0
	s_and_not1_b32 s13, s13, exec_lo
	s_delay_alu instid0(VALU_DEP_2) | instskip(NEXT) | instid1(SALU_CYCLE_1)
	s_and_b32 s17, vcc_lo, exec_lo
	s_or_b32 s13, s13, s17
	s_or_b32 exec_lo, exec_lo, s30
	s_and_saveexec_b32 s17, s13
	s_cbranch_execnz .LBB4_8001
	s_branch .LBB4_8002
.LBB4_8616:                             ;   in Loop: Header=BB4_7553 Depth=3
	s_mov_b32 s13, -1
	s_mov_b32 s31, exec_lo
                                        ; implicit-def: $sgpr17
	v_cmpx_eq_u16_e64 0x80, v177
; %bb.8617:                             ;   in Loop: Header=BB4_7553 Depth=3
	s_mov_b32 s17, 0x7f800001
	s_xor_b32 s13, exec_lo, -1
; %bb.8618:                             ;   in Loop: Header=BB4_7553 Depth=3
	s_or_b32 exec_lo, exec_lo, s31
	s_delay_alu instid0(SALU_CYCLE_1)
	s_and_b32 s13, s13, exec_lo
                                        ; implicit-def: $vgpr177
	s_or_saveexec_b32 s30, s30
	v_mov_b32_e32 v166, s17
	s_xor_b32 exec_lo, exec_lo, s30
	s_cbranch_execz .LBB4_8012
.LBB4_8619:                             ;   in Loop: Header=BB4_7553 Depth=3
	v_cmp_ne_u16_e64 vcc_lo, 0, v177
	v_mov_b32_e32 v166, 0
	s_and_not1_b32 s13, s13, exec_lo
	s_delay_alu instid0(VALU_DEP_2) | instskip(NEXT) | instid1(SALU_CYCLE_1)
	s_and_b32 s17, vcc_lo, exec_lo
	s_or_b32 s13, s13, s17
	s_or_b32 exec_lo, exec_lo, s30
	s_and_saveexec_b32 s17, s13
	s_cbranch_execnz .LBB4_8013
	s_branch .LBB4_8014
.LBB4_8620:                             ;   in Loop: Header=BB4_7553 Depth=3
	s_mov_b32 s13, -1
	s_mov_b32 s31, exec_lo
                                        ; implicit-def: $sgpr17
	v_cmpx_eq_u16_e32 0x80, v45
; %bb.8621:                             ;   in Loop: Header=BB4_7553 Depth=3
	s_mov_b32 s17, 0x7f800001
	s_xor_b32 s13, exec_lo, -1
; %bb.8622:                             ;   in Loop: Header=BB4_7553 Depth=3
	s_or_b32 exec_lo, exec_lo, s31
	s_delay_alu instid0(SALU_CYCLE_1)
	s_and_b32 s13, s13, exec_lo
                                        ; implicit-def: $vgpr45
	s_or_saveexec_b32 s30, s30
	v_mov_b32_e32 v177, s17
	s_xor_b32 exec_lo, exec_lo, s30
	s_cbranch_execz .LBB4_8016
.LBB4_8623:                             ;   in Loop: Header=BB4_7553 Depth=3
	v_cmp_ne_u16_e32 vcc_lo, 0, v45
	v_mov_b32_e32 v177, 0
	s_and_not1_b32 s13, s13, exec_lo
	s_and_b32 s17, vcc_lo, exec_lo
	s_delay_alu instid0(SALU_CYCLE_1)
	s_or_b32 s13, s13, s17
	s_or_b32 exec_lo, exec_lo, s30
	s_and_saveexec_b32 s17, s13
	s_cbranch_execnz .LBB4_8017
	s_branch .LBB4_8018
.LBB4_8624:                             ;   in Loop: Header=BB4_7553 Depth=3
	s_mov_b32 s13, -1
	s_mov_b32 s31, exec_lo
                                        ; implicit-def: $sgpr17
	v_cmpx_eq_u16_e32 0x80, v45
; %bb.8625:                             ;   in Loop: Header=BB4_7553 Depth=3
	s_mov_b32 s17, 0x7f800001
	s_xor_b32 s13, exec_lo, -1
; %bb.8626:                             ;   in Loop: Header=BB4_7553 Depth=3
	s_or_b32 exec_lo, exec_lo, s31
	s_delay_alu instid0(SALU_CYCLE_1)
	s_and_b32 s13, s13, exec_lo
	s_or_saveexec_b32 s30, s30
	v_mov_b32_e32 v177, s17
	s_xor_b32 exec_lo, exec_lo, s30
	s_cbranch_execz .LBB4_8028
.LBB4_8627:                             ;   in Loop: Header=BB4_7553 Depth=3
	v_cmp_ne_u16_e32 vcc_lo, 0, v45
	v_mov_b32_e32 v177, 0
	s_and_not1_b32 s13, s13, exec_lo
	s_and_b32 s17, vcc_lo, exec_lo
	s_delay_alu instid0(SALU_CYCLE_1)
	s_or_b32 s13, s13, s17
	s_or_b32 exec_lo, exec_lo, s30
	s_and_saveexec_b32 s17, s13
	s_cbranch_execnz .LBB4_8029
	s_branch .LBB4_8030
.LBB4_8628:                             ;   in Loop: Header=BB4_7553 Depth=3
	s_mov_b32 s13, -1
	s_mov_b32 s31, exec_lo
                                        ; implicit-def: $sgpr17
	v_cmpx_eq_u16_e32 0x80, v45
; %bb.8629:                             ;   in Loop: Header=BB4_7553 Depth=3
	s_mov_b32 s17, 0x7f800001
	s_xor_b32 s13, exec_lo, -1
; %bb.8630:                             ;   in Loop: Header=BB4_7553 Depth=3
	s_or_b32 exec_lo, exec_lo, s31
	s_delay_alu instid0(SALU_CYCLE_1)
	s_and_b32 s13, s13, exec_lo
	s_or_saveexec_b32 s30, s30
	v_mov_b32_e32 v46, s17
	s_xor_b32 exec_lo, exec_lo, s30
	s_cbranch_execz .LBB4_8032
.LBB4_8631:                             ;   in Loop: Header=BB4_7553 Depth=3
	v_cmp_ne_u16_e32 vcc_lo, 0, v45
	v_mov_b32_e32 v46, 0
	s_and_not1_b32 s13, s13, exec_lo
	s_and_b32 s17, vcc_lo, exec_lo
	s_delay_alu instid0(SALU_CYCLE_1)
	s_or_b32 s13, s13, s17
	s_or_b32 exec_lo, exec_lo, s30
	s_and_saveexec_b32 s17, s13
	s_cbranch_execnz .LBB4_8033
	s_branch .LBB4_8034
.LBB4_8632:                             ;   in Loop: Header=BB4_7553 Depth=3
	s_mov_b32 s13, -1
	s_mov_b32 s31, exec_lo
                                        ; implicit-def: $sgpr17
	v_cmpx_eq_u16_e32 0x80, v45
; %bb.8633:                             ;   in Loop: Header=BB4_7553 Depth=3
	s_mov_b32 s17, 0x7f800001
	s_xor_b32 s13, exec_lo, -1
; %bb.8634:                             ;   in Loop: Header=BB4_7553 Depth=3
	s_or_b32 exec_lo, exec_lo, s31
	s_delay_alu instid0(SALU_CYCLE_1)
	s_and_b32 s13, s13, exec_lo
                                        ; implicit-def: $vgpr45
	s_or_saveexec_b32 s30, s30
	v_mov_b32_e32 v182, s17
	s_xor_b32 exec_lo, exec_lo, s30
	s_cbranch_execz .LBB4_8044
.LBB4_8635:                             ;   in Loop: Header=BB4_7553 Depth=3
	v_cmp_ne_u16_e32 vcc_lo, 0, v45
	v_mov_b32_e32 v182, 0
	s_and_not1_b32 s13, s13, exec_lo
	s_and_b32 s17, vcc_lo, exec_lo
	s_delay_alu instid0(SALU_CYCLE_1)
	s_or_b32 s13, s13, s17
	s_or_b32 exec_lo, exec_lo, s30
	v_lshl_or_b32 v43, v43, 16, v44
	s_and_saveexec_b32 s17, s13
	s_cbranch_execnz .LBB4_8045
	s_branch .LBB4_8046
.LBB4_8636:                             ;   in Loop: Header=BB4_7553 Depth=3
	s_mov_b32 s13, -1
	s_mov_b32 s31, exec_lo
                                        ; implicit-def: $sgpr17
	v_cmpx_eq_u16_e32 0x80, v46
; %bb.8637:                             ;   in Loop: Header=BB4_7553 Depth=3
	s_mov_b32 s17, 0x7f800001
	s_xor_b32 s13, exec_lo, -1
; %bb.8638:                             ;   in Loop: Header=BB4_7553 Depth=3
	s_or_b32 exec_lo, exec_lo, s31
	s_delay_alu instid0(SALU_CYCLE_1)
	s_and_b32 s13, s13, exec_lo
                                        ; implicit-def: $vgpr46
	s_or_saveexec_b32 s30, s30
	v_mov_b32_e32 v45, s17
	s_xor_b32 exec_lo, exec_lo, s30
	s_cbranch_execz .LBB4_8048
.LBB4_8639:                             ;   in Loop: Header=BB4_7553 Depth=3
	v_cmp_ne_u16_e32 vcc_lo, 0, v46
	v_mov_b32_e32 v45, 0
	s_and_not1_b32 s13, s13, exec_lo
	s_and_b32 s17, vcc_lo, exec_lo
	s_delay_alu instid0(SALU_CYCLE_1)
	s_or_b32 s13, s13, s17
	s_or_b32 exec_lo, exec_lo, s30
	s_and_saveexec_b32 s17, s13
	s_cbranch_execnz .LBB4_8049
	s_branch .LBB4_8050
.LBB4_8640:                             ;   in Loop: Header=BB4_7553 Depth=3
	s_mov_b32 s13, -1
	s_mov_b32 s31, exec_lo
                                        ; implicit-def: $sgpr17
	v_cmpx_eq_u16_e32 0x80, v45
; %bb.8641:                             ;   in Loop: Header=BB4_7553 Depth=3
	s_mov_b32 s17, 0x7f800001
	s_xor_b32 s13, exec_lo, -1
; %bb.8642:                             ;   in Loop: Header=BB4_7553 Depth=3
	s_or_b32 exec_lo, exec_lo, s31
	s_delay_alu instid0(SALU_CYCLE_1)
	s_and_b32 s13, s13, exec_lo
	s_or_saveexec_b32 s30, s30
	v_mov_b32_e32 v44, s17
	s_xor_b32 exec_lo, exec_lo, s30
	s_cbranch_execz .LBB4_8060
.LBB4_8643:                             ;   in Loop: Header=BB4_7553 Depth=3
	v_cmp_ne_u16_e32 vcc_lo, 0, v45
	v_mov_b32_e32 v44, 0
	s_and_not1_b32 s13, s13, exec_lo
	s_and_b32 s17, vcc_lo, exec_lo
	s_delay_alu instid0(SALU_CYCLE_1)
	s_or_b32 s13, s13, s17
	s_or_b32 exec_lo, exec_lo, s30
	s_and_saveexec_b32 s17, s13
	s_cbranch_execnz .LBB4_8061
	s_branch .LBB4_8062
.LBB4_8644:                             ;   in Loop: Header=BB4_7553 Depth=3
	s_mov_b32 s13, -1
	s_mov_b32 s31, exec_lo
                                        ; implicit-def: $sgpr17
	v_cmpx_eq_u16_e32 0x80, v43
; %bb.8645:                             ;   in Loop: Header=BB4_7553 Depth=3
	s_mov_b32 s17, 0x7f800001
	s_xor_b32 s13, exec_lo, -1
; %bb.8646:                             ;   in Loop: Header=BB4_7553 Depth=3
	s_or_b32 exec_lo, exec_lo, s31
	s_delay_alu instid0(SALU_CYCLE_1)
	s_and_b32 s13, s13, exec_lo
	s_or_saveexec_b32 s30, s30
	v_mov_b32_e32 v45, s17
	s_xor_b32 exec_lo, exec_lo, s30
	s_cbranch_execz .LBB4_8064
.LBB4_8647:                             ;   in Loop: Header=BB4_7553 Depth=3
	v_cmp_ne_u16_e32 vcc_lo, 0, v43
	v_mov_b32_e32 v45, 0
	s_and_not1_b32 s13, s13, exec_lo
	s_and_b32 s17, vcc_lo, exec_lo
	s_delay_alu instid0(SALU_CYCLE_1)
	s_or_b32 s13, s13, s17
	s_or_b32 exec_lo, exec_lo, s30
	s_and_saveexec_b32 s17, s13
	s_cbranch_execnz .LBB4_8065
	s_branch .LBB4_8066
.LBB4_8648:                             ;   in Loop: Header=BB4_7553 Depth=3
	s_mov_b32 s13, -1
	s_mov_b32 s31, exec_lo
                                        ; implicit-def: $sgpr17
	v_cmpx_eq_u16_e32 0x80, v44
; %bb.8649:                             ;   in Loop: Header=BB4_7553 Depth=3
	s_mov_b32 s17, 0x7f800001
	s_xor_b32 s13, exec_lo, -1
; %bb.8650:                             ;   in Loop: Header=BB4_7553 Depth=3
	s_or_b32 exec_lo, exec_lo, s31
	s_delay_alu instid0(SALU_CYCLE_1)
	s_and_b32 s13, s13, exec_lo
                                        ; implicit-def: $vgpr44
	s_or_saveexec_b32 s30, s30
	v_mov_b32_e32 v43, s17
	s_xor_b32 exec_lo, exec_lo, s30
	s_cbranch_execz .LBB4_8076
.LBB4_8651:                             ;   in Loop: Header=BB4_7553 Depth=3
	v_cmp_ne_u16_e32 vcc_lo, 0, v44
	v_mov_b32_e32 v43, 0
	s_and_not1_b32 s13, s13, exec_lo
	s_and_b32 s17, vcc_lo, exec_lo
	s_delay_alu instid0(SALU_CYCLE_1)
	s_or_b32 s13, s13, s17
	s_or_b32 exec_lo, exec_lo, s30
	s_and_saveexec_b32 s17, s13
	s_cbranch_execnz .LBB4_8077
	s_branch .LBB4_8078
.LBB4_8652:                             ;   in Loop: Header=BB4_7553 Depth=3
	s_mov_b32 s13, -1
	s_mov_b32 s31, exec_lo
                                        ; implicit-def: $sgpr17
	v_cmpx_eq_u16_e32 0x80, v44
; %bb.8653:                             ;   in Loop: Header=BB4_7553 Depth=3
	s_mov_b32 s17, 0x7f800001
	s_xor_b32 s13, exec_lo, -1
; %bb.8654:                             ;   in Loop: Header=BB4_7553 Depth=3
	s_or_b32 exec_lo, exec_lo, s31
	s_delay_alu instid0(SALU_CYCLE_1)
	s_and_b32 s13, s13, exec_lo
                                        ; implicit-def: $vgpr44
	s_or_saveexec_b32 s30, s30
	v_mov_b32_e32 v42, s17
	s_xor_b32 exec_lo, exec_lo, s30
	s_cbranch_execz .LBB4_8080
.LBB4_8655:                             ;   in Loop: Header=BB4_7553 Depth=3
	v_cmp_ne_u16_e32 vcc_lo, 0, v44
	v_mov_b32_e32 v42, 0
	s_and_not1_b32 s13, s13, exec_lo
	s_and_b32 s17, vcc_lo, exec_lo
	s_delay_alu instid0(SALU_CYCLE_1)
	s_or_b32 s13, s13, s17
	s_or_b32 exec_lo, exec_lo, s30
	s_and_saveexec_b32 s17, s13
	s_cbranch_execnz .LBB4_8081
	s_branch .LBB4_8082
.LBB4_8656:                             ;   in Loop: Header=BB4_7553 Depth=3
	s_mov_b32 s13, -1
	s_mov_b32 s31, exec_lo
                                        ; implicit-def: $sgpr17
	v_cmpx_eq_u16_e32 0x80, v44
; %bb.8657:                             ;   in Loop: Header=BB4_7553 Depth=3
	s_mov_b32 s17, 0x7f800001
	s_xor_b32 s13, exec_lo, -1
; %bb.8658:                             ;   in Loop: Header=BB4_7553 Depth=3
	s_or_b32 exec_lo, exec_lo, s31
	s_delay_alu instid0(SALU_CYCLE_1)
	s_and_b32 s13, s13, exec_lo
                                        ; implicit-def: $vgpr44
	s_or_saveexec_b32 s30, s30
	v_mov_b32_e32 v43, s17
	s_xor_b32 exec_lo, exec_lo, s30
	s_cbranch_execz .LBB4_8092
.LBB4_8659:                             ;   in Loop: Header=BB4_7553 Depth=3
	v_cmp_ne_u16_e32 vcc_lo, 0, v44
	v_mov_b32_e32 v43, 0
	s_and_not1_b32 s13, s13, exec_lo
	s_and_b32 s17, vcc_lo, exec_lo
	s_delay_alu instid0(SALU_CYCLE_1)
	s_or_b32 s13, s13, s17
	s_or_b32 exec_lo, exec_lo, s30
	s_and_saveexec_b32 s17, s13
	s_cbranch_execnz .LBB4_8093
	s_branch .LBB4_8094
.LBB4_8660:                             ;   in Loop: Header=BB4_7553 Depth=3
	s_mov_b32 s13, -1
	s_mov_b32 s31, exec_lo
                                        ; implicit-def: $sgpr17
	v_cmpx_eq_u16_e32 0x80, v40
; %bb.8661:                             ;   in Loop: Header=BB4_7553 Depth=3
	s_mov_b32 s17, 0x7f800001
	s_xor_b32 s13, exec_lo, -1
; %bb.8662:                             ;   in Loop: Header=BB4_7553 Depth=3
	s_or_b32 exec_lo, exec_lo, s31
	s_delay_alu instid0(SALU_CYCLE_1)
	s_and_b32 s13, s13, exec_lo
	s_or_saveexec_b32 s30, s30
	v_mov_b32_e32 v44, s17
	s_xor_b32 exec_lo, exec_lo, s30
	s_cbranch_execz .LBB4_8096
.LBB4_8663:                             ;   in Loop: Header=BB4_7553 Depth=3
	v_cmp_ne_u16_e32 vcc_lo, 0, v40
	v_mov_b32_e32 v44, 0
	s_and_not1_b32 s13, s13, exec_lo
	s_and_b32 s17, vcc_lo, exec_lo
	s_delay_alu instid0(SALU_CYCLE_1)
	s_or_b32 s13, s13, s17
	s_or_b32 exec_lo, exec_lo, s30
	s_and_saveexec_b32 s17, s13
	s_cbranch_execnz .LBB4_8097
	s_branch .LBB4_8098
.LBB4_8664:                             ;   in Loop: Header=BB4_7553 Depth=3
	s_mov_b32 s13, -1
	s_mov_b32 s31, exec_lo
                                        ; implicit-def: $sgpr17
	v_cmpx_eq_u16_e32 0x80, v44
; %bb.8665:                             ;   in Loop: Header=BB4_7553 Depth=3
	s_mov_b32 s17, 0x7f800001
	s_xor_b32 s13, exec_lo, -1
; %bb.8666:                             ;   in Loop: Header=BB4_7553 Depth=3
	s_or_b32 exec_lo, exec_lo, s31
	s_delay_alu instid0(SALU_CYCLE_1)
	s_and_b32 s13, s13, exec_lo
                                        ; implicit-def: $vgpr44
	s_or_saveexec_b32 s30, s30
	v_mov_b32_e32 v43, s17
	s_xor_b32 exec_lo, exec_lo, s30
	s_cbranch_execz .LBB4_8108
.LBB4_8667:                             ;   in Loop: Header=BB4_7553 Depth=3
	v_cmp_ne_u16_e32 vcc_lo, 0, v44
	v_mov_b32_e32 v43, 0
	s_and_not1_b32 s13, s13, exec_lo
	s_and_b32 s17, vcc_lo, exec_lo
	s_delay_alu instid0(SALU_CYCLE_1)
	s_or_b32 s13, s13, s17
	s_or_b32 exec_lo, exec_lo, s30
	s_and_saveexec_b32 s17, s13
	s_cbranch_execnz .LBB4_8109
	s_branch .LBB4_8110
.LBB4_8668:                             ;   in Loop: Header=BB4_7553 Depth=3
	s_mov_b32 s13, -1
	s_mov_b32 s31, exec_lo
                                        ; implicit-def: $sgpr17
	v_cmpx_eq_u16_e32 0x80, v45
; %bb.8669:                             ;   in Loop: Header=BB4_7553 Depth=3
	s_mov_b32 s17, 0x7f800001
	s_xor_b32 s13, exec_lo, -1
; %bb.8670:                             ;   in Loop: Header=BB4_7553 Depth=3
	s_or_b32 exec_lo, exec_lo, s31
	s_delay_alu instid0(SALU_CYCLE_1)
	s_and_b32 s13, s13, exec_lo
                                        ; implicit-def: $vgpr45
	s_or_saveexec_b32 s30, s30
	v_mov_b32_e32 v44, s17
	s_xor_b32 exec_lo, exec_lo, s30
	s_cbranch_execz .LBB4_8112
.LBB4_8671:                             ;   in Loop: Header=BB4_7553 Depth=3
	v_cmp_ne_u16_e32 vcc_lo, 0, v45
	v_mov_b32_e32 v44, 0
	s_and_not1_b32 s13, s13, exec_lo
	s_and_b32 s17, vcc_lo, exec_lo
	s_delay_alu instid0(SALU_CYCLE_1)
	s_or_b32 s13, s13, s17
	s_or_b32 exec_lo, exec_lo, s30
	s_and_saveexec_b32 s17, s13
	s_cbranch_execnz .LBB4_8113
	s_branch .LBB4_8114
.LBB4_8672:                             ;   in Loop: Header=BB4_7553 Depth=3
	s_mov_b32 s13, -1
	s_mov_b32 s31, exec_lo
                                        ; implicit-def: $sgpr17
	v_cmpx_eq_u16_e32 0x80, v44
; %bb.8673:                             ;   in Loop: Header=BB4_7553 Depth=3
	s_mov_b32 s17, 0x7f800001
	s_xor_b32 s13, exec_lo, -1
; %bb.8674:                             ;   in Loop: Header=BB4_7553 Depth=3
	s_or_b32 exec_lo, exec_lo, s31
	s_delay_alu instid0(SALU_CYCLE_1)
	s_and_b32 s13, s13, exec_lo
	s_or_saveexec_b32 s30, s30
	v_mov_b32_e32 v43, s17
	s_xor_b32 exec_lo, exec_lo, s30
	s_cbranch_execz .LBB4_8124
.LBB4_8675:                             ;   in Loop: Header=BB4_7553 Depth=3
	v_cmp_ne_u16_e32 vcc_lo, 0, v44
	v_mov_b32_e32 v43, 0
	s_and_not1_b32 s13, s13, exec_lo
	s_and_b32 s17, vcc_lo, exec_lo
	s_delay_alu instid0(SALU_CYCLE_1)
	s_or_b32 s13, s13, s17
	s_or_b32 exec_lo, exec_lo, s30
	s_and_saveexec_b32 s17, s13
	s_cbranch_execnz .LBB4_8125
	s_branch .LBB4_8126
.LBB4_8676:                             ;   in Loop: Header=BB4_7553 Depth=3
	s_mov_b32 s13, -1
	s_mov_b32 s31, exec_lo
                                        ; implicit-def: $sgpr17
	v_cmpx_eq_u16_e64 0x80, v180
; %bb.8677:                             ;   in Loop: Header=BB4_7553 Depth=3
	s_mov_b32 s17, 0x7f800001
	s_xor_b32 s13, exec_lo, -1
; %bb.8678:                             ;   in Loop: Header=BB4_7553 Depth=3
	s_or_b32 exec_lo, exec_lo, s31
	s_delay_alu instid0(SALU_CYCLE_1)
	s_and_b32 s13, s13, exec_lo
	s_or_saveexec_b32 s30, s30
	v_mov_b32_e32 v44, s17
	s_xor_b32 exec_lo, exec_lo, s30
	s_cbranch_execz .LBB4_8128
.LBB4_8679:                             ;   in Loop: Header=BB4_7553 Depth=3
	v_cmp_ne_u16_e64 vcc_lo, 0, v180
	v_mov_b32_e32 v44, 0
	s_and_not1_b32 s13, s13, exec_lo
	s_delay_alu instid0(VALU_DEP_2) | instskip(NEXT) | instid1(SALU_CYCLE_1)
	s_and_b32 s17, vcc_lo, exec_lo
	s_or_b32 s13, s13, s17
	s_or_b32 exec_lo, exec_lo, s30
	s_and_saveexec_b32 s17, s13
	s_cbranch_execnz .LBB4_8129
	s_branch .LBB4_8130
.LBB4_8680:                             ;   in Loop: Header=BB4_7553 Depth=3
	s_mov_b32 s13, -1
	s_mov_b32 s31, exec_lo
                                        ; implicit-def: $sgpr17
	v_cmpx_eq_u16_e64 0x80, v180
; %bb.8681:                             ;   in Loop: Header=BB4_7553 Depth=3
	s_mov_b32 s17, 0x7f800001
	s_xor_b32 s13, exec_lo, -1
; %bb.8682:                             ;   in Loop: Header=BB4_7553 Depth=3
	s_or_b32 exec_lo, exec_lo, s31
	s_delay_alu instid0(SALU_CYCLE_1)
	s_and_b32 s13, s13, exec_lo
                                        ; implicit-def: $vgpr180
	s_or_saveexec_b32 s30, s30
	v_mov_b32_e32 v179, s17
	s_xor_b32 exec_lo, exec_lo, s30
	s_cbranch_execz .LBB4_8140
.LBB4_8683:                             ;   in Loop: Header=BB4_7553 Depth=3
	v_cmp_ne_u16_e64 vcc_lo, 0, v180
	v_mov_b32_e32 v179, 0
	s_and_not1_b32 s13, s13, exec_lo
	s_delay_alu instid0(VALU_DEP_2) | instskip(NEXT) | instid1(SALU_CYCLE_1)
	s_and_b32 s17, vcc_lo, exec_lo
	s_or_b32 s13, s13, s17
	s_or_b32 exec_lo, exec_lo, s30
	s_and_saveexec_b32 s17, s13
	s_cbranch_execnz .LBB4_8141
	s_branch .LBB4_8142
.LBB4_8684:                             ;   in Loop: Header=BB4_7553 Depth=3
	s_mov_b32 s13, -1
	s_mov_b32 s31, exec_lo
                                        ; implicit-def: $sgpr17
	v_cmpx_eq_u16_e32 0x80, v43
; %bb.8685:                             ;   in Loop: Header=BB4_7553 Depth=3
	s_mov_b32 s17, 0x7f800001
	s_xor_b32 s13, exec_lo, -1
; %bb.8686:                             ;   in Loop: Header=BB4_7553 Depth=3
	s_or_b32 exec_lo, exec_lo, s31
	s_delay_alu instid0(SALU_CYCLE_1)
	s_and_b32 s13, s13, exec_lo
                                        ; implicit-def: $vgpr43
	s_or_saveexec_b32 s30, s30
	v_mov_b32_e32 v180, s17
	s_xor_b32 exec_lo, exec_lo, s30
	s_cbranch_execz .LBB4_8144
.LBB4_8687:                             ;   in Loop: Header=BB4_7553 Depth=3
	v_cmp_ne_u16_e32 vcc_lo, 0, v43
	v_mov_b32_e32 v180, 0
	s_and_not1_b32 s13, s13, exec_lo
	s_and_b32 s17, vcc_lo, exec_lo
	s_delay_alu instid0(SALU_CYCLE_1)
	s_or_b32 s13, s13, s17
	s_or_b32 exec_lo, exec_lo, s30
	s_and_saveexec_b32 s17, s13
	s_cbranch_execnz .LBB4_8145
	s_branch .LBB4_8146
.LBB4_8688:                             ;   in Loop: Header=BB4_7553 Depth=3
	s_mov_b32 s13, -1
	s_mov_b32 s31, exec_lo
                                        ; implicit-def: $sgpr17
	v_cmpx_eq_u16_e32 0x80, v43
; %bb.8689:                             ;   in Loop: Header=BB4_7553 Depth=3
	s_mov_b32 s17, 0x7f800001
	s_xor_b32 s13, exec_lo, -1
; %bb.8690:                             ;   in Loop: Header=BB4_7553 Depth=3
	s_or_b32 exec_lo, exec_lo, s31
	s_delay_alu instid0(SALU_CYCLE_1)
	s_and_b32 s13, s13, exec_lo
	s_or_saveexec_b32 s30, s30
	v_mov_b32_e32 v180, s17
	s_xor_b32 exec_lo, exec_lo, s30
	s_cbranch_execz .LBB4_8156
.LBB4_8691:                             ;   in Loop: Header=BB4_7553 Depth=3
	v_cmp_ne_u16_e32 vcc_lo, 0, v43
	v_mov_b32_e32 v180, 0
	s_and_not1_b32 s13, s13, exec_lo
	s_and_b32 s17, vcc_lo, exec_lo
	s_delay_alu instid0(SALU_CYCLE_1)
	s_or_b32 s13, s13, s17
	s_or_b32 exec_lo, exec_lo, s30
	s_and_saveexec_b32 s17, s13
	s_cbranch_execnz .LBB4_8157
	s_branch .LBB4_8158
.LBB4_8692:                             ;   in Loop: Header=BB4_7553 Depth=3
	s_mov_b32 s13, -1
	s_mov_b32 s31, exec_lo
                                        ; implicit-def: $sgpr17
	v_cmpx_eq_u16_e32 0x80, v43
; %bb.8693:                             ;   in Loop: Header=BB4_7553 Depth=3
	s_mov_b32 s17, 0x7f800001
	s_xor_b32 s13, exec_lo, -1
; %bb.8694:                             ;   in Loop: Header=BB4_7553 Depth=3
	s_or_b32 exec_lo, exec_lo, s31
	s_delay_alu instid0(SALU_CYCLE_1)
	s_and_b32 s13, s13, exec_lo
	s_or_saveexec_b32 s30, s30
	v_mov_b32_e32 v44, s17
	s_xor_b32 exec_lo, exec_lo, s30
	s_cbranch_execz .LBB4_8160
.LBB4_8695:                             ;   in Loop: Header=BB4_7553 Depth=3
	v_cmp_ne_u16_e32 vcc_lo, 0, v43
	v_mov_b32_e32 v44, 0
	s_and_not1_b32 s13, s13, exec_lo
	s_and_b32 s17, vcc_lo, exec_lo
	s_delay_alu instid0(SALU_CYCLE_1)
	s_or_b32 s13, s13, s17
	s_or_b32 exec_lo, exec_lo, s30
	s_and_saveexec_b32 s17, s13
	s_cbranch_execnz .LBB4_8161
	s_branch .LBB4_8162
.LBB4_8696:                             ;   in Loop: Header=BB4_7553 Depth=3
	s_mov_b32 s13, -1
	s_mov_b32 s31, exec_lo
                                        ; implicit-def: $sgpr17
	v_cmpx_eq_u16_e32 0x80, v43
; %bb.8697:                             ;   in Loop: Header=BB4_7553 Depth=3
	s_mov_b32 s17, 0x7f800001
	s_xor_b32 s13, exec_lo, -1
; %bb.8698:                             ;   in Loop: Header=BB4_7553 Depth=3
	s_or_b32 exec_lo, exec_lo, s31
	s_delay_alu instid0(SALU_CYCLE_1)
	s_and_b32 s13, s13, exec_lo
                                        ; implicit-def: $vgpr43
	s_or_saveexec_b32 s30, s30
	v_mov_b32_e32 v178, s17
	s_xor_b32 exec_lo, exec_lo, s30
	s_cbranch_execz .LBB4_8172
.LBB4_8699:                             ;   in Loop: Header=BB4_7553 Depth=3
	v_cmp_ne_u16_e32 vcc_lo, 0, v43
	v_mov_b32_e32 v178, 0
	s_and_not1_b32 s13, s13, exec_lo
	s_and_b32 s17, vcc_lo, exec_lo
	s_delay_alu instid0(SALU_CYCLE_1)
	s_or_b32 s13, s13, s17
	s_or_b32 exec_lo, exec_lo, s30
	v_lshl_or_b32 v181, v181, 16, v41
	s_and_saveexec_b32 s17, s13
	s_cbranch_execnz .LBB4_8173
	s_branch .LBB4_8174
.LBB4_8700:                             ;   in Loop: Header=BB4_7553 Depth=3
	s_mov_b32 s13, -1
	s_mov_b32 s31, exec_lo
                                        ; implicit-def: $sgpr17
	v_cmpx_eq_u16_e32 0x80, v44
; %bb.8701:                             ;   in Loop: Header=BB4_7553 Depth=3
	s_mov_b32 s17, 0x7f800001
	s_xor_b32 s13, exec_lo, -1
; %bb.8702:                             ;   in Loop: Header=BB4_7553 Depth=3
	s_or_b32 exec_lo, exec_lo, s31
	s_delay_alu instid0(SALU_CYCLE_1)
	s_and_b32 s13, s13, exec_lo
                                        ; implicit-def: $vgpr44
	s_or_saveexec_b32 s30, s30
	v_mov_b32_e32 v43, s17
	s_xor_b32 exec_lo, exec_lo, s30
	s_cbranch_execz .LBB4_8176
.LBB4_8703:                             ;   in Loop: Header=BB4_7553 Depth=3
	v_cmp_ne_u16_e32 vcc_lo, 0, v44
	v_mov_b32_e32 v43, 0
	s_and_not1_b32 s13, s13, exec_lo
	s_and_b32 s17, vcc_lo, exec_lo
	s_delay_alu instid0(SALU_CYCLE_1)
	s_or_b32 s13, s13, s17
	s_or_b32 exec_lo, exec_lo, s30
	s_and_saveexec_b32 s17, s13
	s_cbranch_execnz .LBB4_8177
	s_branch .LBB4_8178
.LBB4_8704:                             ;   in Loop: Header=BB4_7553 Depth=3
	s_mov_b32 s13, -1
	s_mov_b32 s31, exec_lo
                                        ; implicit-def: $sgpr17
	v_cmpx_eq_u16_e32 0x80, v43
; %bb.8705:                             ;   in Loop: Header=BB4_7553 Depth=3
	s_mov_b32 s17, 0x7f800001
	s_xor_b32 s13, exec_lo, -1
; %bb.8706:                             ;   in Loop: Header=BB4_7553 Depth=3
	s_or_b32 exec_lo, exec_lo, s31
	s_delay_alu instid0(SALU_CYCLE_1)
	s_and_b32 s13, s13, exec_lo
	s_or_saveexec_b32 s30, s30
	v_mov_b32_e32 v41, s17
	s_xor_b32 exec_lo, exec_lo, s30
	s_cbranch_execz .LBB4_8188
.LBB4_8707:                             ;   in Loop: Header=BB4_7553 Depth=3
	v_cmp_ne_u16_e32 vcc_lo, 0, v43
	v_mov_b32_e32 v41, 0
	s_and_not1_b32 s13, s13, exec_lo
	s_and_b32 s17, vcc_lo, exec_lo
	s_delay_alu instid0(SALU_CYCLE_1)
	s_or_b32 s13, s13, s17
	s_or_b32 exec_lo, exec_lo, s30
	s_and_saveexec_b32 s17, s13
	s_cbranch_execnz .LBB4_8189
	s_branch .LBB4_8190
.LBB4_8708:                             ;   in Loop: Header=BB4_7553 Depth=3
	s_mov_b32 s13, -1
	s_mov_b32 s31, exec_lo
                                        ; implicit-def: $sgpr17
	v_cmpx_eq_u16_e64 0x80, v181
; %bb.8709:                             ;   in Loop: Header=BB4_7553 Depth=3
	s_mov_b32 s17, 0x7f800001
	s_xor_b32 s13, exec_lo, -1
; %bb.8710:                             ;   in Loop: Header=BB4_7553 Depth=3
	s_or_b32 exec_lo, exec_lo, s31
	s_delay_alu instid0(SALU_CYCLE_1)
	s_and_b32 s13, s13, exec_lo
	s_or_saveexec_b32 s30, s30
	v_mov_b32_e32 v43, s17
	s_xor_b32 exec_lo, exec_lo, s30
	s_cbranch_execz .LBB4_8192
.LBB4_8711:                             ;   in Loop: Header=BB4_7553 Depth=3
	v_cmp_ne_u16_e64 vcc_lo, 0, v181
	v_mov_b32_e32 v43, 0
	s_and_not1_b32 s13, s13, exec_lo
	s_delay_alu instid0(VALU_DEP_2) | instskip(NEXT) | instid1(SALU_CYCLE_1)
	s_and_b32 s17, vcc_lo, exec_lo
	s_or_b32 s13, s13, s17
	s_or_b32 exec_lo, exec_lo, s30
	s_and_saveexec_b32 s17, s13
	s_cbranch_execnz .LBB4_8193
	s_branch .LBB4_8194
.LBB4_8712:                             ;   in Loop: Header=BB4_7553 Depth=3
	s_mov_b32 s13, -1
	s_mov_b32 s31, exec_lo
                                        ; implicit-def: $sgpr17
	v_cmpx_eq_u16_e32 0x80, v41
; %bb.8713:                             ;   in Loop: Header=BB4_7553 Depth=3
	s_mov_b32 s17, 0x7f800001
	s_xor_b32 s13, exec_lo, -1
; %bb.8714:                             ;   in Loop: Header=BB4_7553 Depth=3
	s_or_b32 exec_lo, exec_lo, s31
	s_delay_alu instid0(SALU_CYCLE_1)
	s_and_b32 s13, s13, exec_lo
                                        ; implicit-def: $vgpr41
	s_or_saveexec_b32 s30, s30
	v_mov_b32_e32 v181, s17
	s_xor_b32 exec_lo, exec_lo, s30
	s_cbranch_execz .LBB4_8204
.LBB4_8715:                             ;   in Loop: Header=BB4_7553 Depth=3
	v_cmp_ne_u16_e32 vcc_lo, 0, v41
	v_mov_b32_e32 v181, 0
	s_and_not1_b32 s13, s13, exec_lo
	s_and_b32 s17, vcc_lo, exec_lo
	s_delay_alu instid0(SALU_CYCLE_1)
	s_or_b32 s13, s13, s17
	s_or_b32 exec_lo, exec_lo, s30
	s_and_saveexec_b32 s17, s13
	s_cbranch_execnz .LBB4_8205
	s_branch .LBB4_8206
.LBB4_8716:                             ;   in Loop: Header=BB4_7553 Depth=3
	s_mov_b32 s13, -1
	s_mov_b32 s31, exec_lo
                                        ; implicit-def: $sgpr17
	v_cmpx_eq_u16_e32 0x80, v41
; %bb.8717:                             ;   in Loop: Header=BB4_7553 Depth=3
	s_mov_b32 s17, 0x7f800001
	s_xor_b32 s13, exec_lo, -1
; %bb.8718:                             ;   in Loop: Header=BB4_7553 Depth=3
	s_or_b32 exec_lo, exec_lo, s31
	s_delay_alu instid0(SALU_CYCLE_1)
	s_and_b32 s13, s13, exec_lo
                                        ; implicit-def: $vgpr41
	s_or_saveexec_b32 s30, s30
	v_mov_b32_e32 v176, s17
	s_xor_b32 exec_lo, exec_lo, s30
	s_cbranch_execz .LBB4_8208
.LBB4_8719:                             ;   in Loop: Header=BB4_7553 Depth=3
	v_cmp_ne_u16_e32 vcc_lo, 0, v41
	v_mov_b32_e32 v176, 0
	s_and_not1_b32 s13, s13, exec_lo
	s_and_b32 s17, vcc_lo, exec_lo
	s_delay_alu instid0(SALU_CYCLE_1)
	s_or_b32 s13, s13, s17
	s_or_b32 exec_lo, exec_lo, s30
	s_and_saveexec_b32 s17, s13
	s_cbranch_execnz .LBB4_8209
	s_branch .LBB4_8210
.LBB4_8720:                             ;   in Loop: Header=BB4_7553 Depth=3
	s_mov_b32 s13, -1
	s_mov_b32 s31, exec_lo
                                        ; implicit-def: $sgpr17
	v_cmpx_eq_u16_e32 0x80, v41
; %bb.8721:                             ;   in Loop: Header=BB4_7553 Depth=3
	s_mov_b32 s17, 0x7f800001
	s_xor_b32 s13, exec_lo, -1
; %bb.8722:                             ;   in Loop: Header=BB4_7553 Depth=3
	s_or_b32 exec_lo, exec_lo, s31
	s_delay_alu instid0(SALU_CYCLE_1)
	s_and_b32 s13, s13, exec_lo
                                        ; implicit-def: $vgpr41
	s_or_saveexec_b32 s30, s30
	v_mov_b32_e32 v181, s17
	s_xor_b32 exec_lo, exec_lo, s30
	s_cbranch_execz .LBB4_8220
.LBB4_8723:                             ;   in Loop: Header=BB4_7553 Depth=3
	v_cmp_ne_u16_e32 vcc_lo, 0, v41
	v_mov_b32_e32 v181, 0
	s_and_not1_b32 s13, s13, exec_lo
	s_and_b32 s17, vcc_lo, exec_lo
	s_delay_alu instid0(SALU_CYCLE_1)
	s_or_b32 s13, s13, s17
	s_or_b32 exec_lo, exec_lo, s30
	s_and_saveexec_b32 s17, s13
	s_cbranch_execnz .LBB4_8221
	s_branch .LBB4_8222
.LBB4_8724:                             ;   in Loop: Header=BB4_7553 Depth=3
	s_mov_b32 s13, -1
	s_mov_b32 s31, exec_lo
                                        ; implicit-def: $sgpr17
	v_cmpx_eq_u16_e64 0x80, v165
; %bb.8725:                             ;   in Loop: Header=BB4_7553 Depth=3
	s_mov_b32 s17, 0x7f800001
	s_xor_b32 s13, exec_lo, -1
; %bb.8726:                             ;   in Loop: Header=BB4_7553 Depth=3
	s_or_b32 exec_lo, exec_lo, s31
	s_delay_alu instid0(SALU_CYCLE_1)
	s_and_b32 s13, s13, exec_lo
	s_or_saveexec_b32 s30, s30
	v_mov_b32_e32 v41, s17
	s_xor_b32 exec_lo, exec_lo, s30
	s_cbranch_execz .LBB4_8224
.LBB4_8727:                             ;   in Loop: Header=BB4_7553 Depth=3
	v_cmp_ne_u16_e64 vcc_lo, 0, v165
	v_mov_b32_e32 v41, 0
	s_and_not1_b32 s13, s13, exec_lo
	s_delay_alu instid0(VALU_DEP_2) | instskip(NEXT) | instid1(SALU_CYCLE_1)
	s_and_b32 s17, vcc_lo, exec_lo
	s_or_b32 s13, s13, s17
	s_or_b32 exec_lo, exec_lo, s30
	s_and_saveexec_b32 s17, s13
	s_cbranch_execnz .LBB4_8225
	s_branch .LBB4_8226
.LBB4_8728:                             ;   in Loop: Header=BB4_7553 Depth=3
	s_mov_b32 s13, -1
	s_mov_b32 s31, exec_lo
                                        ; implicit-def: $sgpr17
	v_cmpx_eq_u16_e32 0x80, v41
; %bb.8729:                             ;   in Loop: Header=BB4_7553 Depth=3
	s_mov_b32 s17, 0x7f800001
	s_xor_b32 s13, exec_lo, -1
; %bb.8730:                             ;   in Loop: Header=BB4_7553 Depth=3
	s_or_b32 exec_lo, exec_lo, s31
	s_delay_alu instid0(SALU_CYCLE_1)
	s_and_b32 s13, s13, exec_lo
                                        ; implicit-def: $vgpr41
	s_or_saveexec_b32 s30, s30
	v_mov_b32_e32 v181, s17
	s_xor_b32 exec_lo, exec_lo, s30
	s_cbranch_execz .LBB4_8236
.LBB4_8731:                             ;   in Loop: Header=BB4_7553 Depth=3
	v_cmp_ne_u16_e32 vcc_lo, 0, v41
	v_mov_b32_e32 v181, 0
	s_and_not1_b32 s13, s13, exec_lo
	s_and_b32 s17, vcc_lo, exec_lo
	s_delay_alu instid0(SALU_CYCLE_1)
	s_or_b32 s13, s13, s17
	s_or_b32 exec_lo, exec_lo, s30
	s_and_saveexec_b32 s17, s13
	s_cbranch_execnz .LBB4_8237
	s_branch .LBB4_8238
.LBB4_8732:                             ;   in Loop: Header=BB4_7553 Depth=3
	s_mov_b32 s13, -1
	s_mov_b32 s31, exec_lo
                                        ; implicit-def: $sgpr17
	v_cmpx_eq_u16_e32 0x80, v43
; %bb.8733:                             ;   in Loop: Header=BB4_7553 Depth=3
	s_mov_b32 s17, 0x7f800001
	s_xor_b32 s13, exec_lo, -1
; %bb.8734:                             ;   in Loop: Header=BB4_7553 Depth=3
	s_or_b32 exec_lo, exec_lo, s31
	s_delay_alu instid0(SALU_CYCLE_1)
	s_and_b32 s13, s13, exec_lo
                                        ; implicit-def: $vgpr43
	s_or_saveexec_b32 s30, s30
	v_mov_b32_e32 v41, s17
	s_xor_b32 exec_lo, exec_lo, s30
	s_cbranch_execz .LBB4_8240
.LBB4_8735:                             ;   in Loop: Header=BB4_7553 Depth=3
	v_cmp_ne_u16_e32 vcc_lo, 0, v43
	v_mov_b32_e32 v41, 0
	s_and_not1_b32 s13, s13, exec_lo
	s_and_b32 s17, vcc_lo, exec_lo
	s_delay_alu instid0(SALU_CYCLE_1)
	s_or_b32 s13, s13, s17
	s_or_b32 exec_lo, exec_lo, s30
	s_and_saveexec_b32 s17, s13
	s_cbranch_execnz .LBB4_8241
	s_branch .LBB4_8242
.LBB4_8736:                             ;   in Loop: Header=BB4_7553 Depth=3
	s_mov_b32 s13, -1
	s_mov_b32 s31, exec_lo
                                        ; implicit-def: $sgpr17
	v_cmpx_eq_u16_e32 0x80, v41
; %bb.8737:                             ;   in Loop: Header=BB4_7553 Depth=3
	s_mov_b32 s17, 0x7f800001
	s_xor_b32 s13, exec_lo, -1
; %bb.8738:                             ;   in Loop: Header=BB4_7553 Depth=3
	s_or_b32 exec_lo, exec_lo, s31
	s_delay_alu instid0(SALU_CYCLE_1)
	s_and_b32 s13, s13, exec_lo
	s_or_saveexec_b32 s30, s30
	v_mov_b32_e32 v181, s17
	s_xor_b32 exec_lo, exec_lo, s30
	s_cbranch_execz .LBB4_8252
.LBB4_8739:                             ;   in Loop: Header=BB4_7553 Depth=3
	v_cmp_ne_u16_e32 vcc_lo, 0, v41
	v_mov_b32_e32 v181, 0
	s_and_not1_b32 s13, s13, exec_lo
	s_and_b32 s17, vcc_lo, exec_lo
	s_delay_alu instid0(SALU_CYCLE_1)
	s_or_b32 s13, s13, s17
	s_or_b32 exec_lo, exec_lo, s30
	s_and_saveexec_b32 s17, s13
	s_cbranch_execnz .LBB4_8253
	s_branch .LBB4_8254
.LBB4_8740:                             ;   in Loop: Header=BB4_7553 Depth=3
	s_mov_b32 s13, -1
	s_mov_b32 s31, exec_lo
                                        ; implicit-def: $sgpr17
	v_cmpx_eq_u16_e64 0x80, v162
; %bb.8741:                             ;   in Loop: Header=BB4_7553 Depth=3
	s_mov_b32 s17, 0x7f800001
	s_xor_b32 s13, exec_lo, -1
; %bb.8742:                             ;   in Loop: Header=BB4_7553 Depth=3
	s_or_b32 exec_lo, exec_lo, s31
	s_delay_alu instid0(SALU_CYCLE_1)
	s_and_b32 s13, s13, exec_lo
	s_or_saveexec_b32 s30, s30
	v_mov_b32_e32 v41, s17
	s_xor_b32 exec_lo, exec_lo, s30
	s_cbranch_execz .LBB4_8256
.LBB4_8743:                             ;   in Loop: Header=BB4_7553 Depth=3
	v_cmp_ne_u16_e64 vcc_lo, 0, v162
	v_mov_b32_e32 v41, 0
	s_and_not1_b32 s13, s13, exec_lo
	s_delay_alu instid0(VALU_DEP_2) | instskip(NEXT) | instid1(SALU_CYCLE_1)
	s_and_b32 s17, vcc_lo, exec_lo
	s_or_b32 s13, s13, s17
	s_or_b32 exec_lo, exec_lo, s30
	s_and_saveexec_b32 s17, s13
	s_cbranch_execnz .LBB4_8257
	s_branch .LBB4_8258
.LBB4_8744:                             ;   in Loop: Header=BB4_7553 Depth=3
	s_mov_b32 s13, -1
	s_mov_b32 s31, exec_lo
                                        ; implicit-def: $sgpr17
	v_cmpx_eq_u16_e64 0x80, v162
; %bb.8745:                             ;   in Loop: Header=BB4_7553 Depth=3
	s_mov_b32 s17, 0x7f800001
	s_xor_b32 s13, exec_lo, -1
; %bb.8746:                             ;   in Loop: Header=BB4_7553 Depth=3
	s_or_b32 exec_lo, exec_lo, s31
	s_delay_alu instid0(SALU_CYCLE_1)
	s_and_b32 s13, s13, exec_lo
                                        ; implicit-def: $vgpr162
	s_or_saveexec_b32 s30, s30
	v_mov_b32_e32 v161, s17
	s_xor_b32 exec_lo, exec_lo, s30
	s_cbranch_execz .LBB4_8268
.LBB4_8747:                             ;   in Loop: Header=BB4_7553 Depth=3
	v_cmp_ne_u16_e64 vcc_lo, 0, v162
	v_mov_b32_e32 v161, 0
	s_and_not1_b32 s13, s13, exec_lo
	s_delay_alu instid0(VALU_DEP_2) | instskip(NEXT) | instid1(SALU_CYCLE_1)
	s_and_b32 s17, vcc_lo, exec_lo
	s_or_b32 s13, s13, s17
	s_or_b32 exec_lo, exec_lo, s30
	s_and_saveexec_b32 s17, s13
	s_cbranch_execnz .LBB4_8269
	s_branch .LBB4_8270
.LBB4_8748:                             ;   in Loop: Header=BB4_7553 Depth=3
	s_mov_b32 s13, -1
	s_mov_b32 s31, exec_lo
                                        ; implicit-def: $sgpr17
	v_cmpx_eq_u16_e64 0x80, v181
; %bb.8749:                             ;   in Loop: Header=BB4_7553 Depth=3
	s_mov_b32 s17, 0x7f800001
	s_xor_b32 s13, exec_lo, -1
; %bb.8750:                             ;   in Loop: Header=BB4_7553 Depth=3
	s_or_b32 exec_lo, exec_lo, s31
	s_delay_alu instid0(SALU_CYCLE_1)
	s_and_b32 s13, s13, exec_lo
                                        ; implicit-def: $vgpr181
	s_or_saveexec_b32 s30, s30
	v_mov_b32_e32 v162, s17
	s_xor_b32 exec_lo, exec_lo, s30
	s_cbranch_execz .LBB4_8272
.LBB4_8751:                             ;   in Loop: Header=BB4_7553 Depth=3
	v_cmp_ne_u16_e64 vcc_lo, 0, v181
	v_mov_b32_e32 v162, 0
	s_and_not1_b32 s13, s13, exec_lo
	s_delay_alu instid0(VALU_DEP_2) | instskip(NEXT) | instid1(SALU_CYCLE_1)
	s_and_b32 s17, vcc_lo, exec_lo
	s_or_b32 s13, s13, s17
	s_or_b32 exec_lo, exec_lo, s30
	s_and_saveexec_b32 s17, s13
	s_cbranch_execnz .LBB4_8273
	s_branch .LBB4_8274
.LBB4_8752:                             ;   in Loop: Header=BB4_7553 Depth=3
	s_mov_b32 s13, -1
	s_mov_b32 s31, exec_lo
                                        ; implicit-def: $sgpr17
	v_cmpx_eq_u16_e64 0x80, v181
; %bb.8753:                             ;   in Loop: Header=BB4_7553 Depth=3
	s_mov_b32 s17, 0x7f800001
	s_xor_b32 s13, exec_lo, -1
; %bb.8754:                             ;   in Loop: Header=BB4_7553 Depth=3
	s_or_b32 exec_lo, exec_lo, s31
	s_delay_alu instid0(SALU_CYCLE_1)
	s_and_b32 s13, s13, exec_lo
	s_or_saveexec_b32 s30, s30
	v_mov_b32_e32 v162, s17
	s_xor_b32 exec_lo, exec_lo, s30
	s_cbranch_execz .LBB4_8284
.LBB4_8755:                             ;   in Loop: Header=BB4_7553 Depth=3
	v_cmp_ne_u16_e64 vcc_lo, 0, v181
	v_mov_b32_e32 v162, 0
	s_and_not1_b32 s13, s13, exec_lo
	s_delay_alu instid0(VALU_DEP_2) | instskip(NEXT) | instid1(SALU_CYCLE_1)
	s_and_b32 s17, vcc_lo, exec_lo
	s_or_b32 s13, s13, s17
	s_or_b32 exec_lo, exec_lo, s30
	s_and_saveexec_b32 s17, s13
	s_cbranch_execnz .LBB4_8285
	s_branch .LBB4_8286
.LBB4_8756:                             ;   in Loop: Header=BB4_7553 Depth=3
	s_mov_b32 s13, -1
	s_mov_b32 s31, exec_lo
                                        ; implicit-def: $sgpr17
	v_cmpx_eq_u16_e64 0x80, v181
; %bb.8757:                             ;   in Loop: Header=BB4_7553 Depth=3
	s_mov_b32 s17, 0x7f800001
	s_xor_b32 s13, exec_lo, -1
; %bb.8758:                             ;   in Loop: Header=BB4_7553 Depth=3
	s_or_b32 exec_lo, exec_lo, s31
	s_delay_alu instid0(SALU_CYCLE_1)
	s_and_b32 s13, s13, exec_lo
	s_or_saveexec_b32 s30, s30
	v_mov_b32_e32 v41, s17
	s_xor_b32 exec_lo, exec_lo, s30
	s_cbranch_execz .LBB4_8288
.LBB4_8759:                             ;   in Loop: Header=BB4_7553 Depth=3
	v_cmp_ne_u16_e64 vcc_lo, 0, v181
	v_mov_b32_e32 v41, 0
	s_and_not1_b32 s13, s13, exec_lo
	s_delay_alu instid0(VALU_DEP_2) | instskip(NEXT) | instid1(SALU_CYCLE_1)
	s_and_b32 s17, vcc_lo, exec_lo
	s_or_b32 s13, s13, s17
	s_or_b32 exec_lo, exec_lo, s30
	s_and_saveexec_b32 s17, s13
	s_cbranch_execnz .LBB4_8289
	s_branch .LBB4_8290
.LBB4_8760:                             ;   in Loop: Header=BB4_7553 Depth=3
	s_mov_b32 s13, -1
	s_mov_b32 s31, exec_lo
                                        ; implicit-def: $sgpr17
	v_cmpx_eq_u16_e64 0x80, v181
; %bb.8761:                             ;   in Loop: Header=BB4_7553 Depth=3
	s_mov_b32 s17, 0x7f800001
	s_xor_b32 s13, exec_lo, -1
; %bb.8762:                             ;   in Loop: Header=BB4_7553 Depth=3
	s_or_b32 exec_lo, exec_lo, s31
	s_delay_alu instid0(SALU_CYCLE_1)
	s_and_b32 s13, s13, exec_lo
                                        ; implicit-def: $vgpr181
	s_or_saveexec_b32 s30, s30
	v_mov_b32_e32 v160, s17
	s_xor_b32 exec_lo, exec_lo, s30
	s_cbranch_execz .LBB4_8300
.LBB4_8763:                             ;   in Loop: Header=BB4_7553 Depth=3
	v_cmp_ne_u16_e64 vcc_lo, 0, v181
	v_mov_b32_e32 v160, 0
	s_and_not1_b32 s13, s13, exec_lo
	s_delay_alu instid0(VALU_DEP_2) | instskip(NEXT) | instid1(SALU_CYCLE_1)
	s_and_b32 s17, vcc_lo, exec_lo
	s_or_b32 s13, s13, s17
	s_or_b32 exec_lo, exec_lo, s30
	v_lshl_or_b32 v163, v163, 16, v167
	s_and_saveexec_b32 s17, s13
	s_cbranch_execnz .LBB4_8301
	s_branch .LBB4_8302
.LBB4_8764:                             ;   in Loop: Header=BB4_7553 Depth=3
	s_mov_b32 s13, -1
	s_mov_b32 s31, exec_lo
                                        ; implicit-def: $sgpr17
	v_cmpx_eq_u16_e32 0x80, v41
; %bb.8765:                             ;   in Loop: Header=BB4_7553 Depth=3
	s_mov_b32 s17, 0x7f800001
	s_xor_b32 s13, exec_lo, -1
; %bb.8766:                             ;   in Loop: Header=BB4_7553 Depth=3
	s_or_b32 exec_lo, exec_lo, s31
	s_delay_alu instid0(SALU_CYCLE_1)
	s_and_b32 s13, s13, exec_lo
                                        ; implicit-def: $vgpr41
	s_or_saveexec_b32 s30, s30
	v_mov_b32_e32 v181, s17
	s_xor_b32 exec_lo, exec_lo, s30
	s_cbranch_execz .LBB4_8304
.LBB4_8767:                             ;   in Loop: Header=BB4_7553 Depth=3
	v_cmp_ne_u16_e32 vcc_lo, 0, v41
	v_mov_b32_e32 v181, 0
	s_and_not1_b32 s13, s13, exec_lo
	s_and_b32 s17, vcc_lo, exec_lo
	s_delay_alu instid0(SALU_CYCLE_1)
	s_or_b32 s13, s13, s17
	s_or_b32 exec_lo, exec_lo, s30
	s_and_saveexec_b32 s17, s13
	s_cbranch_execnz .LBB4_8305
	s_branch .LBB4_8306
.LBB4_8768:                             ;   in Loop: Header=BB4_7553 Depth=3
	s_mov_b32 s13, -1
	s_mov_b32 s31, exec_lo
                                        ; implicit-def: $sgpr17
	v_cmpx_eq_u16_e64 0x80, v181
; %bb.8769:                             ;   in Loop: Header=BB4_7553 Depth=3
	s_mov_b32 s17, 0x7f800001
	s_xor_b32 s13, exec_lo, -1
; %bb.8770:                             ;   in Loop: Header=BB4_7553 Depth=3
	s_or_b32 exec_lo, exec_lo, s31
	s_delay_alu instid0(SALU_CYCLE_1)
	s_and_b32 s13, s13, exec_lo
	s_or_saveexec_b32 s30, s30
	v_mov_b32_e32 v167, s17
	s_xor_b32 exec_lo, exec_lo, s30
	s_cbranch_execz .LBB4_8316
.LBB4_8771:                             ;   in Loop: Header=BB4_7553 Depth=3
	v_cmp_ne_u16_e64 vcc_lo, 0, v181
	v_mov_b32_e32 v167, 0
	s_and_not1_b32 s13, s13, exec_lo
	s_delay_alu instid0(VALU_DEP_2) | instskip(NEXT) | instid1(SALU_CYCLE_1)
	s_and_b32 s17, vcc_lo, exec_lo
	s_or_b32 s13, s13, s17
	s_or_b32 exec_lo, exec_lo, s30
	s_and_saveexec_b32 s17, s13
	s_cbranch_execnz .LBB4_8317
	s_branch .LBB4_8318
.LBB4_8772:                             ;   in Loop: Header=BB4_7553 Depth=3
	s_mov_b32 s13, -1
	s_mov_b32 s31, exec_lo
                                        ; implicit-def: $sgpr17
	v_cmpx_eq_u16_e64 0x80, v163
; %bb.8773:                             ;   in Loop: Header=BB4_7553 Depth=3
	s_mov_b32 s17, 0x7f800001
	s_xor_b32 s13, exec_lo, -1
; %bb.8774:                             ;   in Loop: Header=BB4_7553 Depth=3
	s_or_b32 exec_lo, exec_lo, s31
	s_delay_alu instid0(SALU_CYCLE_1)
	s_and_b32 s13, s13, exec_lo
	s_or_saveexec_b32 s30, s30
	v_mov_b32_e32 v181, s17
	s_xor_b32 exec_lo, exec_lo, s30
	s_cbranch_execz .LBB4_8320
.LBB4_8775:                             ;   in Loop: Header=BB4_7553 Depth=3
	v_cmp_ne_u16_e64 vcc_lo, 0, v163
	v_mov_b32_e32 v181, 0
	s_and_not1_b32 s13, s13, exec_lo
	s_delay_alu instid0(VALU_DEP_2) | instskip(NEXT) | instid1(SALU_CYCLE_1)
	s_and_b32 s17, vcc_lo, exec_lo
	s_or_b32 s13, s13, s17
	s_or_b32 exec_lo, exec_lo, s30
	s_and_saveexec_b32 s17, s13
	s_cbranch_execnz .LBB4_8321
	s_branch .LBB4_8322
.LBB4_8776:                             ;   in Loop: Header=BB4_7553 Depth=3
	s_mov_b32 s13, -1
	s_mov_b32 s31, exec_lo
                                        ; implicit-def: $sgpr17
	v_cmpx_eq_u16_e64 0x80, v167
; %bb.8777:                             ;   in Loop: Header=BB4_7553 Depth=3
	s_mov_b32 s17, 0x7f800001
	s_xor_b32 s13, exec_lo, -1
; %bb.8778:                             ;   in Loop: Header=BB4_7553 Depth=3
	s_or_b32 exec_lo, exec_lo, s31
	s_delay_alu instid0(SALU_CYCLE_1)
	s_and_b32 s13, s13, exec_lo
                                        ; implicit-def: $vgpr167
	s_or_saveexec_b32 s30, s30
	v_mov_b32_e32 v163, s17
	s_xor_b32 exec_lo, exec_lo, s30
	s_cbranch_execz .LBB4_8332
.LBB4_8779:                             ;   in Loop: Header=BB4_7553 Depth=3
	v_cmp_ne_u16_e64 vcc_lo, 0, v167
	v_mov_b32_e32 v163, 0
	s_and_not1_b32 s13, s13, exec_lo
	s_delay_alu instid0(VALU_DEP_2) | instskip(NEXT) | instid1(SALU_CYCLE_1)
	s_and_b32 s17, vcc_lo, exec_lo
	s_or_b32 s13, s13, s17
	s_or_b32 exec_lo, exec_lo, s30
	s_and_saveexec_b32 s17, s13
	s_cbranch_execnz .LBB4_8333
	s_branch .LBB4_8334
.LBB4_8780:                             ;   in Loop: Header=BB4_7553 Depth=3
	s_mov_b32 s13, -1
	s_mov_b32 s31, exec_lo
                                        ; implicit-def: $sgpr17
	v_cmpx_eq_u16_e64 0x80, v167
; %bb.8781:                             ;   in Loop: Header=BB4_7553 Depth=3
	s_mov_b32 s17, 0x7f800001
	s_xor_b32 s13, exec_lo, -1
; %bb.8782:                             ;   in Loop: Header=BB4_7553 Depth=3
	s_or_b32 exec_lo, exec_lo, s31
	s_delay_alu instid0(SALU_CYCLE_1)
	s_and_b32 s13, s13, exec_lo
                                        ; implicit-def: $vgpr167
	s_or_saveexec_b32 s30, s30
	v_mov_b32_e32 v150, s17
	s_xor_b32 exec_lo, exec_lo, s30
	s_cbranch_execz .LBB4_8336
.LBB4_8783:                             ;   in Loop: Header=BB4_7553 Depth=3
	v_cmp_ne_u16_e64 vcc_lo, 0, v167
	v_mov_b32_e32 v150, 0
	s_and_not1_b32 s13, s13, exec_lo
	s_delay_alu instid0(VALU_DEP_2) | instskip(NEXT) | instid1(SALU_CYCLE_1)
	s_and_b32 s17, vcc_lo, exec_lo
	s_or_b32 s13, s13, s17
	s_or_b32 exec_lo, exec_lo, s30
	s_and_saveexec_b32 s17, s13
	s_cbranch_execnz .LBB4_8337
	s_branch .LBB4_8338
.LBB4_8784:                             ;   in Loop: Header=BB4_7553 Depth=3
	s_mov_b32 s13, -1
	s_mov_b32 s31, exec_lo
                                        ; implicit-def: $sgpr17
	v_cmpx_eq_u16_e64 0x80, v167
; %bb.8785:                             ;   in Loop: Header=BB4_7553 Depth=3
	s_mov_b32 s17, 0x7f800001
	s_xor_b32 s13, exec_lo, -1
; %bb.8786:                             ;   in Loop: Header=BB4_7553 Depth=3
	s_or_b32 exec_lo, exec_lo, s31
	s_delay_alu instid0(SALU_CYCLE_1)
	s_and_b32 s13, s13, exec_lo
                                        ; implicit-def: $vgpr167
	s_or_saveexec_b32 s30, s30
	v_mov_b32_e32 v163, s17
	s_xor_b32 exec_lo, exec_lo, s30
	s_cbranch_execz .LBB4_8348
.LBB4_8787:                             ;   in Loop: Header=BB4_7553 Depth=3
	v_cmp_ne_u16_e64 vcc_lo, 0, v167
	v_mov_b32_e32 v163, 0
	s_and_not1_b32 s13, s13, exec_lo
	s_delay_alu instid0(VALU_DEP_2) | instskip(NEXT) | instid1(SALU_CYCLE_1)
	s_and_b32 s17, vcc_lo, exec_lo
	s_or_b32 s13, s13, s17
	s_or_b32 exec_lo, exec_lo, s30
	s_and_saveexec_b32 s17, s13
	s_cbranch_execnz .LBB4_8349
	s_branch .LBB4_8350
.LBB4_8788:                             ;   in Loop: Header=BB4_7553 Depth=3
	s_mov_b32 s13, -1
	s_mov_b32 s31, exec_lo
                                        ; implicit-def: $sgpr17
	v_cmpx_eq_u16_e64 0x80, v148
; %bb.8789:                             ;   in Loop: Header=BB4_7553 Depth=3
	s_mov_b32 s17, 0x7f800001
	s_xor_b32 s13, exec_lo, -1
; %bb.8790:                             ;   in Loop: Header=BB4_7553 Depth=3
	s_or_b32 exec_lo, exec_lo, s31
	s_delay_alu instid0(SALU_CYCLE_1)
	s_and_b32 s13, s13, exec_lo
	s_or_saveexec_b32 s30, s30
	v_mov_b32_e32 v167, s17
	s_xor_b32 exec_lo, exec_lo, s30
	s_cbranch_execz .LBB4_8352
.LBB4_8791:                             ;   in Loop: Header=BB4_7553 Depth=3
	v_cmp_ne_u16_e64 vcc_lo, 0, v148
	v_mov_b32_e32 v167, 0
	s_and_not1_b32 s13, s13, exec_lo
	s_delay_alu instid0(VALU_DEP_2) | instskip(NEXT) | instid1(SALU_CYCLE_1)
	s_and_b32 s17, vcc_lo, exec_lo
	s_or_b32 s13, s13, s17
	s_or_b32 exec_lo, exec_lo, s30
	s_and_saveexec_b32 s17, s13
	s_cbranch_execnz .LBB4_8353
	s_branch .LBB4_8354
.LBB4_8792:                             ;   in Loop: Header=BB4_7553 Depth=3
	s_mov_b32 s13, -1
	s_mov_b32 s31, exec_lo
                                        ; implicit-def: $sgpr17
	v_cmpx_eq_u16_e64 0x80, v167
; %bb.8793:                             ;   in Loop: Header=BB4_7553 Depth=3
	s_mov_b32 s17, 0x7f800001
	s_xor_b32 s13, exec_lo, -1
; %bb.8794:                             ;   in Loop: Header=BB4_7553 Depth=3
	s_or_b32 exec_lo, exec_lo, s31
	s_delay_alu instid0(SALU_CYCLE_1)
	s_and_b32 s13, s13, exec_lo
                                        ; implicit-def: $vgpr167
	s_or_saveexec_b32 s30, s30
	v_mov_b32_e32 v163, s17
	s_xor_b32 exec_lo, exec_lo, s30
	s_cbranch_execz .LBB4_8364
.LBB4_8795:                             ;   in Loop: Header=BB4_7553 Depth=3
	v_cmp_ne_u16_e64 vcc_lo, 0, v167
	v_mov_b32_e32 v163, 0
	s_and_not1_b32 s13, s13, exec_lo
	s_delay_alu instid0(VALU_DEP_2) | instskip(NEXT) | instid1(SALU_CYCLE_1)
	s_and_b32 s17, vcc_lo, exec_lo
	s_or_b32 s13, s13, s17
	s_or_b32 exec_lo, exec_lo, s30
	s_and_saveexec_b32 s17, s13
	s_cbranch_execnz .LBB4_8365
	s_branch .LBB4_8366
.LBB4_8796:                             ;   in Loop: Header=BB4_7553 Depth=3
	s_mov_b32 s13, -1
	s_mov_b32 s31, exec_lo
                                        ; implicit-def: $sgpr17
	v_cmpx_eq_u16_e64 0x80, v181
; %bb.8797:                             ;   in Loop: Header=BB4_7553 Depth=3
	s_mov_b32 s17, 0x7f800001
	s_xor_b32 s13, exec_lo, -1
; %bb.8798:                             ;   in Loop: Header=BB4_7553 Depth=3
	s_or_b32 exec_lo, exec_lo, s31
	s_delay_alu instid0(SALU_CYCLE_1)
	s_and_b32 s13, s13, exec_lo
                                        ; implicit-def: $vgpr181
	s_or_saveexec_b32 s30, s30
	v_mov_b32_e32 v167, s17
	s_xor_b32 exec_lo, exec_lo, s30
	s_cbranch_execz .LBB4_8368
.LBB4_8799:                             ;   in Loop: Header=BB4_7553 Depth=3
	v_cmp_ne_u16_e64 vcc_lo, 0, v181
	v_mov_b32_e32 v167, 0
	s_and_not1_b32 s13, s13, exec_lo
	s_delay_alu instid0(VALU_DEP_2) | instskip(NEXT) | instid1(SALU_CYCLE_1)
	s_and_b32 s17, vcc_lo, exec_lo
	s_or_b32 s13, s13, s17
	s_or_b32 exec_lo, exec_lo, s30
	s_and_saveexec_b32 s17, s13
	s_cbranch_execnz .LBB4_8369
	s_branch .LBB4_8370
.LBB4_8800:                             ;   in Loop: Header=BB4_7553 Depth=3
	s_mov_b32 s13, -1
	s_mov_b32 s31, exec_lo
                                        ; implicit-def: $sgpr17
	v_cmpx_eq_u16_e64 0x80, v167
; %bb.8801:                             ;   in Loop: Header=BB4_7553 Depth=3
	s_mov_b32 s17, 0x7f800001
	s_xor_b32 s13, exec_lo, -1
; %bb.8802:                             ;   in Loop: Header=BB4_7553 Depth=3
	s_or_b32 exec_lo, exec_lo, s31
	s_delay_alu instid0(SALU_CYCLE_1)
	s_and_b32 s13, s13, exec_lo
	s_or_saveexec_b32 s30, s30
	v_mov_b32_e32 v163, s17
	s_xor_b32 exec_lo, exec_lo, s30
	s_cbranch_execz .LBB4_8380
.LBB4_8803:                             ;   in Loop: Header=BB4_7553 Depth=3
	v_cmp_ne_u16_e64 vcc_lo, 0, v167
	v_mov_b32_e32 v163, 0
	s_and_not1_b32 s13, s13, exec_lo
	s_delay_alu instid0(VALU_DEP_2) | instskip(NEXT) | instid1(SALU_CYCLE_1)
	s_and_b32 s17, vcc_lo, exec_lo
	s_or_b32 s13, s13, s17
	s_or_b32 exec_lo, exec_lo, s30
	s_and_saveexec_b32 s17, s13
	s_cbranch_execnz .LBB4_8381
	s_branch .LBB4_8382
.LBB4_8804:                             ;   in Loop: Header=BB4_7553 Depth=3
	s_mov_b32 s13, -1
	s_mov_b32 s31, exec_lo
                                        ; implicit-def: $sgpr17
	v_cmpx_eq_u16_e64 0x80, v144
; %bb.8805:                             ;   in Loop: Header=BB4_7553 Depth=3
	s_mov_b32 s17, 0x7f800001
	s_xor_b32 s13, exec_lo, -1
; %bb.8806:                             ;   in Loop: Header=BB4_7553 Depth=3
	s_or_b32 exec_lo, exec_lo, s31
	s_delay_alu instid0(SALU_CYCLE_1)
	s_and_b32 s13, s13, exec_lo
	s_or_saveexec_b32 s30, s30
	v_mov_b32_e32 v167, s17
	s_xor_b32 exec_lo, exec_lo, s30
	s_cbranch_execz .LBB4_8384
.LBB4_8807:                             ;   in Loop: Header=BB4_7553 Depth=3
	v_cmp_ne_u16_e64 vcc_lo, 0, v144
	v_mov_b32_e32 v167, 0
	s_and_not1_b32 s13, s13, exec_lo
	s_delay_alu instid0(VALU_DEP_2) | instskip(NEXT) | instid1(SALU_CYCLE_1)
	s_and_b32 s17, vcc_lo, exec_lo
	s_or_b32 s13, s13, s17
	s_or_b32 exec_lo, exec_lo, s30
	s_and_saveexec_b32 s17, s13
	s_cbranch_execnz .LBB4_8385
	s_branch .LBB4_8386
.LBB4_8808:                             ;   in Loop: Header=BB4_7553 Depth=3
	s_mov_b32 s13, -1
	s_mov_b32 s31, exec_lo
                                        ; implicit-def: $sgpr17
	v_cmpx_eq_u16_e64 0x80, v144
; %bb.8809:                             ;   in Loop: Header=BB4_7553 Depth=3
	s_mov_b32 s17, 0x7f800001
	s_xor_b32 s13, exec_lo, -1
; %bb.8810:                             ;   in Loop: Header=BB4_7553 Depth=3
	s_or_b32 exec_lo, exec_lo, s31
	s_delay_alu instid0(SALU_CYCLE_1)
	s_and_b32 s13, s13, exec_lo
                                        ; implicit-def: $vgpr144
	s_or_saveexec_b32 s30, s30
	v_mov_b32_e32 v135, s17
	s_xor_b32 exec_lo, exec_lo, s30
	s_cbranch_execz .LBB4_8396
.LBB4_8811:                             ;   in Loop: Header=BB4_7553 Depth=3
	v_cmp_ne_u16_e64 vcc_lo, 0, v144
	v_mov_b32_e32 v135, 0
	s_and_not1_b32 s13, s13, exec_lo
	s_delay_alu instid0(VALU_DEP_2) | instskip(NEXT) | instid1(SALU_CYCLE_1)
	s_and_b32 s17, vcc_lo, exec_lo
	s_or_b32 s13, s13, s17
	s_or_b32 exec_lo, exec_lo, s30
	s_and_saveexec_b32 s17, s13
	s_cbranch_execnz .LBB4_8397
	s_branch .LBB4_8398
.LBB4_8812:                             ;   in Loop: Header=BB4_7553 Depth=3
	s_mov_b32 s13, -1
	s_mov_b32 s31, exec_lo
                                        ; implicit-def: $sgpr17
	v_cmpx_eq_u16_e64 0x80, v163
; %bb.8813:                             ;   in Loop: Header=BB4_7553 Depth=3
	s_mov_b32 s17, 0x7f800001
	s_xor_b32 s13, exec_lo, -1
; %bb.8814:                             ;   in Loop: Header=BB4_7553 Depth=3
	s_or_b32 exec_lo, exec_lo, s31
	s_delay_alu instid0(SALU_CYCLE_1)
	s_and_b32 s13, s13, exec_lo
                                        ; implicit-def: $vgpr163
	s_or_saveexec_b32 s30, s30
	v_mov_b32_e32 v144, s17
	s_xor_b32 exec_lo, exec_lo, s30
	s_cbranch_execz .LBB4_8400
.LBB4_8815:                             ;   in Loop: Header=BB4_7553 Depth=3
	v_cmp_ne_u16_e64 vcc_lo, 0, v163
	v_mov_b32_e32 v144, 0
	s_and_not1_b32 s13, s13, exec_lo
	s_delay_alu instid0(VALU_DEP_2) | instskip(NEXT) | instid1(SALU_CYCLE_1)
	s_and_b32 s17, vcc_lo, exec_lo
	s_or_b32 s13, s13, s17
	s_or_b32 exec_lo, exec_lo, s30
	s_and_saveexec_b32 s17, s13
	s_cbranch_execnz .LBB4_8401
	s_branch .LBB4_8402
.LBB4_8816:                             ;   in Loop: Header=BB4_7553 Depth=3
	s_mov_b32 s13, -1
	s_mov_b32 s31, exec_lo
                                        ; implicit-def: $sgpr17
	v_cmpx_eq_u16_e64 0x80, v163
; %bb.8817:                             ;   in Loop: Header=BB4_7553 Depth=3
	s_mov_b32 s17, 0x7f800001
	s_xor_b32 s13, exec_lo, -1
; %bb.8818:                             ;   in Loop: Header=BB4_7553 Depth=3
	s_or_b32 exec_lo, exec_lo, s31
	s_delay_alu instid0(SALU_CYCLE_1)
	s_and_b32 s13, s13, exec_lo
	s_or_saveexec_b32 s30, s30
	v_mov_b32_e32 v144, s17
	s_xor_b32 exec_lo, exec_lo, s30
	s_cbranch_execz .LBB4_8412
.LBB4_8819:                             ;   in Loop: Header=BB4_7553 Depth=3
	v_cmp_ne_u16_e64 vcc_lo, 0, v163
	v_mov_b32_e32 v144, 0
	s_and_not1_b32 s13, s13, exec_lo
	s_delay_alu instid0(VALU_DEP_2) | instskip(NEXT) | instid1(SALU_CYCLE_1)
	s_and_b32 s17, vcc_lo, exec_lo
	s_or_b32 s13, s13, s17
	s_or_b32 exec_lo, exec_lo, s30
	s_and_saveexec_b32 s17, s13
	s_cbranch_execnz .LBB4_8413
	s_branch .LBB4_8414
.LBB4_8820:                             ;   in Loop: Header=BB4_7553 Depth=3
	s_mov_b32 s13, -1
	s_mov_b32 s31, exec_lo
                                        ; implicit-def: $sgpr17
	v_cmpx_eq_u16_e64 0x80, v163
; %bb.8821:                             ;   in Loop: Header=BB4_7553 Depth=3
	s_mov_b32 s17, 0x7f800001
	s_xor_b32 s13, exec_lo, -1
; %bb.8822:                             ;   in Loop: Header=BB4_7553 Depth=3
	s_or_b32 exec_lo, exec_lo, s31
	s_delay_alu instid0(SALU_CYCLE_1)
	s_and_b32 s13, s13, exec_lo
	s_or_saveexec_b32 s30, s30
	v_mov_b32_e32 v167, s17
	s_xor_b32 exec_lo, exec_lo, s30
	s_cbranch_execz .LBB4_8416
.LBB4_8823:                             ;   in Loop: Header=BB4_7553 Depth=3
	v_cmp_ne_u16_e64 vcc_lo, 0, v163
	v_mov_b32_e32 v167, 0
	s_and_not1_b32 s13, s13, exec_lo
	s_delay_alu instid0(VALU_DEP_2) | instskip(NEXT) | instid1(SALU_CYCLE_1)
	s_and_b32 s17, vcc_lo, exec_lo
	s_or_b32 s13, s13, s17
	s_or_b32 exec_lo, exec_lo, s30
	s_and_saveexec_b32 s17, s13
	s_cbranch_execnz .LBB4_8417
	s_branch .LBB4_8418
.LBB4_8824:                             ;   in Loop: Header=BB4_7553 Depth=3
	s_mov_b32 s13, -1
	s_mov_b32 s31, exec_lo
                                        ; implicit-def: $sgpr17
	v_cmpx_eq_u16_e64 0x80, v163
; %bb.8825:                             ;   in Loop: Header=BB4_7553 Depth=3
	s_mov_b32 s17, 0x7f800001
	s_xor_b32 s13, exec_lo, -1
; %bb.8826:                             ;   in Loop: Header=BB4_7553 Depth=3
	s_or_b32 exec_lo, exec_lo, s31
	s_delay_alu instid0(SALU_CYCLE_1)
	s_and_b32 s13, s13, exec_lo
                                        ; implicit-def: $vgpr163
	s_or_saveexec_b32 s30, s30
	v_mov_b32_e32 v134, s17
	s_xor_b32 exec_lo, exec_lo, s30
	s_cbranch_execz .LBB4_8428
.LBB4_8827:                             ;   in Loop: Header=BB4_7553 Depth=3
	v_cmp_ne_u16_e64 vcc_lo, 0, v163
	v_mov_b32_e32 v134, 0
	s_and_not1_b32 s13, s13, exec_lo
	s_delay_alu instid0(VALU_DEP_2) | instskip(NEXT) | instid1(SALU_CYCLE_1)
	s_and_b32 s17, vcc_lo, exec_lo
	s_or_b32 s13, s13, s17
	s_or_b32 exec_lo, exec_lo, s30
	v_lshl_or_b32 v146, v146, 16, v149
	s_and_saveexec_b32 s17, s13
	s_cbranch_execnz .LBB4_8429
	s_branch .LBB4_8430
.LBB4_8828:                             ;   in Loop: Header=BB4_7553 Depth=3
	s_mov_b32 s13, -1
	s_mov_b32 s31, exec_lo
                                        ; implicit-def: $sgpr17
	v_cmpx_eq_u16_e64 0x80, v167
; %bb.8829:                             ;   in Loop: Header=BB4_7553 Depth=3
	s_mov_b32 s17, 0x7f800001
	s_xor_b32 s13, exec_lo, -1
; %bb.8830:                             ;   in Loop: Header=BB4_7553 Depth=3
	s_or_b32 exec_lo, exec_lo, s31
	s_delay_alu instid0(SALU_CYCLE_1)
	s_and_b32 s13, s13, exec_lo
                                        ; implicit-def: $vgpr167
	s_or_saveexec_b32 s30, s30
	v_mov_b32_e32 v163, s17
	s_xor_b32 exec_lo, exec_lo, s30
	s_cbranch_execz .LBB4_8432
.LBB4_8831:                             ;   in Loop: Header=BB4_7553 Depth=3
	v_cmp_ne_u16_e64 vcc_lo, 0, v167
	v_mov_b32_e32 v163, 0
	s_and_not1_b32 s13, s13, exec_lo
	s_delay_alu instid0(VALU_DEP_2) | instskip(NEXT) | instid1(SALU_CYCLE_1)
	s_and_b32 s17, vcc_lo, exec_lo
	s_or_b32 s13, s13, s17
	s_or_b32 exec_lo, exec_lo, s30
	s_and_saveexec_b32 s17, s13
	s_cbranch_execnz .LBB4_8433
	s_branch .LBB4_8434
.LBB4_8832:                             ;   in Loop: Header=BB4_7553 Depth=3
	s_mov_b32 s13, -1
	s_mov_b32 s31, exec_lo
                                        ; implicit-def: $sgpr17
	v_cmpx_eq_u16_e64 0x80, v163
; %bb.8833:                             ;   in Loop: Header=BB4_7553 Depth=3
	s_mov_b32 s17, 0x7f800001
	s_xor_b32 s13, exec_lo, -1
; %bb.8834:                             ;   in Loop: Header=BB4_7553 Depth=3
	s_or_b32 exec_lo, exec_lo, s31
	s_delay_alu instid0(SALU_CYCLE_1)
	s_and_b32 s13, s13, exec_lo
	s_or_saveexec_b32 s30, s30
	v_mov_b32_e32 v149, s17
	s_xor_b32 exec_lo, exec_lo, s30
	s_cbranch_execz .LBB4_8444
.LBB4_8835:                             ;   in Loop: Header=BB4_7553 Depth=3
	v_cmp_ne_u16_e64 vcc_lo, 0, v163
	v_mov_b32_e32 v149, 0
	s_and_not1_b32 s13, s13, exec_lo
	s_delay_alu instid0(VALU_DEP_2) | instskip(NEXT) | instid1(SALU_CYCLE_1)
	s_and_b32 s17, vcc_lo, exec_lo
	s_or_b32 s13, s13, s17
	s_or_b32 exec_lo, exec_lo, s30
	s_and_saveexec_b32 s17, s13
	s_cbranch_execnz .LBB4_8445
	s_branch .LBB4_8446
.LBB4_8836:                             ;   in Loop: Header=BB4_7553 Depth=3
	s_mov_b32 s13, -1
	s_mov_b32 s31, exec_lo
                                        ; implicit-def: $sgpr17
	v_cmpx_eq_u16_e64 0x80, v146
; %bb.8837:                             ;   in Loop: Header=BB4_7553 Depth=3
	s_mov_b32 s17, 0x7f800001
	s_xor_b32 s13, exec_lo, -1
; %bb.8838:                             ;   in Loop: Header=BB4_7553 Depth=3
	s_or_b32 exec_lo, exec_lo, s31
	s_delay_alu instid0(SALU_CYCLE_1)
	s_and_b32 s13, s13, exec_lo
	s_or_saveexec_b32 s30, s30
	v_mov_b32_e32 v163, s17
	s_xor_b32 exec_lo, exec_lo, s30
	s_cbranch_execz .LBB4_8448
.LBB4_8839:                             ;   in Loop: Header=BB4_7553 Depth=3
	v_cmp_ne_u16_e64 vcc_lo, 0, v146
	v_mov_b32_e32 v163, 0
	s_and_not1_b32 s13, s13, exec_lo
	s_delay_alu instid0(VALU_DEP_2) | instskip(NEXT) | instid1(SALU_CYCLE_1)
	s_and_b32 s17, vcc_lo, exec_lo
	s_or_b32 s13, s13, s17
	s_or_b32 exec_lo, exec_lo, s30
	s_and_saveexec_b32 s17, s13
	s_cbranch_execnz .LBB4_8449
	s_branch .LBB4_8450
.LBB4_8840:                             ;   in Loop: Header=BB4_4786 Depth=2
	s_or_b32 exec_lo, exec_lo, s15
.LBB4_8841:                             ;   in Loop: Header=BB4_4786 Depth=2
	s_delay_alu instid0(SALU_CYCLE_1) | instskip(SKIP_4) | instid1(VALU_DEP_2)
	s_or_b32 exec_lo, exec_lo, s14
	v_lshlrev_b32_e32 v65, 10, v68
	v_mov_b32_e32 v53, 0
	s_mov_b32 s13, 0
	s_mov_b32 s15, exec_lo
                                        ; implicit-def: $vgpr54
                                        ; implicit-def: $vgpr64
                                        ; implicit-def: $vgpr8
	v_cmpx_ne_u32_e64 v132, v65
	s_cbranch_execz .LBB4_9499
; %bb.8842:                             ;   in Loop: Header=BB4_4786 Depth=2
	v_lshlrev_b32_e32 v2, 5, v2
	v_sub_nc_u32_e32 v9, v132, v65
	s_mov_b32 s16, exec_lo
	s_delay_alu instid0(VALU_DEP_2) | instskip(NEXT) | instid1(VALU_DEP_2)
	v_sub_nc_u32_e32 v2, v84, v2
	v_ashrrev_i32_e32 v10, 31, v9
	s_delay_alu instid0(VALU_DEP_2) | instskip(NEXT) | instid1(VALU_DEP_2)
	v_ashrrev_i32_e32 v8, 31, v2
	v_lshrrev_b32_e32 v10, 23, v10
	s_delay_alu instid0(VALU_DEP_2) | instskip(NEXT) | instid1(VALU_DEP_2)
	v_lshrrev_b32_e32 v8, 27, v8
	v_add_nc_u32_e32 v10, v9, v10
	s_delay_alu instid0(VALU_DEP_2) | instskip(NEXT) | instid1(VALU_DEP_1)
	v_add_nc_u32_e32 v8, v2, v8
	v_and_b32_e32 v11, 0xffffffe0, v8
	s_delay_alu instid0(VALU_DEP_1) | instskip(NEXT) | instid1(VALU_DEP_4)
	v_sub_nc_u32_e32 v66, v2, v11
	v_and_b32_e32 v2, 0xfffffe00, v10
	v_ashrrev_i32_e32 v11, 5, v8
	v_ashrrev_i32_e32 v10, 9, v10
	s_delay_alu instid0(VALU_DEP_4) | instskip(NEXT) | instid1(VALU_DEP_4)
	v_lshlrev_b32_e32 v8, 4, v66
	v_sub_nc_u32_e32 v67, v9, v2
	s_delay_alu instid0(VALU_DEP_2) | instskip(NEXT) | instid1(VALU_DEP_2)
	v_lshl_add_u32 v8, v11, 9, v8
	v_cmp_lt_i32_e64 s13, 15, v67
	s_delay_alu instid0(VALU_DEP_2) | instskip(NEXT) | instid1(VALU_DEP_2)
	v_sub_nc_u32_e32 v64, v9, v8
	v_add_co_ci_u32_e64 v10, vcc_lo, 0, v10, s13
	s_delay_alu instid0(VALU_DEP_1) | instskip(NEXT) | instid1(VALU_DEP_3)
	v_sub_nc_u32_e32 v68, v10, v11
	v_cmpx_lt_i32_e32 15, v64
	s_cbranch_execz .LBB4_9496
; %bb.8843:                             ;   in Loop: Header=BB4_4786 Depth=2
	s_cbranch_execnz .LBB4_11357
; %bb.8844:                             ;   in Loop: Header=BB4_4786 Depth=2
	ds_load_b64 v[9:10], v0
	ds_load_b128 v[12:15], v0
	v_add_nc_u32_e32 v8, v8, v65
	s_delay_alu instid0(VALU_DEP_1)
	v_ashrrev_i32_e32 v11, 31, v8
	s_waitcnt lgkmcnt(1)
	v_readfirstlane_b32 s14, v9
	s_waitcnt lgkmcnt(0)
	v_add_co_u32 v12, vcc_lo, v12, v8
	v_add_co_ci_u32_e32 v13, vcc_lo, v13, v11, vcc_lo
	s_delay_alu instid0(VALU_DEP_3)
	s_and_b32 s17, s14, 3
	v_add_co_u32 v14, vcc_lo, v14, v8
	s_clz_i32_u32 s30, s17
	v_add_co_ci_u32_e32 v15, vcc_lo, v15, v11, vcc_lo
	s_min_u32 s30, s30, 32
	s_bfe_u32 s31, s14, 0x50002
	s_sub_i32 vcc_lo, s30, 29
	s_sub_i32 s30, 30, s30
	s_lshl_b32 vcc_lo, s14, vcc_lo
	v_and_b32_e32 v69, 0xff, v9
	s_and_b32 s34, vcc_lo, 3
	v_add_co_u32 v53, vcc_lo, v9, v8
	s_cmp_eq_u32 s31, 0
	v_add_co_ci_u32_e32 v54, vcc_lo, v10, v11, vcc_lo
	s_cselect_b32 vcc_lo, s30, s31
	s_cselect_b32 s17, s34, s17
	s_lshl_b32 s14, s14, 24
	s_lshl_b32 s30, s17, 21
	s_lshl_b32 s17, vcc_lo, 23
	s_and_b32 s14, s14, 0x80000000
	s_add_i32 s17, s17, 0x37800000
	s_delay_alu instid0(SALU_CYCLE_1)
	s_or_b32 s14, s14, s17
	s_mov_b32 s17, 0
	s_or_b32 s30, s14, s30
	s_branch .LBB4_8848
.LBB4_8845:                             ;   in Loop: Header=BB4_8848 Depth=3
	s_or_b32 exec_lo, exec_lo, s14
	s_delay_alu instid0(VALU_DEP_1) | instskip(NEXT) | instid1(VALU_DEP_2)
	v_lshrrev_b32_e32 v146, 21, v146
	v_min_i32_e32 v163, 31, v144
	v_cmp_gt_i32_e32 vcc_lo, 32, v144
	v_lshrrev_b32_e32 v11, 24, v11
	s_delay_alu instid0(VALU_DEP_3) | instskip(NEXT) | instid1(VALU_DEP_2)
	v_dual_cndmask_b32 v146, 3, v146 :: v_dual_lshlrev_b32 v163, 2, v163
	v_and_b32_e32 v11, 0x80, v11
	s_delay_alu instid0(VALU_DEP_2) | instskip(NEXT) | instid1(VALU_DEP_3)
	v_and_b32_e32 v163, 0xfc, v163
	v_and_b32_e32 v164, 3, v146
	v_or_b32_e32 v144, v144, v146
	s_delay_alu instid0(VALU_DEP_2) | instskip(NEXT) | instid1(VALU_DEP_2)
	v_or3_b32 v11, v11, v163, v164
	v_cmp_ne_u32_e32 vcc_lo, 0, v144
	s_delay_alu instid0(VALU_DEP_2) | instskip(NEXT) | instid1(VALU_DEP_1)
	v_lshlrev_b32_e32 v11, 8, v11
	v_cndmask_b32_e32 v144, 0, v11, vcc_lo
.LBB4_8846:                             ;   in Loop: Header=BB4_8848 Depth=3
	s_or_b32 exec_lo, exec_lo, s34
.LBB4_8847:                             ;   in Loop: Header=BB4_8848 Depth=3
	s_delay_alu instid0(SALU_CYCLE_1)
	s_or_b32 exec_lo, exec_lo, s31
	v_or_b32_e32 v9, v9, v160
	v_and_b32_e32 v11, 0xff, v151
	v_lshlrev_b32_e32 v145, 8, v145
	v_and_b32_e32 v147, 0xff, v147
	v_lshlrev_b32_e32 v148, 8, v148
	v_or_b32_e32 v134, v144, v134
	v_and_b32_e32 v146, 0xff, v161
	v_lshlrev_b32_e32 v8, 24, v8
	v_lshlrev_b32_e32 v9, 16, v9
	;; [unrolled: 1-line block ×3, first 2 shown]
	v_perm_b32 v133, v145, v133, 0xc0c0500
	v_lshlrev_b32_e32 v10, 24, v10
	v_lshlrev_b32_e32 v144, 16, v147
	v_perm_b32 v145, v148, v150, 0xc0c0500
	v_and_b32_e32 v135, 0xff, v135
	v_lshlrev_b32_e32 v134, 16, v134
	v_add_co_u32 v12, vcc_lo, v12, v101
	v_or3_b32 v9, v162, v146, v9
	v_or3_b32 v8, v8, v11, v133
	;; [unrolled: 1-line block ×4, first 2 shown]
	v_sub_nc_u32_e32 v64, v64, v85
	v_add_co_ci_u32_e32 v13, vcc_lo, v13, v102, vcc_lo
	v_add_co_u32 v14, vcc_lo, v14, v101
	v_add_co_ci_u32_e32 v15, vcc_lo, v15, v102, vcc_lo
	global_store_b128 v[53:54], v[8:11], off glc slc dlc
	v_cmp_gt_i32_e32 vcc_lo, 16, v64
	v_add_co_u32 v53, s14, v53, v101
	s_delay_alu instid0(VALU_DEP_1) | instskip(SKIP_2) | instid1(SALU_CYCLE_1)
	v_add_co_ci_u32_e64 v54, s14, v54, v102, s14
	v_sub_nc_u32_e32 v68, v68, v81
	s_or_b32 s17, vcc_lo, s17
	s_and_not1_b32 exec_lo, exec_lo, s17
	s_cbranch_execz .LBB4_9495
.LBB4_8848:                             ;   Parent Loop BB4_51 Depth=1
                                        ;     Parent Loop BB4_4786 Depth=2
                                        ; =>    This Inner Loop Header: Depth=3
	v_cmp_gt_i16_e32 vcc_lo, 0x80, v69
	s_cbranch_vccnz .LBB4_8852
; %bb.8849:                             ;   in Loop: Header=BB4_8848 Depth=3
	v_cmp_eq_u16_e32 vcc_lo, 0x80, v69
	s_mov_b32 s14, -1
                                        ; implicit-def: $sgpr31
	s_cbranch_vccz .LBB4_8851
; %bb.8850:                             ;   in Loop: Header=BB4_8848 Depth=3
	s_mov_b32 s14, 0
	s_mov_b32 s31, 0x7f800001
.LBB4_8851:                             ;   in Loop: Header=BB4_8848 Depth=3
	s_mov_b32 vcc_lo, 0
	s_branch .LBB4_8853
.LBB4_8852:                             ;   in Loop: Header=BB4_8848 Depth=3
	s_mov_b32 vcc_lo, -1
	s_mov_b32 s14, 0
                                        ; implicit-def: $sgpr31
.LBB4_8853:                             ;   in Loop: Header=BB4_8848 Depth=3
	s_and_b32 vcc_lo, exec_lo, vcc_lo
	s_cbranch_vccz .LBB4_8855
; %bb.8854:                             ;   in Loop: Header=BB4_8848 Depth=3
	v_cmp_ne_u16_e64 s14, 0, v69
	s_mov_b32 s31, 0
.LBB4_8855:                             ;   in Loop: Header=BB4_8848 Depth=3
	s_delay_alu instid0(VALU_DEP_1)
	s_and_not1_b32 vcc_lo, exec_lo, s14
	s_cbranch_vccnz .LBB4_8857
; %bb.8856:                             ;   in Loop: Header=BB4_8848 Depth=3
	s_mov_b32 s31, s30
.LBB4_8857:                             ;   in Loop: Header=BB4_8848 Depth=3
	global_load_b128 v[8:11], v[12:13], off slc dlc
	s_mov_b32 s14, 0
	s_mov_b32 s35, exec_lo
                                        ; implicit-def: $sgpr34
	s_waitcnt vmcnt(0)
	v_and_b32_e32 v134, 0xff, v8
	s_delay_alu instid0(VALU_DEP_1)
	v_cmpx_lt_i16_e64 0x7f, v134
	s_xor_b32 s35, exec_lo, s35
	s_cbranch_execnz .LBB4_9303
; %bb.8858:                             ;   in Loop: Header=BB4_8848 Depth=3
	s_or_saveexec_b32 s35, s35
	v_mov_b32_e32 v133, s34
	s_xor_b32 exec_lo, exec_lo, s35
	s_cbranch_execnz .LBB4_9306
.LBB4_8859:                             ;   in Loop: Header=BB4_8848 Depth=3
	s_or_b32 exec_lo, exec_lo, s35
	s_and_saveexec_b32 s34, s14
	s_cbranch_execz .LBB4_8861
.LBB4_8860:                             ;   in Loop: Header=BB4_8848 Depth=3
	v_bfe_u32 v144, v8, 2, 5
	v_lshlrev_b32_e32 v145, 24, v8
	s_delay_alu instid0(VALU_DEP_2) | instskip(SKIP_1) | instid1(VALU_DEP_1)
	v_cmp_eq_u32_e32 vcc_lo, 0, v144
	v_and_b32_e32 v133, 3, v8
	v_clz_i32_u32_e32 v134, v133
	s_delay_alu instid0(VALU_DEP_1) | instskip(NEXT) | instid1(VALU_DEP_1)
	v_min_u32_e32 v134, 32, v134
	v_subrev_nc_u32_e32 v135, 29, v134
	v_sub_nc_u32_e32 v134, 30, v134
	s_delay_alu instid0(VALU_DEP_1) | instskip(NEXT) | instid1(VALU_DEP_1)
	v_dual_cndmask_b32 v134, v144, v134 :: v_dual_lshlrev_b32 v135, v135, v8
	v_and_b32_e32 v135, 3, v135
	s_delay_alu instid0(VALU_DEP_2) | instskip(NEXT) | instid1(VALU_DEP_2)
	v_lshl_add_u32 v134, v134, 23, 0x37800000
	v_cndmask_b32_e32 v133, v133, v135, vcc_lo
	v_and_b32_e32 v135, 0x80000000, v145
	s_delay_alu instid0(VALU_DEP_2) | instskip(NEXT) | instid1(VALU_DEP_1)
	v_lshlrev_b32_e32 v133, 21, v133
	v_or3_b32 v133, v135, v134, v133
.LBB4_8861:                             ;   in Loop: Header=BB4_8848 Depth=3
	s_or_b32 exec_lo, exec_lo, s34
	s_delay_alu instid0(VALU_DEP_1) | instskip(NEXT) | instid1(VALU_DEP_1)
	v_mul_f32_e32 v134, s31, v133
	v_and_b32_e32 v133, 0x7f800000, v134
	s_delay_alu instid0(VALU_DEP_1)
	v_cmp_ne_u32_e32 vcc_lo, 0x7f800000, v133
	v_mov_b32_e32 v133, 0x80
	s_and_saveexec_b32 s34, vcc_lo
	s_cbranch_execz .LBB4_8869
; %bb.8862:                             ;   in Loop: Header=BB4_8848 Depth=3
	v_mov_b32_e32 v133, 0
	s_mov_b32 s35, exec_lo
	v_cmpx_ne_u32_e32 0, v134
	s_cbranch_execz .LBB4_8868
; %bb.8863:                             ;   in Loop: Header=BB4_8848 Depth=3
	v_bfe_u32 v133, v134, 23, 8
	s_delay_alu instid0(VALU_DEP_1) | instskip(SKIP_1) | instid1(VALU_DEP_2)
	v_sub_nc_u32_e32 v144, 0x70, v133
	v_cmp_gt_u32_e32 vcc_lo, 0x71, v133
	v_dual_cndmask_b32 v144, 0, v144 :: v_dual_and_b32 v135, 0x7fffff, v134
	s_delay_alu instid0(VALU_DEP_1) | instskip(SKIP_2) | instid1(VALU_DEP_4)
	v_or_b32_e32 v145, 0x800000, v135
	v_cmp_eq_u32_e32 vcc_lo, 0, v133
	v_add_nc_u32_e32 v133, 0xffffff91, v133
	v_cndmask_b32_e64 v144, v144, 0x6f, vcc_lo
	s_delay_alu instid0(VALU_DEP_2) | instskip(SKIP_1) | instid1(VALU_DEP_3)
	v_cndmask_b32_e64 v133, v133, 0xffffff92, vcc_lo
	v_cndmask_b32_e32 v135, v145, v135, vcc_lo
	v_lshl_add_u32 v145, 0x200000, v144, -1
	v_lshlrev_b32_e64 v148, v144, 0x100000
	s_delay_alu instid0(VALU_DEP_3) | instskip(SKIP_1) | instid1(VALU_DEP_4)
	v_lshrrev_b32_e32 v146, v144, v135
	v_add_nc_u32_e32 v144, v144, v133
	v_and_b32_e32 v135, v145, v135
	s_delay_alu instid0(VALU_DEP_3) | instskip(NEXT) | instid1(VALU_DEP_2)
	v_bfe_u32 v147, v146, 21, 1
	v_cmp_eq_u32_e64 s14, v135, v148
	s_delay_alu instid0(VALU_DEP_2) | instskip(NEXT) | instid1(VALU_DEP_1)
	v_add_nc_u32_e32 v145, -1, v147
	v_cndmask_b32_e64 v135, 0, v145, s14
	v_lshrrev_b32_e32 v145, 23, v146
	s_mov_b32 s14, exec_lo
	s_delay_alu instid0(VALU_DEP_2) | instskip(NEXT) | instid1(VALU_DEP_2)
	v_add_nc_u32_e32 v135, v135, v146
	v_xor_b32_e32 v145, 1, v145
	s_delay_alu instid0(VALU_DEP_2) | instskip(NEXT) | instid1(VALU_DEP_1)
	v_and_b32_e32 v133, 0x1fffff, v135
	v_add_nc_u32_e32 v135, v133, v146
                                        ; implicit-def: $vgpr133
	s_delay_alu instid0(VALU_DEP_3)
	v_cmpx_ne_u32_e64 v144, v145
	s_xor_b32 s14, exec_lo, s14
; %bb.8864:                             ;   in Loop: Header=BB4_8848 Depth=3
	s_delay_alu instid0(VALU_DEP_2) | instskip(SKIP_2) | instid1(VALU_DEP_2)
	v_cmp_lt_u32_e32 vcc_lo, 0xffffff, v135
	v_sub_nc_u32_e32 v133, v144, v145
	v_cndmask_b32_e64 v144, 0, 1, vcc_lo
	v_add_co_ci_u32_e32 v133, vcc_lo, 0, v133, vcc_lo
	s_delay_alu instid0(VALU_DEP_2)
	v_lshrrev_b32_e32 v135, v144, v135
; %bb.8865:                             ;   in Loop: Header=BB4_8848 Depth=3
	s_and_not1_saveexec_b32 s14, s14
; %bb.8866:                             ;   in Loop: Header=BB4_8848 Depth=3
	s_delay_alu instid0(VALU_DEP_1)
	v_bfe_u32 v133, v135, 23, 1
; %bb.8867:                             ;   in Loop: Header=BB4_8848 Depth=3
	s_or_b32 exec_lo, exec_lo, s14
	v_lshrrev_b32_e32 v135, 21, v135
	s_delay_alu instid0(VALU_DEP_2) | instskip(SKIP_2) | instid1(VALU_DEP_2)
	v_cmp_gt_i32_e32 vcc_lo, 32, v133
	v_lshrrev_b32_e32 v134, 24, v134
	v_min_i32_e32 v144, 31, v133
	v_dual_cndmask_b32 v135, 3, v135 :: v_dual_and_b32 v134, 0x80, v134
	s_delay_alu instid0(VALU_DEP_1) | instskip(SKIP_1) | instid1(VALU_DEP_2)
	v_or_b32_e32 v133, v133, v135
	v_and_b32_e32 v145, 3, v135
	v_cmp_ne_u32_e32 vcc_lo, 0, v133
	v_lshlrev_b32_e32 v144, 2, v144
	s_delay_alu instid0(VALU_DEP_1) | instskip(NEXT) | instid1(VALU_DEP_1)
	v_or3_b32 v134, v144, v134, v145
	v_cndmask_b32_e32 v133, 0, v134, vcc_lo
.LBB4_8868:                             ;   in Loop: Header=BB4_8848 Depth=3
	s_or_b32 exec_lo, exec_lo, s35
.LBB4_8869:                             ;   in Loop: Header=BB4_8848 Depth=3
	s_delay_alu instid0(SALU_CYCLE_1) | instskip(SKIP_3) | instid1(VALU_DEP_1)
	s_or_b32 exec_lo, exec_lo, s34
	v_lshrrev_b16 v134, 8, v8
	s_mov_b32 s14, 0
	s_mov_b32 s35, exec_lo
                                        ; implicit-def: $sgpr34
	v_cmpx_lt_i16_e64 0x7f, v134
	s_xor_b32 s35, exec_lo, s35
	s_cbranch_execnz .LBB4_9307
; %bb.8870:                             ;   in Loop: Header=BB4_8848 Depth=3
	s_or_saveexec_b32 s35, s35
	v_mov_b32_e32 v135, s34
	s_xor_b32 exec_lo, exec_lo, s35
	s_cbranch_execnz .LBB4_9310
.LBB4_8871:                             ;   in Loop: Header=BB4_8848 Depth=3
	s_or_b32 exec_lo, exec_lo, s35
	s_and_saveexec_b32 s34, s14
	s_cbranch_execz .LBB4_8873
.LBB4_8872:                             ;   in Loop: Header=BB4_8848 Depth=3
	v_and_b32_e32 v135, 0xffff, v134
	v_lshlrev_b32_e32 v134, 24, v134
	s_delay_alu instid0(VALU_DEP_2) | instskip(NEXT) | instid1(VALU_DEP_2)
	v_and_b32_e32 v144, 3, v135
	v_and_b32_e32 v134, 0x80000000, v134
	s_delay_alu instid0(VALU_DEP_2) | instskip(NEXT) | instid1(VALU_DEP_1)
	v_clz_i32_u32_e32 v145, v144
	v_min_u32_e32 v145, 32, v145
	s_delay_alu instid0(VALU_DEP_1) | instskip(SKIP_1) | instid1(VALU_DEP_2)
	v_subrev_nc_u32_e32 v146, 29, v145
	v_sub_nc_u32_e32 v145, 30, v145
	v_lshlrev_b32_e32 v146, v146, v135
	v_bfe_u32 v135, v135, 2, 5
	s_delay_alu instid0(VALU_DEP_2) | instskip(NEXT) | instid1(VALU_DEP_2)
	v_and_b32_e32 v146, 3, v146
	v_cmp_eq_u32_e32 vcc_lo, 0, v135
	s_delay_alu instid0(VALU_DEP_2) | instskip(NEXT) | instid1(VALU_DEP_1)
	v_dual_cndmask_b32 v135, v135, v145 :: v_dual_cndmask_b32 v144, v144, v146
	v_lshl_add_u32 v135, v135, 23, 0x37800000
	s_delay_alu instid0(VALU_DEP_2) | instskip(NEXT) | instid1(VALU_DEP_1)
	v_lshlrev_b32_e32 v144, 21, v144
	v_or3_b32 v135, v134, v135, v144
.LBB4_8873:                             ;   in Loop: Header=BB4_8848 Depth=3
	s_or_b32 exec_lo, exec_lo, s34
	s_delay_alu instid0(VALU_DEP_1) | instskip(SKIP_1) | instid1(VALU_DEP_1)
	v_dual_mul_f32 v134, s31, v135 :: v_dual_mov_b32 v145, 0x80
	s_mov_b32 s34, exec_lo
	v_and_b32_e32 v135, 0x7f800000, v134
	s_delay_alu instid0(VALU_DEP_1)
	v_cmpx_ne_u32_e32 0x7f800000, v135
	s_cbranch_execz .LBB4_8881
; %bb.8874:                             ;   in Loop: Header=BB4_8848 Depth=3
	v_mov_b32_e32 v145, 0
	s_mov_b32 s35, exec_lo
	v_cmpx_ne_u32_e32 0, v134
	s_cbranch_execz .LBB4_8880
; %bb.8875:                             ;   in Loop: Header=BB4_8848 Depth=3
	v_bfe_u32 v135, v134, 23, 8
	s_delay_alu instid0(VALU_DEP_1) | instskip(SKIP_1) | instid1(VALU_DEP_2)
	v_sub_nc_u32_e32 v145, 0x70, v135
	v_cmp_gt_u32_e32 vcc_lo, 0x71, v135
	v_dual_cndmask_b32 v145, 0, v145 :: v_dual_and_b32 v144, 0x7fffff, v134
	s_delay_alu instid0(VALU_DEP_1) | instskip(SKIP_2) | instid1(VALU_DEP_4)
	v_or_b32_e32 v146, 0x800000, v144
	v_cmp_eq_u32_e32 vcc_lo, 0, v135
	v_add_nc_u32_e32 v135, 0xffffff91, v135
	v_cndmask_b32_e64 v145, v145, 0x6f, vcc_lo
	s_delay_alu instid0(VALU_DEP_4) | instskip(NEXT) | instid1(VALU_DEP_3)
	v_cndmask_b32_e32 v144, v146, v144, vcc_lo
	v_cndmask_b32_e64 v135, v135, 0xffffff92, vcc_lo
	s_delay_alu instid0(VALU_DEP_3) | instskip(NEXT) | instid1(VALU_DEP_3)
	v_lshl_add_u32 v146, 0x200000, v145, -1
	v_lshrrev_b32_e32 v147, v145, v144
	v_lshlrev_b32_e64 v149, v145, 0x100000
	s_delay_alu instid0(VALU_DEP_4) | instskip(NEXT) | instid1(VALU_DEP_4)
	v_add_nc_u32_e32 v145, v145, v135
	v_and_b32_e32 v144, v146, v144
	s_delay_alu instid0(VALU_DEP_4) | instskip(NEXT) | instid1(VALU_DEP_2)
	v_bfe_u32 v148, v147, 21, 1
	v_cmp_eq_u32_e64 s14, v144, v149
	s_delay_alu instid0(VALU_DEP_2) | instskip(NEXT) | instid1(VALU_DEP_1)
	v_add_nc_u32_e32 v146, -1, v148
	v_cndmask_b32_e64 v144, 0, v146, s14
	v_lshrrev_b32_e32 v146, 23, v147
	s_mov_b32 s14, exec_lo
	s_delay_alu instid0(VALU_DEP_2) | instskip(NEXT) | instid1(VALU_DEP_2)
	v_add_nc_u32_e32 v144, v144, v147
	v_xor_b32_e32 v146, 1, v146
	s_delay_alu instid0(VALU_DEP_2) | instskip(NEXT) | instid1(VALU_DEP_1)
	v_and_b32_e32 v135, 0x1fffff, v144
	v_add_nc_u32_e32 v144, v135, v147
                                        ; implicit-def: $vgpr135
	s_delay_alu instid0(VALU_DEP_3)
	v_cmpx_ne_u32_e64 v145, v146
	s_xor_b32 s14, exec_lo, s14
; %bb.8876:                             ;   in Loop: Header=BB4_8848 Depth=3
	s_delay_alu instid0(VALU_DEP_2) | instskip(SKIP_2) | instid1(VALU_DEP_2)
	v_cmp_lt_u32_e32 vcc_lo, 0xffffff, v144
	v_sub_nc_u32_e32 v135, v145, v146
	v_cndmask_b32_e64 v145, 0, 1, vcc_lo
	v_add_co_ci_u32_e32 v135, vcc_lo, 0, v135, vcc_lo
	s_delay_alu instid0(VALU_DEP_2)
	v_lshrrev_b32_e32 v144, v145, v144
; %bb.8877:                             ;   in Loop: Header=BB4_8848 Depth=3
	s_and_not1_saveexec_b32 s14, s14
; %bb.8878:                             ;   in Loop: Header=BB4_8848 Depth=3
	s_delay_alu instid0(VALU_DEP_1)
	v_bfe_u32 v135, v144, 23, 1
; %bb.8879:                             ;   in Loop: Header=BB4_8848 Depth=3
	s_or_b32 exec_lo, exec_lo, s14
	v_lshrrev_b32_e32 v144, 21, v144
	s_delay_alu instid0(VALU_DEP_2) | instskip(SKIP_2) | instid1(VALU_DEP_2)
	v_cmp_gt_i32_e32 vcc_lo, 32, v135
	v_min_i32_e32 v145, 31, v135
	v_lshrrev_b32_e32 v134, 24, v134
	v_dual_cndmask_b32 v144, 3, v144 :: v_dual_lshlrev_b32 v145, 2, v145
	s_delay_alu instid0(VALU_DEP_2) | instskip(NEXT) | instid1(VALU_DEP_2)
	v_and_b32_e32 v134, 0x80, v134
	v_or_b32_e32 v135, v135, v144
	s_delay_alu instid0(VALU_DEP_1) | instskip(SKIP_1) | instid1(VALU_DEP_1)
	v_cmp_ne_u32_e32 vcc_lo, 0, v135
	v_and_b32_e32 v146, 3, v144
	v_or3_b32 v134, v145, v134, v146
	s_delay_alu instid0(VALU_DEP_1)
	v_cndmask_b32_e32 v145, 0, v134, vcc_lo
.LBB4_8880:                             ;   in Loop: Header=BB4_8848 Depth=3
	s_or_b32 exec_lo, exec_lo, s35
.LBB4_8881:                             ;   in Loop: Header=BB4_8848 Depth=3
	s_delay_alu instid0(SALU_CYCLE_1) | instskip(SKIP_3) | instid1(VALU_DEP_1)
	s_or_b32 exec_lo, exec_lo, s34
	v_lshrrev_b32_e32 v134, 16, v8
	s_mov_b32 s14, 0
	s_mov_b32 s35, exec_lo
                                        ; implicit-def: $sgpr34
	v_and_b32_e32 v144, 0xff, v134
	s_delay_alu instid0(VALU_DEP_1)
	v_cmpx_lt_i16_e64 0x7f, v144
	s_xor_b32 s35, exec_lo, s35
	s_cbranch_execnz .LBB4_9311
; %bb.8882:                             ;   in Loop: Header=BB4_8848 Depth=3
	s_or_saveexec_b32 s35, s35
	v_mov_b32_e32 v135, s34
	s_xor_b32 exec_lo, exec_lo, s35
	s_cbranch_execnz .LBB4_9314
.LBB4_8883:                             ;   in Loop: Header=BB4_8848 Depth=3
	s_or_b32 exec_lo, exec_lo, s35
	s_and_saveexec_b32 s34, s14
	s_cbranch_execz .LBB4_8885
.LBB4_8884:                             ;   in Loop: Header=BB4_8848 Depth=3
	v_bfe_u32 v135, v8, 16, 2
	s_delay_alu instid0(VALU_DEP_1) | instskip(NEXT) | instid1(VALU_DEP_1)
	v_clz_i32_u32_e32 v144, v135
	v_min_u32_e32 v144, 32, v144
	s_delay_alu instid0(VALU_DEP_1) | instskip(SKIP_1) | instid1(VALU_DEP_2)
	v_subrev_nc_u32_e32 v146, 29, v144
	v_sub_nc_u32_e32 v144, 30, v144
	v_lshlrev_b32_e32 v134, v146, v134
	v_bfe_u32 v146, v8, 18, 5
	s_delay_alu instid0(VALU_DEP_2) | instskip(NEXT) | instid1(VALU_DEP_2)
	v_and_b32_e32 v134, 3, v134
	v_cmp_eq_u32_e32 vcc_lo, 0, v146
	s_delay_alu instid0(VALU_DEP_2) | instskip(NEXT) | instid1(VALU_DEP_1)
	v_dual_cndmask_b32 v134, v135, v134 :: v_dual_lshlrev_b32 v147, 8, v8
	v_dual_cndmask_b32 v144, v146, v144 :: v_dual_and_b32 v135, 0x80000000, v147
	s_delay_alu instid0(VALU_DEP_2) | instskip(NEXT) | instid1(VALU_DEP_2)
	v_lshlrev_b32_e32 v134, 21, v134
	v_lshl_add_u32 v144, v144, 23, 0x37800000
	s_delay_alu instid0(VALU_DEP_1)
	v_or3_b32 v135, v135, v144, v134
.LBB4_8885:                             ;   in Loop: Header=BB4_8848 Depth=3
	s_or_b32 exec_lo, exec_lo, s34
	s_delay_alu instid0(VALU_DEP_1) | instskip(SKIP_1) | instid1(VALU_DEP_1)
	v_dual_mul_f32 v134, s31, v135 :: v_dual_mov_b32 v151, 0x80
	s_mov_b32 s34, exec_lo
	v_and_b32_e32 v135, 0x7f800000, v134
	s_delay_alu instid0(VALU_DEP_1)
	v_cmpx_ne_u32_e32 0x7f800000, v135
	s_cbranch_execz .LBB4_8893
; %bb.8886:                             ;   in Loop: Header=BB4_8848 Depth=3
	v_mov_b32_e32 v151, 0
	s_mov_b32 s35, exec_lo
	v_cmpx_ne_u32_e32 0, v134
	s_cbranch_execz .LBB4_8892
; %bb.8887:                             ;   in Loop: Header=BB4_8848 Depth=3
	v_bfe_u32 v135, v134, 23, 8
	v_and_b32_e32 v144, 0x7fffff, v134
	s_delay_alu instid0(VALU_DEP_2) | instskip(SKIP_1) | instid1(VALU_DEP_3)
	v_sub_nc_u32_e32 v146, 0x70, v135
	v_cmp_gt_u32_e32 vcc_lo, 0x71, v135
	v_or_b32_e32 v147, 0x800000, v144
	s_delay_alu instid0(VALU_DEP_3) | instskip(SKIP_2) | instid1(VALU_DEP_3)
	v_cndmask_b32_e32 v146, 0, v146, vcc_lo
	v_cmp_eq_u32_e32 vcc_lo, 0, v135
	v_add_nc_u32_e32 v135, 0xffffff91, v135
	v_cndmask_b32_e64 v146, v146, 0x6f, vcc_lo
	v_cndmask_b32_e32 v144, v147, v144, vcc_lo
	s_delay_alu instid0(VALU_DEP_3) | instskip(NEXT) | instid1(VALU_DEP_3)
	v_cndmask_b32_e64 v135, v135, 0xffffff92, vcc_lo
	v_lshl_add_u32 v147, 0x200000, v146, -1
	s_delay_alu instid0(VALU_DEP_3) | instskip(SKIP_1) | instid1(VALU_DEP_4)
	v_lshrrev_b32_e32 v148, v146, v144
	v_lshlrev_b32_e64 v150, v146, 0x100000
	v_add_nc_u32_e32 v146, v146, v135
	s_delay_alu instid0(VALU_DEP_4) | instskip(NEXT) | instid1(VALU_DEP_4)
	v_and_b32_e32 v144, v147, v144
	v_bfe_u32 v149, v148, 21, 1
	s_delay_alu instid0(VALU_DEP_2) | instskip(NEXT) | instid1(VALU_DEP_2)
	v_cmp_eq_u32_e64 s14, v144, v150
	v_add_nc_u32_e32 v147, -1, v149
	s_delay_alu instid0(VALU_DEP_1) | instskip(SKIP_2) | instid1(VALU_DEP_2)
	v_cndmask_b32_e64 v144, 0, v147, s14
	v_lshrrev_b32_e32 v147, 23, v148
	s_mov_b32 s14, exec_lo
	v_add_nc_u32_e32 v144, v144, v148
	s_delay_alu instid0(VALU_DEP_2) | instskip(NEXT) | instid1(VALU_DEP_2)
	v_xor_b32_e32 v147, 1, v147
	v_and_b32_e32 v135, 0x1fffff, v144
	s_delay_alu instid0(VALU_DEP_1) | instskip(NEXT) | instid1(VALU_DEP_3)
	v_add_nc_u32_e32 v144, v135, v148
                                        ; implicit-def: $vgpr135
	v_cmpx_ne_u32_e64 v146, v147
	s_xor_b32 s14, exec_lo, s14
; %bb.8888:                             ;   in Loop: Header=BB4_8848 Depth=3
	s_delay_alu instid0(VALU_DEP_2) | instskip(SKIP_2) | instid1(VALU_DEP_2)
	v_cmp_lt_u32_e32 vcc_lo, 0xffffff, v144
	v_sub_nc_u32_e32 v135, v146, v147
	v_cndmask_b32_e64 v146, 0, 1, vcc_lo
	v_add_co_ci_u32_e32 v135, vcc_lo, 0, v135, vcc_lo
	s_delay_alu instid0(VALU_DEP_2)
	v_lshrrev_b32_e32 v144, v146, v144
; %bb.8889:                             ;   in Loop: Header=BB4_8848 Depth=3
	s_and_not1_saveexec_b32 s14, s14
; %bb.8890:                             ;   in Loop: Header=BB4_8848 Depth=3
	s_delay_alu instid0(VALU_DEP_1)
	v_bfe_u32 v135, v144, 23, 1
; %bb.8891:                             ;   in Loop: Header=BB4_8848 Depth=3
	s_or_b32 exec_lo, exec_lo, s14
	v_lshrrev_b32_e32 v144, 21, v144
	s_delay_alu instid0(VALU_DEP_2) | instskip(SKIP_2) | instid1(VALU_DEP_4)
	v_cmp_gt_i32_e32 vcc_lo, 32, v135
	v_lshrrev_b32_e32 v134, 24, v134
	v_min_i32_e32 v146, 31, v135
	v_cndmask_b32_e32 v144, 3, v144, vcc_lo
	s_delay_alu instid0(VALU_DEP_3) | instskip(NEXT) | instid1(VALU_DEP_3)
	v_and_b32_e32 v134, 0x80, v134
	v_lshlrev_b32_e32 v146, 2, v146
	s_delay_alu instid0(VALU_DEP_3) | instskip(SKIP_1) | instid1(VALU_DEP_2)
	v_and_b32_e32 v147, 3, v144
	v_or_b32_e32 v135, v135, v144
	v_or3_b32 v134, v146, v134, v147
	s_delay_alu instid0(VALU_DEP_2) | instskip(NEXT) | instid1(VALU_DEP_2)
	v_cmp_ne_u32_e32 vcc_lo, 0, v135
	v_cndmask_b32_e32 v151, 0, v134, vcc_lo
.LBB4_8892:                             ;   in Loop: Header=BB4_8848 Depth=3
	s_or_b32 exec_lo, exec_lo, s35
.LBB4_8893:                             ;   in Loop: Header=BB4_8848 Depth=3
	s_delay_alu instid0(SALU_CYCLE_1) | instskip(SKIP_3) | instid1(VALU_DEP_1)
	s_or_b32 exec_lo, exec_lo, s34
	v_lshrrev_b32_e32 v134, 24, v8
	s_mov_b32 s14, 0
	s_mov_b32 s35, exec_lo
                                        ; implicit-def: $sgpr34
	v_cmpx_lt_i16_e64 0x7f, v134
	s_xor_b32 s35, exec_lo, s35
	s_cbranch_execnz .LBB4_9315
; %bb.8894:                             ;   in Loop: Header=BB4_8848 Depth=3
	s_or_saveexec_b32 s35, s35
	v_mov_b32_e32 v135, s34
	s_xor_b32 exec_lo, exec_lo, s35
	s_cbranch_execnz .LBB4_9318
.LBB4_8895:                             ;   in Loop: Header=BB4_8848 Depth=3
	s_or_b32 exec_lo, exec_lo, s35
	s_and_saveexec_b32 s34, s14
	s_cbranch_execz .LBB4_8897
.LBB4_8896:                             ;   in Loop: Header=BB4_8848 Depth=3
	v_bfe_u32 v135, v8, 24, 2
	s_delay_alu instid0(VALU_DEP_1) | instskip(NEXT) | instid1(VALU_DEP_1)
	v_clz_i32_u32_e32 v144, v135
	v_min_u32_e32 v144, 32, v144
	s_delay_alu instid0(VALU_DEP_1) | instskip(SKIP_1) | instid1(VALU_DEP_2)
	v_subrev_nc_u32_e32 v146, 29, v144
	v_sub_nc_u32_e32 v144, 30, v144
	v_lshlrev_b32_e32 v134, v146, v134
	v_bfe_u32 v146, v8, 26, 5
	v_and_b32_e32 v8, 0x80000000, v8
	s_delay_alu instid0(VALU_DEP_3) | instskip(NEXT) | instid1(VALU_DEP_3)
	v_and_b32_e32 v134, 3, v134
	v_cmp_eq_u32_e32 vcc_lo, 0, v146
	v_cndmask_b32_e32 v144, v146, v144, vcc_lo
	s_delay_alu instid0(VALU_DEP_3) | instskip(NEXT) | instid1(VALU_DEP_2)
	v_cndmask_b32_e32 v134, v135, v134, vcc_lo
	v_lshl_add_u32 v135, v144, 23, 0x37800000
	s_delay_alu instid0(VALU_DEP_2) | instskip(NEXT) | instid1(VALU_DEP_1)
	v_lshlrev_b32_e32 v134, 21, v134
	v_or3_b32 v135, v8, v135, v134
.LBB4_8897:                             ;   in Loop: Header=BB4_8848 Depth=3
	s_or_b32 exec_lo, exec_lo, s34
	s_delay_alu instid0(VALU_DEP_1) | instskip(SKIP_2) | instid1(VALU_DEP_2)
	v_mul_f32_e32 v8, s31, v135
	v_mov_b32_e32 v162, 0x80
	s_mov_b32 s34, exec_lo
	v_and_b32_e32 v134, 0x7f800000, v8
	s_delay_alu instid0(VALU_DEP_1)
	v_cmpx_ne_u32_e32 0x7f800000, v134
	s_cbranch_execz .LBB4_8905
; %bb.8898:                             ;   in Loop: Header=BB4_8848 Depth=3
	v_mov_b32_e32 v162, 0
	s_mov_b32 s35, exec_lo
	v_cmpx_ne_u32_e32 0, v8
	s_cbranch_execz .LBB4_8904
; %bb.8899:                             ;   in Loop: Header=BB4_8848 Depth=3
	v_bfe_u32 v134, v8, 23, 8
	v_and_b32_e32 v135, 0x7fffff, v8
	s_delay_alu instid0(VALU_DEP_2) | instskip(SKIP_1) | instid1(VALU_DEP_3)
	v_sub_nc_u32_e32 v144, 0x70, v134
	v_cmp_gt_u32_e32 vcc_lo, 0x71, v134
	v_or_b32_e32 v146, 0x800000, v135
	s_delay_alu instid0(VALU_DEP_3) | instskip(SKIP_1) | instid1(VALU_DEP_3)
	v_cndmask_b32_e32 v144, 0, v144, vcc_lo
	v_cmp_eq_u32_e32 vcc_lo, 0, v134
	v_dual_cndmask_b32 v135, v146, v135 :: v_dual_add_nc_u32 v134, 0xffffff91, v134
	s_delay_alu instid0(VALU_DEP_3) | instskip(NEXT) | instid1(VALU_DEP_2)
	v_cndmask_b32_e64 v144, v144, 0x6f, vcc_lo
	v_cndmask_b32_e64 v134, v134, 0xffffff92, vcc_lo
	s_delay_alu instid0(VALU_DEP_2) | instskip(SKIP_2) | instid1(VALU_DEP_4)
	v_lshrrev_b32_e32 v147, v144, v135
	v_lshl_add_u32 v146, 0x200000, v144, -1
	v_lshlrev_b32_e64 v149, v144, 0x100000
	v_add_nc_u32_e32 v144, v144, v134
	s_delay_alu instid0(VALU_DEP_4) | instskip(NEXT) | instid1(VALU_DEP_4)
	v_bfe_u32 v148, v147, 21, 1
	v_and_b32_e32 v135, v146, v135
	s_delay_alu instid0(VALU_DEP_2) | instskip(NEXT) | instid1(VALU_DEP_2)
	v_add_nc_u32_e32 v146, -1, v148
	v_cmp_eq_u32_e64 s14, v135, v149
	s_delay_alu instid0(VALU_DEP_1) | instskip(SKIP_2) | instid1(VALU_DEP_2)
	v_cndmask_b32_e64 v135, 0, v146, s14
	v_lshrrev_b32_e32 v146, 23, v147
	s_mov_b32 s14, exec_lo
	v_add_nc_u32_e32 v135, v135, v147
	s_delay_alu instid0(VALU_DEP_2) | instskip(NEXT) | instid1(VALU_DEP_2)
	v_xor_b32_e32 v146, 1, v146
	v_and_b32_e32 v134, 0x1fffff, v135
	s_delay_alu instid0(VALU_DEP_1) | instskip(NEXT) | instid1(VALU_DEP_3)
	v_add_nc_u32_e32 v135, v134, v147
                                        ; implicit-def: $vgpr134
	v_cmpx_ne_u32_e64 v144, v146
	s_xor_b32 s14, exec_lo, s14
; %bb.8900:                             ;   in Loop: Header=BB4_8848 Depth=3
	s_delay_alu instid0(VALU_DEP_2) | instskip(SKIP_2) | instid1(VALU_DEP_2)
	v_cmp_lt_u32_e32 vcc_lo, 0xffffff, v135
	v_sub_nc_u32_e32 v134, v144, v146
	v_cndmask_b32_e64 v144, 0, 1, vcc_lo
	v_add_co_ci_u32_e32 v134, vcc_lo, 0, v134, vcc_lo
	s_delay_alu instid0(VALU_DEP_2)
	v_lshrrev_b32_e32 v135, v144, v135
; %bb.8901:                             ;   in Loop: Header=BB4_8848 Depth=3
	s_and_not1_saveexec_b32 s14, s14
; %bb.8902:                             ;   in Loop: Header=BB4_8848 Depth=3
	s_delay_alu instid0(VALU_DEP_1)
	v_bfe_u32 v134, v135, 23, 1
; %bb.8903:                             ;   in Loop: Header=BB4_8848 Depth=3
	s_or_b32 exec_lo, exec_lo, s14
	v_lshrrev_b32_e32 v135, 21, v135
	s_delay_alu instid0(VALU_DEP_2) | instskip(SKIP_2) | instid1(VALU_DEP_2)
	v_cmp_gt_i32_e32 vcc_lo, 32, v134
	v_lshrrev_b32_e32 v8, 24, v8
	v_min_i32_e32 v144, 31, v134
	v_dual_cndmask_b32 v135, 3, v135 :: v_dual_and_b32 v8, 0x80, v8
	s_delay_alu instid0(VALU_DEP_2) | instskip(NEXT) | instid1(VALU_DEP_2)
	v_lshlrev_b32_e32 v144, 2, v144
	v_and_b32_e32 v146, 3, v135
	v_or_b32_e32 v134, v134, v135
	s_delay_alu instid0(VALU_DEP_2) | instskip(NEXT) | instid1(VALU_DEP_2)
	v_or3_b32 v8, v144, v8, v146
	v_cmp_ne_u32_e32 vcc_lo, 0, v134
	s_delay_alu instid0(VALU_DEP_2)
	v_cndmask_b32_e32 v162, 0, v8, vcc_lo
.LBB4_8904:                             ;   in Loop: Header=BB4_8848 Depth=3
	s_or_b32 exec_lo, exec_lo, s35
.LBB4_8905:                             ;   in Loop: Header=BB4_8848 Depth=3
	s_delay_alu instid0(SALU_CYCLE_1) | instskip(SKIP_3) | instid1(VALU_DEP_1)
	s_or_b32 exec_lo, exec_lo, s34
	v_and_b32_e32 v134, 0xff, v9
	s_mov_b32 s14, 0
	s_mov_b32 s35, exec_lo
                                        ; implicit-def: $sgpr34
	v_cmpx_lt_i16_e64 0x7f, v134
	s_xor_b32 s35, exec_lo, s35
	s_cbranch_execnz .LBB4_9319
; %bb.8906:                             ;   in Loop: Header=BB4_8848 Depth=3
	s_or_saveexec_b32 s35, s35
	v_mov_b32_e32 v8, s34
	s_xor_b32 exec_lo, exec_lo, s35
	s_cbranch_execnz .LBB4_9322
.LBB4_8907:                             ;   in Loop: Header=BB4_8848 Depth=3
	s_or_b32 exec_lo, exec_lo, s35
	s_and_saveexec_b32 s34, s14
	s_cbranch_execz .LBB4_8909
.LBB4_8908:                             ;   in Loop: Header=BB4_8848 Depth=3
	v_and_b32_e32 v8, 3, v9
	v_bfe_u32 v144, v9, 2, 5
	v_lshlrev_b32_e32 v146, 24, v9
	s_delay_alu instid0(VALU_DEP_3) | instskip(NEXT) | instid1(VALU_DEP_3)
	v_clz_i32_u32_e32 v134, v8
	v_cmp_eq_u32_e32 vcc_lo, 0, v144
	s_delay_alu instid0(VALU_DEP_2) | instskip(NEXT) | instid1(VALU_DEP_1)
	v_min_u32_e32 v134, 32, v134
	v_subrev_nc_u32_e32 v135, 29, v134
	v_sub_nc_u32_e32 v134, 30, v134
	s_delay_alu instid0(VALU_DEP_1) | instskip(NEXT) | instid1(VALU_DEP_1)
	v_dual_cndmask_b32 v134, v144, v134 :: v_dual_lshlrev_b32 v135, v135, v9
	v_and_b32_e32 v135, 3, v135
	s_delay_alu instid0(VALU_DEP_2) | instskip(NEXT) | instid1(VALU_DEP_2)
	v_lshl_add_u32 v134, v134, 23, 0x37800000
	v_dual_cndmask_b32 v8, v8, v135 :: v_dual_and_b32 v135, 0x80000000, v146
	s_delay_alu instid0(VALU_DEP_1) | instskip(NEXT) | instid1(VALU_DEP_1)
	v_lshlrev_b32_e32 v8, 21, v8
	v_or3_b32 v8, v135, v134, v8
.LBB4_8909:                             ;   in Loop: Header=BB4_8848 Depth=3
	s_or_b32 exec_lo, exec_lo, s34
	s_delay_alu instid0(VALU_DEP_1) | instskip(SKIP_1) | instid1(VALU_DEP_1)
	v_dual_mul_f32 v8, s31, v8 :: v_dual_mov_b32 v161, 0x80
	s_mov_b32 s34, exec_lo
	v_and_b32_e32 v134, 0x7f800000, v8
	s_delay_alu instid0(VALU_DEP_1)
	v_cmpx_ne_u32_e32 0x7f800000, v134
	s_cbranch_execz .LBB4_8917
; %bb.8910:                             ;   in Loop: Header=BB4_8848 Depth=3
	v_mov_b32_e32 v161, 0
	s_mov_b32 s35, exec_lo
	v_cmpx_ne_u32_e32 0, v8
	s_cbranch_execz .LBB4_8916
; %bb.8911:                             ;   in Loop: Header=BB4_8848 Depth=3
	v_bfe_u32 v134, v8, 23, 8
	v_and_b32_e32 v135, 0x7fffff, v8
	s_delay_alu instid0(VALU_DEP_2) | instskip(SKIP_1) | instid1(VALU_DEP_3)
	v_sub_nc_u32_e32 v144, 0x70, v134
	v_cmp_gt_u32_e32 vcc_lo, 0x71, v134
	v_or_b32_e32 v146, 0x800000, v135
	s_delay_alu instid0(VALU_DEP_3) | instskip(SKIP_1) | instid1(VALU_DEP_3)
	v_cndmask_b32_e32 v144, 0, v144, vcc_lo
	v_cmp_eq_u32_e32 vcc_lo, 0, v134
	v_dual_cndmask_b32 v135, v146, v135 :: v_dual_add_nc_u32 v134, 0xffffff91, v134
	s_delay_alu instid0(VALU_DEP_3) | instskip(NEXT) | instid1(VALU_DEP_2)
	v_cndmask_b32_e64 v144, v144, 0x6f, vcc_lo
	v_cndmask_b32_e64 v134, v134, 0xffffff92, vcc_lo
	s_delay_alu instid0(VALU_DEP_2) | instskip(SKIP_2) | instid1(VALU_DEP_4)
	v_lshrrev_b32_e32 v147, v144, v135
	v_lshl_add_u32 v146, 0x200000, v144, -1
	v_lshlrev_b32_e64 v149, v144, 0x100000
	v_add_nc_u32_e32 v144, v144, v134
	s_delay_alu instid0(VALU_DEP_4) | instskip(NEXT) | instid1(VALU_DEP_4)
	v_bfe_u32 v148, v147, 21, 1
	v_and_b32_e32 v135, v146, v135
	s_delay_alu instid0(VALU_DEP_2) | instskip(NEXT) | instid1(VALU_DEP_2)
	v_add_nc_u32_e32 v146, -1, v148
	v_cmp_eq_u32_e64 s14, v135, v149
	s_delay_alu instid0(VALU_DEP_1) | instskip(SKIP_2) | instid1(VALU_DEP_2)
	v_cndmask_b32_e64 v135, 0, v146, s14
	v_lshrrev_b32_e32 v146, 23, v147
	s_mov_b32 s14, exec_lo
	v_add_nc_u32_e32 v135, v135, v147
	s_delay_alu instid0(VALU_DEP_2) | instskip(NEXT) | instid1(VALU_DEP_2)
	v_xor_b32_e32 v146, 1, v146
	v_and_b32_e32 v134, 0x1fffff, v135
	s_delay_alu instid0(VALU_DEP_1) | instskip(NEXT) | instid1(VALU_DEP_3)
	v_add_nc_u32_e32 v135, v134, v147
                                        ; implicit-def: $vgpr134
	v_cmpx_ne_u32_e64 v144, v146
	s_xor_b32 s14, exec_lo, s14
; %bb.8912:                             ;   in Loop: Header=BB4_8848 Depth=3
	s_delay_alu instid0(VALU_DEP_2) | instskip(SKIP_2) | instid1(VALU_DEP_2)
	v_cmp_lt_u32_e32 vcc_lo, 0xffffff, v135
	v_sub_nc_u32_e32 v134, v144, v146
	v_cndmask_b32_e64 v144, 0, 1, vcc_lo
	v_add_co_ci_u32_e32 v134, vcc_lo, 0, v134, vcc_lo
	s_delay_alu instid0(VALU_DEP_2)
	v_lshrrev_b32_e32 v135, v144, v135
; %bb.8913:                             ;   in Loop: Header=BB4_8848 Depth=3
	s_and_not1_saveexec_b32 s14, s14
; %bb.8914:                             ;   in Loop: Header=BB4_8848 Depth=3
	s_delay_alu instid0(VALU_DEP_1)
	v_bfe_u32 v134, v135, 23, 1
; %bb.8915:                             ;   in Loop: Header=BB4_8848 Depth=3
	s_or_b32 exec_lo, exec_lo, s14
	v_lshrrev_b32_e32 v135, 21, v135
	s_delay_alu instid0(VALU_DEP_2) | instskip(SKIP_2) | instid1(VALU_DEP_2)
	v_cmp_gt_i32_e32 vcc_lo, 32, v134
	v_min_i32_e32 v144, 31, v134
	v_lshrrev_b32_e32 v8, 24, v8
	v_dual_cndmask_b32 v135, 3, v135 :: v_dual_lshlrev_b32 v144, 2, v144
	s_delay_alu instid0(VALU_DEP_2) | instskip(NEXT) | instid1(VALU_DEP_2)
	v_and_b32_e32 v8, 0x80, v8
	v_or_b32_e32 v134, v134, v135
	s_delay_alu instid0(VALU_DEP_3) | instskip(NEXT) | instid1(VALU_DEP_2)
	v_and_b32_e32 v144, 0xfc, v144
	v_cmp_ne_u32_e32 vcc_lo, 0, v134
	v_and_b32_e32 v146, 3, v135
	s_delay_alu instid0(VALU_DEP_1) | instskip(NEXT) | instid1(VALU_DEP_1)
	v_or3_b32 v8, v144, v8, v146
	v_cndmask_b32_e32 v161, 0, v8, vcc_lo
.LBB4_8916:                             ;   in Loop: Header=BB4_8848 Depth=3
	s_or_b32 exec_lo, exec_lo, s35
.LBB4_8917:                             ;   in Loop: Header=BB4_8848 Depth=3
	s_delay_alu instid0(SALU_CYCLE_1) | instskip(SKIP_3) | instid1(VALU_DEP_1)
	s_or_b32 exec_lo, exec_lo, s34
	v_lshrrev_b16 v8, 8, v9
	s_mov_b32 s14, 0
	s_mov_b32 s35, exec_lo
                                        ; implicit-def: $sgpr34
	v_cmpx_lt_i16_e32 0x7f, v8
	s_xor_b32 s35, exec_lo, s35
	s_cbranch_execnz .LBB4_9323
; %bb.8918:                             ;   in Loop: Header=BB4_8848 Depth=3
	s_or_saveexec_b32 s35, s35
	v_mov_b32_e32 v134, s34
	s_xor_b32 exec_lo, exec_lo, s35
	s_cbranch_execnz .LBB4_9326
.LBB4_8919:                             ;   in Loop: Header=BB4_8848 Depth=3
	s_or_b32 exec_lo, exec_lo, s35
	s_and_saveexec_b32 s34, s14
	s_cbranch_execz .LBB4_8921
.LBB4_8920:                             ;   in Loop: Header=BB4_8848 Depth=3
	v_and_b32_e32 v134, 0xffff, v8
	v_lshlrev_b32_e32 v8, 24, v8
	s_delay_alu instid0(VALU_DEP_2) | instskip(NEXT) | instid1(VALU_DEP_2)
	v_and_b32_e32 v135, 3, v134
	v_and_b32_e32 v8, 0x80000000, v8
	s_delay_alu instid0(VALU_DEP_2) | instskip(NEXT) | instid1(VALU_DEP_1)
	v_clz_i32_u32_e32 v144, v135
	v_min_u32_e32 v144, 32, v144
	s_delay_alu instid0(VALU_DEP_1) | instskip(SKIP_1) | instid1(VALU_DEP_2)
	v_subrev_nc_u32_e32 v146, 29, v144
	v_sub_nc_u32_e32 v144, 30, v144
	v_lshlrev_b32_e32 v146, v146, v134
	v_bfe_u32 v134, v134, 2, 5
	s_delay_alu instid0(VALU_DEP_2) | instskip(NEXT) | instid1(VALU_DEP_2)
	v_and_b32_e32 v146, 3, v146
	v_cmp_eq_u32_e32 vcc_lo, 0, v134
	s_delay_alu instid0(VALU_DEP_2) | instskip(NEXT) | instid1(VALU_DEP_1)
	v_dual_cndmask_b32 v134, v134, v144 :: v_dual_cndmask_b32 v135, v135, v146
	v_lshl_add_u32 v134, v134, 23, 0x37800000
	s_delay_alu instid0(VALU_DEP_2) | instskip(NEXT) | instid1(VALU_DEP_1)
	v_lshlrev_b32_e32 v135, 21, v135
	v_or3_b32 v134, v8, v134, v135
.LBB4_8921:                             ;   in Loop: Header=BB4_8848 Depth=3
	s_or_b32 exec_lo, exec_lo, s34
	s_delay_alu instid0(VALU_DEP_1) | instskip(SKIP_2) | instid1(VALU_DEP_2)
	v_mul_f32_e32 v8, s31, v134
	v_mov_b32_e32 v164, 0x8000
	s_mov_b32 s34, exec_lo
	v_and_b32_e32 v134, 0x7f800000, v8
	s_delay_alu instid0(VALU_DEP_1)
	v_cmpx_ne_u32_e32 0x7f800000, v134
	s_cbranch_execz .LBB4_8929
; %bb.8922:                             ;   in Loop: Header=BB4_8848 Depth=3
	v_mov_b32_e32 v164, 0
	s_mov_b32 s35, exec_lo
	v_cmpx_ne_u32_e32 0, v8
	s_cbranch_execz .LBB4_8928
; %bb.8923:                             ;   in Loop: Header=BB4_8848 Depth=3
	v_bfe_u32 v134, v8, 23, 8
	v_and_b32_e32 v135, 0x7fffff, v8
	s_delay_alu instid0(VALU_DEP_2) | instskip(SKIP_1) | instid1(VALU_DEP_3)
	v_sub_nc_u32_e32 v144, 0x70, v134
	v_cmp_gt_u32_e32 vcc_lo, 0x71, v134
	v_or_b32_e32 v146, 0x800000, v135
	s_delay_alu instid0(VALU_DEP_3) | instskip(SKIP_1) | instid1(VALU_DEP_3)
	v_cndmask_b32_e32 v144, 0, v144, vcc_lo
	v_cmp_eq_u32_e32 vcc_lo, 0, v134
	v_dual_cndmask_b32 v135, v146, v135 :: v_dual_add_nc_u32 v134, 0xffffff91, v134
	s_delay_alu instid0(VALU_DEP_3) | instskip(NEXT) | instid1(VALU_DEP_2)
	v_cndmask_b32_e64 v144, v144, 0x6f, vcc_lo
	v_cndmask_b32_e64 v134, v134, 0xffffff92, vcc_lo
	s_delay_alu instid0(VALU_DEP_2) | instskip(SKIP_2) | instid1(VALU_DEP_4)
	v_lshrrev_b32_e32 v147, v144, v135
	v_lshl_add_u32 v146, 0x200000, v144, -1
	v_lshlrev_b32_e64 v149, v144, 0x100000
	v_add_nc_u32_e32 v144, v144, v134
	s_delay_alu instid0(VALU_DEP_4) | instskip(NEXT) | instid1(VALU_DEP_4)
	v_bfe_u32 v148, v147, 21, 1
	v_and_b32_e32 v135, v146, v135
	s_delay_alu instid0(VALU_DEP_2) | instskip(NEXT) | instid1(VALU_DEP_2)
	v_add_nc_u32_e32 v146, -1, v148
	v_cmp_eq_u32_e64 s14, v135, v149
	s_delay_alu instid0(VALU_DEP_1) | instskip(SKIP_2) | instid1(VALU_DEP_2)
	v_cndmask_b32_e64 v135, 0, v146, s14
	v_lshrrev_b32_e32 v146, 23, v147
	s_mov_b32 s14, exec_lo
	v_add_nc_u32_e32 v135, v135, v147
	s_delay_alu instid0(VALU_DEP_2) | instskip(NEXT) | instid1(VALU_DEP_2)
	v_xor_b32_e32 v146, 1, v146
	v_and_b32_e32 v134, 0x1fffff, v135
	s_delay_alu instid0(VALU_DEP_1) | instskip(NEXT) | instid1(VALU_DEP_3)
	v_add_nc_u32_e32 v135, v134, v147
                                        ; implicit-def: $vgpr134
	v_cmpx_ne_u32_e64 v144, v146
	s_xor_b32 s14, exec_lo, s14
; %bb.8924:                             ;   in Loop: Header=BB4_8848 Depth=3
	s_delay_alu instid0(VALU_DEP_2) | instskip(SKIP_2) | instid1(VALU_DEP_2)
	v_cmp_lt_u32_e32 vcc_lo, 0xffffff, v135
	v_sub_nc_u32_e32 v134, v144, v146
	v_cndmask_b32_e64 v144, 0, 1, vcc_lo
	v_add_co_ci_u32_e32 v134, vcc_lo, 0, v134, vcc_lo
	s_delay_alu instid0(VALU_DEP_2)
	v_lshrrev_b32_e32 v135, v144, v135
; %bb.8925:                             ;   in Loop: Header=BB4_8848 Depth=3
	s_and_not1_saveexec_b32 s14, s14
; %bb.8926:                             ;   in Loop: Header=BB4_8848 Depth=3
	s_delay_alu instid0(VALU_DEP_1)
	v_bfe_u32 v134, v135, 23, 1
; %bb.8927:                             ;   in Loop: Header=BB4_8848 Depth=3
	s_or_b32 exec_lo, exec_lo, s14
	v_lshrrev_b32_e32 v135, 21, v135
	s_delay_alu instid0(VALU_DEP_2) | instskip(SKIP_2) | instid1(VALU_DEP_3)
	v_min_i32_e32 v144, 31, v134
	v_cmp_gt_i32_e32 vcc_lo, 32, v134
	v_lshrrev_b32_e32 v8, 24, v8
	v_dual_cndmask_b32 v135, 3, v135 :: v_dual_lshlrev_b32 v144, 2, v144
	s_delay_alu instid0(VALU_DEP_2) | instskip(NEXT) | instid1(VALU_DEP_2)
	v_and_b32_e32 v8, 0x80, v8
	v_and_b32_e32 v144, 0xfc, v144
	s_delay_alu instid0(VALU_DEP_3) | instskip(SKIP_1) | instid1(VALU_DEP_2)
	v_and_b32_e32 v146, 3, v135
	v_or_b32_e32 v134, v134, v135
	v_or3_b32 v8, v8, v144, v146
	s_delay_alu instid0(VALU_DEP_2) | instskip(NEXT) | instid1(VALU_DEP_2)
	v_cmp_ne_u32_e32 vcc_lo, 0, v134
	v_lshlrev_b32_e32 v8, 8, v8
	s_delay_alu instid0(VALU_DEP_1)
	v_cndmask_b32_e32 v164, 0, v8, vcc_lo
.LBB4_8928:                             ;   in Loop: Header=BB4_8848 Depth=3
	s_or_b32 exec_lo, exec_lo, s35
.LBB4_8929:                             ;   in Loop: Header=BB4_8848 Depth=3
	s_delay_alu instid0(SALU_CYCLE_1) | instskip(SKIP_3) | instid1(VALU_DEP_1)
	s_or_b32 exec_lo, exec_lo, s34
	v_lshrrev_b32_e32 v8, 16, v9
	s_mov_b32 s14, 0
	s_mov_b32 s35, exec_lo
                                        ; implicit-def: $sgpr34
	v_and_b32_e32 v135, 0xff, v8
	s_delay_alu instid0(VALU_DEP_1)
	v_cmpx_lt_i16_e64 0x7f, v135
	s_xor_b32 s35, exec_lo, s35
	s_cbranch_execnz .LBB4_9327
; %bb.8930:                             ;   in Loop: Header=BB4_8848 Depth=3
	s_or_saveexec_b32 s35, s35
	v_mov_b32_e32 v134, s34
	s_xor_b32 exec_lo, exec_lo, s35
	s_cbranch_execnz .LBB4_9330
.LBB4_8931:                             ;   in Loop: Header=BB4_8848 Depth=3
	s_or_b32 exec_lo, exec_lo, s35
	s_and_saveexec_b32 s34, s14
	s_cbranch_execz .LBB4_8933
.LBB4_8932:                             ;   in Loop: Header=BB4_8848 Depth=3
	v_bfe_u32 v134, v9, 16, 2
	v_lshlrev_b32_e32 v146, 8, v9
	s_delay_alu instid0(VALU_DEP_2) | instskip(NEXT) | instid1(VALU_DEP_1)
	v_clz_i32_u32_e32 v135, v134
	v_min_u32_e32 v135, 32, v135
	s_delay_alu instid0(VALU_DEP_1) | instskip(SKIP_1) | instid1(VALU_DEP_2)
	v_subrev_nc_u32_e32 v144, 29, v135
	v_sub_nc_u32_e32 v135, 30, v135
	v_lshlrev_b32_e32 v8, v144, v8
	v_bfe_u32 v144, v9, 18, 5
	s_delay_alu instid0(VALU_DEP_1) | instskip(NEXT) | instid1(VALU_DEP_3)
	v_cmp_eq_u32_e32 vcc_lo, 0, v144
	v_dual_cndmask_b32 v135, v144, v135 :: v_dual_and_b32 v8, 3, v8
	s_delay_alu instid0(VALU_DEP_1) | instskip(SKIP_1) | instid1(VALU_DEP_3)
	v_cndmask_b32_e32 v8, v134, v8, vcc_lo
	v_and_b32_e32 v134, 0x80000000, v146
	v_lshl_add_u32 v135, v135, 23, 0x37800000
	s_delay_alu instid0(VALU_DEP_3) | instskip(NEXT) | instid1(VALU_DEP_1)
	v_lshlrev_b32_e32 v8, 21, v8
	v_or3_b32 v134, v134, v135, v8
.LBB4_8933:                             ;   in Loop: Header=BB4_8848 Depth=3
	s_or_b32 exec_lo, exec_lo, s34
	s_delay_alu instid0(VALU_DEP_1) | instskip(SKIP_2) | instid1(VALU_DEP_2)
	v_mul_f32_e32 v8, s31, v134
	v_mov_b32_e32 v160, 0x80
	s_mov_b32 s34, exec_lo
	v_and_b32_e32 v134, 0x7f800000, v8
	s_delay_alu instid0(VALU_DEP_1)
	v_cmpx_ne_u32_e32 0x7f800000, v134
	s_cbranch_execz .LBB4_8941
; %bb.8934:                             ;   in Loop: Header=BB4_8848 Depth=3
	v_mov_b32_e32 v160, 0
	s_mov_b32 s35, exec_lo
	v_cmpx_ne_u32_e32 0, v8
	s_cbranch_execz .LBB4_8940
; %bb.8935:                             ;   in Loop: Header=BB4_8848 Depth=3
	v_bfe_u32 v134, v8, 23, 8
	v_and_b32_e32 v135, 0x7fffff, v8
	s_delay_alu instid0(VALU_DEP_2) | instskip(SKIP_1) | instid1(VALU_DEP_3)
	v_sub_nc_u32_e32 v144, 0x70, v134
	v_cmp_gt_u32_e32 vcc_lo, 0x71, v134
	v_or_b32_e32 v146, 0x800000, v135
	s_delay_alu instid0(VALU_DEP_3) | instskip(SKIP_1) | instid1(VALU_DEP_3)
	v_cndmask_b32_e32 v144, 0, v144, vcc_lo
	v_cmp_eq_u32_e32 vcc_lo, 0, v134
	v_dual_cndmask_b32 v135, v146, v135 :: v_dual_add_nc_u32 v134, 0xffffff91, v134
	s_delay_alu instid0(VALU_DEP_3) | instskip(NEXT) | instid1(VALU_DEP_2)
	v_cndmask_b32_e64 v144, v144, 0x6f, vcc_lo
	v_cndmask_b32_e64 v134, v134, 0xffffff92, vcc_lo
	s_delay_alu instid0(VALU_DEP_2) | instskip(SKIP_2) | instid1(VALU_DEP_4)
	v_lshrrev_b32_e32 v147, v144, v135
	v_lshl_add_u32 v146, 0x200000, v144, -1
	v_lshlrev_b32_e64 v149, v144, 0x100000
	v_add_nc_u32_e32 v144, v144, v134
	s_delay_alu instid0(VALU_DEP_4) | instskip(NEXT) | instid1(VALU_DEP_4)
	v_bfe_u32 v148, v147, 21, 1
	v_and_b32_e32 v135, v146, v135
	s_delay_alu instid0(VALU_DEP_2) | instskip(NEXT) | instid1(VALU_DEP_2)
	v_add_nc_u32_e32 v146, -1, v148
	v_cmp_eq_u32_e64 s14, v135, v149
	s_delay_alu instid0(VALU_DEP_1) | instskip(SKIP_2) | instid1(VALU_DEP_2)
	v_cndmask_b32_e64 v135, 0, v146, s14
	v_lshrrev_b32_e32 v146, 23, v147
	s_mov_b32 s14, exec_lo
	v_add_nc_u32_e32 v135, v135, v147
	s_delay_alu instid0(VALU_DEP_2) | instskip(NEXT) | instid1(VALU_DEP_2)
	v_xor_b32_e32 v146, 1, v146
	v_and_b32_e32 v134, 0x1fffff, v135
	s_delay_alu instid0(VALU_DEP_1) | instskip(NEXT) | instid1(VALU_DEP_3)
	v_add_nc_u32_e32 v135, v134, v147
                                        ; implicit-def: $vgpr134
	v_cmpx_ne_u32_e64 v144, v146
	s_xor_b32 s14, exec_lo, s14
; %bb.8936:                             ;   in Loop: Header=BB4_8848 Depth=3
	s_delay_alu instid0(VALU_DEP_2) | instskip(SKIP_2) | instid1(VALU_DEP_2)
	v_cmp_lt_u32_e32 vcc_lo, 0xffffff, v135
	v_sub_nc_u32_e32 v134, v144, v146
	v_cndmask_b32_e64 v144, 0, 1, vcc_lo
	v_add_co_ci_u32_e32 v134, vcc_lo, 0, v134, vcc_lo
	s_delay_alu instid0(VALU_DEP_2)
	v_lshrrev_b32_e32 v135, v144, v135
; %bb.8937:                             ;   in Loop: Header=BB4_8848 Depth=3
	s_and_not1_saveexec_b32 s14, s14
; %bb.8938:                             ;   in Loop: Header=BB4_8848 Depth=3
	s_delay_alu instid0(VALU_DEP_1)
	v_bfe_u32 v134, v135, 23, 1
; %bb.8939:                             ;   in Loop: Header=BB4_8848 Depth=3
	s_or_b32 exec_lo, exec_lo, s14
	v_lshrrev_b32_e32 v135, 21, v135
	s_delay_alu instid0(VALU_DEP_2) | instskip(SKIP_2) | instid1(VALU_DEP_3)
	v_min_i32_e32 v144, 31, v134
	v_cmp_gt_i32_e32 vcc_lo, 32, v134
	v_lshrrev_b32_e32 v8, 24, v8
	v_dual_cndmask_b32 v135, 3, v135 :: v_dual_lshlrev_b32 v144, 2, v144
	s_delay_alu instid0(VALU_DEP_2) | instskip(NEXT) | instid1(VALU_DEP_2)
	v_and_b32_e32 v8, 0x80, v8
	v_and_b32_e32 v144, 0xfc, v144
	s_delay_alu instid0(VALU_DEP_3) | instskip(SKIP_1) | instid1(VALU_DEP_2)
	v_and_b32_e32 v146, 3, v135
	v_or_b32_e32 v134, v134, v135
	v_or3_b32 v8, v144, v8, v146
	s_delay_alu instid0(VALU_DEP_2) | instskip(NEXT) | instid1(VALU_DEP_2)
	v_cmp_ne_u32_e32 vcc_lo, 0, v134
	v_cndmask_b32_e32 v160, 0, v8, vcc_lo
.LBB4_8940:                             ;   in Loop: Header=BB4_8848 Depth=3
	s_or_b32 exec_lo, exec_lo, s35
.LBB4_8941:                             ;   in Loop: Header=BB4_8848 Depth=3
	s_delay_alu instid0(SALU_CYCLE_1) | instskip(SKIP_3) | instid1(VALU_DEP_1)
	s_or_b32 exec_lo, exec_lo, s34
	v_lshrrev_b32_e32 v8, 24, v9
	s_mov_b32 s14, 0
	s_mov_b32 s35, exec_lo
                                        ; implicit-def: $sgpr34
	v_cmpx_lt_i16_e32 0x7f, v8
	s_xor_b32 s35, exec_lo, s35
	s_cbranch_execnz .LBB4_9331
; %bb.8942:                             ;   in Loop: Header=BB4_8848 Depth=3
	s_or_saveexec_b32 s35, s35
	v_mov_b32_e32 v134, s34
	s_xor_b32 exec_lo, exec_lo, s35
	s_cbranch_execnz .LBB4_9334
.LBB4_8943:                             ;   in Loop: Header=BB4_8848 Depth=3
	s_or_b32 exec_lo, exec_lo, s35
	s_and_saveexec_b32 s34, s14
	s_cbranch_execz .LBB4_8945
.LBB4_8944:                             ;   in Loop: Header=BB4_8848 Depth=3
	v_bfe_u32 v134, v9, 24, 2
	s_delay_alu instid0(VALU_DEP_1) | instskip(NEXT) | instid1(VALU_DEP_1)
	v_clz_i32_u32_e32 v135, v134
	v_min_u32_e32 v135, 32, v135
	s_delay_alu instid0(VALU_DEP_1) | instskip(SKIP_1) | instid1(VALU_DEP_2)
	v_subrev_nc_u32_e32 v144, 29, v135
	v_sub_nc_u32_e32 v135, 30, v135
	v_lshlrev_b32_e32 v8, v144, v8
	v_bfe_u32 v144, v9, 26, 5
	v_and_b32_e32 v9, 0x80000000, v9
	s_delay_alu instid0(VALU_DEP_2) | instskip(NEXT) | instid1(VALU_DEP_4)
	v_cmp_eq_u32_e32 vcc_lo, 0, v144
	v_dual_cndmask_b32 v135, v144, v135 :: v_dual_and_b32 v8, 3, v8
	s_delay_alu instid0(VALU_DEP_1) | instskip(NEXT) | instid1(VALU_DEP_2)
	v_cndmask_b32_e32 v8, v134, v8, vcc_lo
	v_lshl_add_u32 v134, v135, 23, 0x37800000
	s_delay_alu instid0(VALU_DEP_2) | instskip(NEXT) | instid1(VALU_DEP_1)
	v_lshlrev_b32_e32 v8, 21, v8
	v_or3_b32 v134, v9, v134, v8
.LBB4_8945:                             ;   in Loop: Header=BB4_8848 Depth=3
	s_or_b32 exec_lo, exec_lo, s34
	s_delay_alu instid0(VALU_DEP_1) | instskip(SKIP_1) | instid1(VALU_DEP_1)
	v_dual_mul_f32 v8, s31, v134 :: v_dual_mov_b32 v163, 0x8000
	s_mov_b32 s34, exec_lo
	v_and_b32_e32 v9, 0x7f800000, v8
	s_delay_alu instid0(VALU_DEP_1)
	v_cmpx_ne_u32_e32 0x7f800000, v9
	s_cbranch_execz .LBB4_8953
; %bb.8946:                             ;   in Loop: Header=BB4_8848 Depth=3
	v_mov_b32_e32 v163, 0
	s_mov_b32 s35, exec_lo
	v_cmpx_ne_u32_e32 0, v8
	s_cbranch_execz .LBB4_8952
; %bb.8947:                             ;   in Loop: Header=BB4_8848 Depth=3
	v_bfe_u32 v9, v8, 23, 8
	s_delay_alu instid0(VALU_DEP_1) | instskip(SKIP_1) | instid1(VALU_DEP_2)
	v_sub_nc_u32_e32 v135, 0x70, v9
	v_cmp_gt_u32_e32 vcc_lo, 0x71, v9
	v_dual_cndmask_b32 v135, 0, v135 :: v_dual_and_b32 v134, 0x7fffff, v8
	s_delay_alu instid0(VALU_DEP_1) | instskip(SKIP_2) | instid1(VALU_DEP_4)
	v_or_b32_e32 v144, 0x800000, v134
	v_cmp_eq_u32_e32 vcc_lo, 0, v9
	v_add_nc_u32_e32 v9, 0xffffff91, v9
	v_cndmask_b32_e64 v135, v135, 0x6f, vcc_lo
	s_delay_alu instid0(VALU_DEP_4) | instskip(NEXT) | instid1(VALU_DEP_3)
	v_cndmask_b32_e32 v134, v144, v134, vcc_lo
	v_cndmask_b32_e64 v9, v9, 0xffffff92, vcc_lo
	s_delay_alu instid0(VALU_DEP_3) | instskip(NEXT) | instid1(VALU_DEP_3)
	v_lshl_add_u32 v144, 0x200000, v135, -1
	v_lshrrev_b32_e32 v146, v135, v134
	v_lshlrev_b32_e64 v148, v135, 0x100000
	s_delay_alu instid0(VALU_DEP_4) | instskip(NEXT) | instid1(VALU_DEP_4)
	v_add_nc_u32_e32 v135, v135, v9
	v_and_b32_e32 v134, v144, v134
	s_delay_alu instid0(VALU_DEP_4) | instskip(NEXT) | instid1(VALU_DEP_2)
	v_bfe_u32 v147, v146, 21, 1
	v_cmp_eq_u32_e64 s14, v134, v148
	s_delay_alu instid0(VALU_DEP_2) | instskip(NEXT) | instid1(VALU_DEP_1)
	v_add_nc_u32_e32 v144, -1, v147
	v_cndmask_b32_e64 v134, 0, v144, s14
	v_lshrrev_b32_e32 v144, 23, v146
	s_mov_b32 s14, exec_lo
	s_delay_alu instid0(VALU_DEP_2) | instskip(NEXT) | instid1(VALU_DEP_2)
	v_add_nc_u32_e32 v134, v134, v146
	v_xor_b32_e32 v144, 1, v144
	s_delay_alu instid0(VALU_DEP_2) | instskip(NEXT) | instid1(VALU_DEP_1)
	v_and_b32_e32 v9, 0x1fffff, v134
	v_add_nc_u32_e32 v134, v9, v146
                                        ; implicit-def: $vgpr9
	s_delay_alu instid0(VALU_DEP_3)
	v_cmpx_ne_u32_e64 v135, v144
	s_xor_b32 s14, exec_lo, s14
; %bb.8948:                             ;   in Loop: Header=BB4_8848 Depth=3
	s_delay_alu instid0(VALU_DEP_2) | instskip(SKIP_2) | instid1(VALU_DEP_2)
	v_cmp_lt_u32_e32 vcc_lo, 0xffffff, v134
	v_sub_nc_u32_e32 v9, v135, v144
	v_cndmask_b32_e64 v135, 0, 1, vcc_lo
	v_add_co_ci_u32_e32 v9, vcc_lo, 0, v9, vcc_lo
	s_delay_alu instid0(VALU_DEP_2)
	v_lshrrev_b32_e32 v134, v135, v134
; %bb.8949:                             ;   in Loop: Header=BB4_8848 Depth=3
	s_and_not1_saveexec_b32 s14, s14
; %bb.8950:                             ;   in Loop: Header=BB4_8848 Depth=3
	s_delay_alu instid0(VALU_DEP_1)
	v_bfe_u32 v9, v134, 23, 1
; %bb.8951:                             ;   in Loop: Header=BB4_8848 Depth=3
	s_or_b32 exec_lo, exec_lo, s14
	v_lshrrev_b32_e32 v134, 21, v134
	s_delay_alu instid0(VALU_DEP_2) | instskip(SKIP_2) | instid1(VALU_DEP_2)
	v_cmp_gt_i32_e32 vcc_lo, 32, v9
	v_min_i32_e32 v135, 31, v9
	v_lshrrev_b32_e32 v8, 24, v8
	v_dual_cndmask_b32 v134, 3, v134 :: v_dual_lshlrev_b32 v135, 2, v135
	s_delay_alu instid0(VALU_DEP_2) | instskip(NEXT) | instid1(VALU_DEP_2)
	v_and_b32_e32 v8, 0x80, v8
	v_or_b32_e32 v9, v9, v134
	s_delay_alu instid0(VALU_DEP_3) | instskip(NEXT) | instid1(VALU_DEP_2)
	v_and_b32_e32 v135, 0xfc, v135
	v_cmp_ne_u32_e32 vcc_lo, 0, v9
	v_and_b32_e32 v144, 3, v134
	s_delay_alu instid0(VALU_DEP_1) | instskip(NEXT) | instid1(VALU_DEP_1)
	v_or3_b32 v8, v8, v135, v144
	v_lshlrev_b32_e32 v8, 8, v8
	s_delay_alu instid0(VALU_DEP_1)
	v_cndmask_b32_e32 v163, 0, v8, vcc_lo
.LBB4_8952:                             ;   in Loop: Header=BB4_8848 Depth=3
	s_or_b32 exec_lo, exec_lo, s35
.LBB4_8953:                             ;   in Loop: Header=BB4_8848 Depth=3
	s_delay_alu instid0(SALU_CYCLE_1) | instskip(SKIP_3) | instid1(VALU_DEP_1)
	s_or_b32 exec_lo, exec_lo, s34
	v_and_b32_e32 v9, 0xff, v10
	s_mov_b32 s14, 0
	s_mov_b32 s35, exec_lo
                                        ; implicit-def: $sgpr34
	v_cmpx_lt_i16_e32 0x7f, v9
	s_xor_b32 s35, exec_lo, s35
	s_cbranch_execnz .LBB4_9335
; %bb.8954:                             ;   in Loop: Header=BB4_8848 Depth=3
	s_or_saveexec_b32 s35, s35
	v_mov_b32_e32 v8, s34
	s_xor_b32 exec_lo, exec_lo, s35
	s_cbranch_execnz .LBB4_9338
.LBB4_8955:                             ;   in Loop: Header=BB4_8848 Depth=3
	s_or_b32 exec_lo, exec_lo, s35
	s_and_saveexec_b32 s34, s14
	s_cbranch_execz .LBB4_8957
.LBB4_8956:                             ;   in Loop: Header=BB4_8848 Depth=3
	v_bfe_u32 v135, v10, 2, 5
	v_lshlrev_b32_e32 v144, 24, v10
	s_delay_alu instid0(VALU_DEP_2) | instskip(SKIP_1) | instid1(VALU_DEP_1)
	v_cmp_eq_u32_e32 vcc_lo, 0, v135
	v_and_b32_e32 v8, 3, v10
	v_clz_i32_u32_e32 v9, v8
	s_delay_alu instid0(VALU_DEP_1) | instskip(NEXT) | instid1(VALU_DEP_1)
	v_min_u32_e32 v9, 32, v9
	v_subrev_nc_u32_e32 v134, 29, v9
	v_sub_nc_u32_e32 v9, 30, v9
	s_delay_alu instid0(VALU_DEP_1) | instskip(NEXT) | instid1(VALU_DEP_1)
	v_dual_cndmask_b32 v9, v135, v9 :: v_dual_lshlrev_b32 v134, v134, v10
	v_and_b32_e32 v134, 3, v134
	s_delay_alu instid0(VALU_DEP_2) | instskip(NEXT) | instid1(VALU_DEP_2)
	v_lshl_add_u32 v9, v9, 23, 0x37800000
	v_cndmask_b32_e32 v8, v8, v134, vcc_lo
	v_and_b32_e32 v134, 0x80000000, v144
	s_delay_alu instid0(VALU_DEP_2) | instskip(NEXT) | instid1(VALU_DEP_1)
	v_lshlrev_b32_e32 v8, 21, v8
	v_or3_b32 v8, v134, v9, v8
.LBB4_8957:                             ;   in Loop: Header=BB4_8848 Depth=3
	s_or_b32 exec_lo, exec_lo, s34
	s_delay_alu instid0(VALU_DEP_1) | instskip(SKIP_2) | instid1(VALU_DEP_2)
	v_mul_f32_e32 v8, s31, v8
	v_mov_b32_e32 v150, 0x80
	s_mov_b32 s34, exec_lo
	v_and_b32_e32 v9, 0x7f800000, v8
	s_delay_alu instid0(VALU_DEP_1)
	v_cmpx_ne_u32_e32 0x7f800000, v9
	s_cbranch_execz .LBB4_8965
; %bb.8958:                             ;   in Loop: Header=BB4_8848 Depth=3
	v_mov_b32_e32 v150, 0
	s_mov_b32 s35, exec_lo
	v_cmpx_ne_u32_e32 0, v8
	s_cbranch_execz .LBB4_8964
; %bb.8959:                             ;   in Loop: Header=BB4_8848 Depth=3
	v_bfe_u32 v9, v8, 23, 8
	s_delay_alu instid0(VALU_DEP_1) | instskip(SKIP_1) | instid1(VALU_DEP_2)
	v_sub_nc_u32_e32 v135, 0x70, v9
	v_cmp_gt_u32_e32 vcc_lo, 0x71, v9
	v_dual_cndmask_b32 v135, 0, v135 :: v_dual_and_b32 v134, 0x7fffff, v8
	s_delay_alu instid0(VALU_DEP_1) | instskip(SKIP_2) | instid1(VALU_DEP_4)
	v_or_b32_e32 v144, 0x800000, v134
	v_cmp_eq_u32_e32 vcc_lo, 0, v9
	v_add_nc_u32_e32 v9, 0xffffff91, v9
	v_cndmask_b32_e64 v135, v135, 0x6f, vcc_lo
	s_delay_alu instid0(VALU_DEP_4) | instskip(NEXT) | instid1(VALU_DEP_3)
	v_cndmask_b32_e32 v134, v144, v134, vcc_lo
	v_cndmask_b32_e64 v9, v9, 0xffffff92, vcc_lo
	s_delay_alu instid0(VALU_DEP_3) | instskip(NEXT) | instid1(VALU_DEP_3)
	v_lshl_add_u32 v144, 0x200000, v135, -1
	v_lshrrev_b32_e32 v146, v135, v134
	v_lshlrev_b32_e64 v148, v135, 0x100000
	s_delay_alu instid0(VALU_DEP_4) | instskip(NEXT) | instid1(VALU_DEP_4)
	v_add_nc_u32_e32 v135, v135, v9
	v_and_b32_e32 v134, v144, v134
	s_delay_alu instid0(VALU_DEP_4) | instskip(NEXT) | instid1(VALU_DEP_2)
	v_bfe_u32 v147, v146, 21, 1
	v_cmp_eq_u32_e64 s14, v134, v148
	s_delay_alu instid0(VALU_DEP_2) | instskip(NEXT) | instid1(VALU_DEP_1)
	v_add_nc_u32_e32 v144, -1, v147
	v_cndmask_b32_e64 v134, 0, v144, s14
	v_lshrrev_b32_e32 v144, 23, v146
	s_mov_b32 s14, exec_lo
	s_delay_alu instid0(VALU_DEP_2) | instskip(NEXT) | instid1(VALU_DEP_2)
	v_add_nc_u32_e32 v134, v134, v146
	v_xor_b32_e32 v144, 1, v144
	s_delay_alu instid0(VALU_DEP_2) | instskip(NEXT) | instid1(VALU_DEP_1)
	v_and_b32_e32 v9, 0x1fffff, v134
	v_add_nc_u32_e32 v134, v9, v146
                                        ; implicit-def: $vgpr9
	s_delay_alu instid0(VALU_DEP_3)
	v_cmpx_ne_u32_e64 v135, v144
	s_xor_b32 s14, exec_lo, s14
; %bb.8960:                             ;   in Loop: Header=BB4_8848 Depth=3
	s_delay_alu instid0(VALU_DEP_2) | instskip(SKIP_2) | instid1(VALU_DEP_2)
	v_cmp_lt_u32_e32 vcc_lo, 0xffffff, v134
	v_sub_nc_u32_e32 v9, v135, v144
	v_cndmask_b32_e64 v135, 0, 1, vcc_lo
	v_add_co_ci_u32_e32 v9, vcc_lo, 0, v9, vcc_lo
	s_delay_alu instid0(VALU_DEP_2)
	v_lshrrev_b32_e32 v134, v135, v134
; %bb.8961:                             ;   in Loop: Header=BB4_8848 Depth=3
	s_and_not1_saveexec_b32 s14, s14
; %bb.8962:                             ;   in Loop: Header=BB4_8848 Depth=3
	s_delay_alu instid0(VALU_DEP_1)
	v_bfe_u32 v9, v134, 23, 1
; %bb.8963:                             ;   in Loop: Header=BB4_8848 Depth=3
	s_or_b32 exec_lo, exec_lo, s14
	v_lshrrev_b32_e32 v134, 21, v134
	s_delay_alu instid0(VALU_DEP_2) | instskip(SKIP_2) | instid1(VALU_DEP_4)
	v_cmp_gt_i32_e32 vcc_lo, 32, v9
	v_lshrrev_b32_e32 v8, 24, v8
	v_min_i32_e32 v135, 31, v9
	v_cndmask_b32_e32 v134, 3, v134, vcc_lo
	s_delay_alu instid0(VALU_DEP_3) | instskip(NEXT) | instid1(VALU_DEP_3)
	v_and_b32_e32 v8, 0x80, v8
	v_lshlrev_b32_e32 v135, 2, v135
	s_delay_alu instid0(VALU_DEP_3) | instskip(SKIP_1) | instid1(VALU_DEP_2)
	v_and_b32_e32 v144, 3, v134
	v_or_b32_e32 v9, v9, v134
	v_or3_b32 v8, v135, v8, v144
	s_delay_alu instid0(VALU_DEP_2) | instskip(NEXT) | instid1(VALU_DEP_2)
	v_cmp_ne_u32_e32 vcc_lo, 0, v9
	v_cndmask_b32_e32 v150, 0, v8, vcc_lo
.LBB4_8964:                             ;   in Loop: Header=BB4_8848 Depth=3
	s_or_b32 exec_lo, exec_lo, s35
.LBB4_8965:                             ;   in Loop: Header=BB4_8848 Depth=3
	s_delay_alu instid0(SALU_CYCLE_1) | instskip(SKIP_3) | instid1(VALU_DEP_1)
	s_or_b32 exec_lo, exec_lo, s34
	v_lshrrev_b16 v8, 8, v10
	s_mov_b32 s14, 0
	s_mov_b32 s35, exec_lo
                                        ; implicit-def: $sgpr34
	v_cmpx_lt_i16_e32 0x7f, v8
	s_xor_b32 s35, exec_lo, s35
	s_cbranch_execnz .LBB4_9339
; %bb.8966:                             ;   in Loop: Header=BB4_8848 Depth=3
	s_or_saveexec_b32 s35, s35
	v_mov_b32_e32 v9, s34
	s_xor_b32 exec_lo, exec_lo, s35
	s_cbranch_execnz .LBB4_9342
.LBB4_8967:                             ;   in Loop: Header=BB4_8848 Depth=3
	s_or_b32 exec_lo, exec_lo, s35
	s_and_saveexec_b32 s34, s14
	s_cbranch_execz .LBB4_8969
.LBB4_8968:                             ;   in Loop: Header=BB4_8848 Depth=3
	v_and_b32_e32 v9, 0xffff, v8
	v_lshlrev_b32_e32 v8, 24, v8
	s_delay_alu instid0(VALU_DEP_2) | instskip(NEXT) | instid1(VALU_DEP_2)
	v_and_b32_e32 v134, 3, v9
	v_and_b32_e32 v8, 0x80000000, v8
	s_delay_alu instid0(VALU_DEP_2) | instskip(NEXT) | instid1(VALU_DEP_1)
	v_clz_i32_u32_e32 v135, v134
	v_min_u32_e32 v135, 32, v135
	s_delay_alu instid0(VALU_DEP_1) | instskip(SKIP_1) | instid1(VALU_DEP_2)
	v_subrev_nc_u32_e32 v144, 29, v135
	v_sub_nc_u32_e32 v135, 30, v135
	v_lshlrev_b32_e32 v144, v144, v9
	v_bfe_u32 v9, v9, 2, 5
	s_delay_alu instid0(VALU_DEP_2) | instskip(NEXT) | instid1(VALU_DEP_2)
	v_and_b32_e32 v144, 3, v144
	v_cmp_eq_u32_e32 vcc_lo, 0, v9
	s_delay_alu instid0(VALU_DEP_2) | instskip(NEXT) | instid1(VALU_DEP_1)
	v_dual_cndmask_b32 v9, v9, v135 :: v_dual_cndmask_b32 v134, v134, v144
	v_lshl_add_u32 v9, v9, 23, 0x37800000
	s_delay_alu instid0(VALU_DEP_2) | instskip(NEXT) | instid1(VALU_DEP_1)
	v_lshlrev_b32_e32 v134, 21, v134
	v_or3_b32 v9, v8, v9, v134
.LBB4_8969:                             ;   in Loop: Header=BB4_8848 Depth=3
	s_or_b32 exec_lo, exec_lo, s34
	s_delay_alu instid0(VALU_DEP_1) | instskip(SKIP_2) | instid1(VALU_DEP_2)
	v_mul_f32_e32 v8, s31, v9
	v_mov_b32_e32 v148, 0x80
	s_mov_b32 s34, exec_lo
	v_and_b32_e32 v9, 0x7f800000, v8
	s_delay_alu instid0(VALU_DEP_1)
	v_cmpx_ne_u32_e32 0x7f800000, v9
	s_cbranch_execz .LBB4_8977
; %bb.8970:                             ;   in Loop: Header=BB4_8848 Depth=3
	v_mov_b32_e32 v148, 0
	s_mov_b32 s35, exec_lo
	v_cmpx_ne_u32_e32 0, v8
	s_cbranch_execz .LBB4_8976
; %bb.8971:                             ;   in Loop: Header=BB4_8848 Depth=3
	v_bfe_u32 v9, v8, 23, 8
	s_delay_alu instid0(VALU_DEP_1) | instskip(SKIP_1) | instid1(VALU_DEP_2)
	v_sub_nc_u32_e32 v135, 0x70, v9
	v_cmp_gt_u32_e32 vcc_lo, 0x71, v9
	v_dual_cndmask_b32 v135, 0, v135 :: v_dual_and_b32 v134, 0x7fffff, v8
	s_delay_alu instid0(VALU_DEP_1) | instskip(SKIP_2) | instid1(VALU_DEP_4)
	v_or_b32_e32 v144, 0x800000, v134
	v_cmp_eq_u32_e32 vcc_lo, 0, v9
	v_add_nc_u32_e32 v9, 0xffffff91, v9
	v_cndmask_b32_e64 v135, v135, 0x6f, vcc_lo
	s_delay_alu instid0(VALU_DEP_4) | instskip(NEXT) | instid1(VALU_DEP_3)
	v_cndmask_b32_e32 v134, v144, v134, vcc_lo
	v_cndmask_b32_e64 v9, v9, 0xffffff92, vcc_lo
	s_delay_alu instid0(VALU_DEP_3) | instskip(NEXT) | instid1(VALU_DEP_3)
	v_lshl_add_u32 v144, 0x200000, v135, -1
	v_lshrrev_b32_e32 v146, v135, v134
	v_lshlrev_b32_e64 v148, v135, 0x100000
	s_delay_alu instid0(VALU_DEP_4) | instskip(NEXT) | instid1(VALU_DEP_4)
	v_add_nc_u32_e32 v135, v135, v9
	v_and_b32_e32 v134, v144, v134
	s_delay_alu instid0(VALU_DEP_4) | instskip(NEXT) | instid1(VALU_DEP_2)
	v_bfe_u32 v147, v146, 21, 1
	v_cmp_eq_u32_e64 s14, v134, v148
	s_delay_alu instid0(VALU_DEP_2) | instskip(NEXT) | instid1(VALU_DEP_1)
	v_add_nc_u32_e32 v144, -1, v147
	v_cndmask_b32_e64 v134, 0, v144, s14
	v_lshrrev_b32_e32 v144, 23, v146
	s_mov_b32 s14, exec_lo
	s_delay_alu instid0(VALU_DEP_2) | instskip(NEXT) | instid1(VALU_DEP_2)
	v_add_nc_u32_e32 v134, v134, v146
	v_xor_b32_e32 v144, 1, v144
	s_delay_alu instid0(VALU_DEP_2) | instskip(NEXT) | instid1(VALU_DEP_1)
	v_and_b32_e32 v9, 0x1fffff, v134
	v_add_nc_u32_e32 v134, v9, v146
                                        ; implicit-def: $vgpr9
	s_delay_alu instid0(VALU_DEP_3)
	v_cmpx_ne_u32_e64 v135, v144
	s_xor_b32 s14, exec_lo, s14
; %bb.8972:                             ;   in Loop: Header=BB4_8848 Depth=3
	s_delay_alu instid0(VALU_DEP_2) | instskip(SKIP_2) | instid1(VALU_DEP_2)
	v_cmp_lt_u32_e32 vcc_lo, 0xffffff, v134
	v_sub_nc_u32_e32 v9, v135, v144
	v_cndmask_b32_e64 v135, 0, 1, vcc_lo
	v_add_co_ci_u32_e32 v9, vcc_lo, 0, v9, vcc_lo
	s_delay_alu instid0(VALU_DEP_2)
	v_lshrrev_b32_e32 v134, v135, v134
; %bb.8973:                             ;   in Loop: Header=BB4_8848 Depth=3
	s_and_not1_saveexec_b32 s14, s14
; %bb.8974:                             ;   in Loop: Header=BB4_8848 Depth=3
	s_delay_alu instid0(VALU_DEP_1)
	v_bfe_u32 v9, v134, 23, 1
; %bb.8975:                             ;   in Loop: Header=BB4_8848 Depth=3
	s_or_b32 exec_lo, exec_lo, s14
	v_lshrrev_b32_e32 v134, 21, v134
	s_delay_alu instid0(VALU_DEP_2) | instskip(SKIP_2) | instid1(VALU_DEP_4)
	v_cmp_gt_i32_e32 vcc_lo, 32, v9
	v_lshrrev_b32_e32 v8, 24, v8
	v_min_i32_e32 v135, 31, v9
	v_cndmask_b32_e32 v134, 3, v134, vcc_lo
	s_delay_alu instid0(VALU_DEP_3) | instskip(NEXT) | instid1(VALU_DEP_3)
	v_and_b32_e32 v8, 0x80, v8
	v_lshlrev_b32_e32 v135, 2, v135
	s_delay_alu instid0(VALU_DEP_3) | instskip(SKIP_1) | instid1(VALU_DEP_2)
	v_and_b32_e32 v144, 3, v134
	v_or_b32_e32 v9, v9, v134
	v_or3_b32 v8, v135, v8, v144
	s_delay_alu instid0(VALU_DEP_2) | instskip(NEXT) | instid1(VALU_DEP_2)
	v_cmp_ne_u32_e32 vcc_lo, 0, v9
	v_cndmask_b32_e32 v148, 0, v8, vcc_lo
.LBB4_8976:                             ;   in Loop: Header=BB4_8848 Depth=3
	s_or_b32 exec_lo, exec_lo, s35
.LBB4_8977:                             ;   in Loop: Header=BB4_8848 Depth=3
	s_delay_alu instid0(SALU_CYCLE_1) | instskip(SKIP_3) | instid1(VALU_DEP_1)
	s_or_b32 exec_lo, exec_lo, s34
	v_lshrrev_b32_e32 v8, 16, v10
	s_mov_b32 s14, 0
	s_mov_b32 s35, exec_lo
                                        ; implicit-def: $sgpr34
	v_and_b32_e32 v134, 0xff, v8
	s_delay_alu instid0(VALU_DEP_1)
	v_cmpx_lt_i16_e64 0x7f, v134
	s_xor_b32 s35, exec_lo, s35
	s_cbranch_execnz .LBB4_9343
; %bb.8978:                             ;   in Loop: Header=BB4_8848 Depth=3
	s_or_saveexec_b32 s35, s35
	v_mov_b32_e32 v9, s34
	s_xor_b32 exec_lo, exec_lo, s35
	s_cbranch_execnz .LBB4_9346
.LBB4_8979:                             ;   in Loop: Header=BB4_8848 Depth=3
	s_or_b32 exec_lo, exec_lo, s35
	s_and_saveexec_b32 s34, s14
	s_cbranch_execz .LBB4_8981
.LBB4_8980:                             ;   in Loop: Header=BB4_8848 Depth=3
	v_bfe_u32 v9, v10, 16, 2
	v_lshlrev_b32_e32 v144, 8, v10
	s_delay_alu instid0(VALU_DEP_2) | instskip(NEXT) | instid1(VALU_DEP_1)
	v_clz_i32_u32_e32 v134, v9
	v_min_u32_e32 v134, 32, v134
	s_delay_alu instid0(VALU_DEP_1) | instskip(SKIP_1) | instid1(VALU_DEP_2)
	v_subrev_nc_u32_e32 v135, 29, v134
	v_sub_nc_u32_e32 v134, 30, v134
	v_lshlrev_b32_e32 v8, v135, v8
	v_bfe_u32 v135, v10, 18, 5
	s_delay_alu instid0(VALU_DEP_2) | instskip(NEXT) | instid1(VALU_DEP_2)
	v_and_b32_e32 v8, 3, v8
	v_cmp_eq_u32_e32 vcc_lo, 0, v135
	v_cndmask_b32_e32 v134, v135, v134, vcc_lo
	s_delay_alu instid0(VALU_DEP_3) | instskip(SKIP_1) | instid1(VALU_DEP_3)
	v_cndmask_b32_e32 v8, v9, v8, vcc_lo
	v_and_b32_e32 v9, 0x80000000, v144
	v_lshl_add_u32 v134, v134, 23, 0x37800000
	s_delay_alu instid0(VALU_DEP_3) | instskip(NEXT) | instid1(VALU_DEP_1)
	v_lshlrev_b32_e32 v8, 21, v8
	v_or3_b32 v9, v9, v134, v8
.LBB4_8981:                             ;   in Loop: Header=BB4_8848 Depth=3
	s_or_b32 exec_lo, exec_lo, s34
	s_delay_alu instid0(VALU_DEP_1) | instskip(SKIP_1) | instid1(VALU_DEP_1)
	v_dual_mul_f32 v8, s31, v9 :: v_dual_mov_b32 v147, 0x80
	s_mov_b32 s34, exec_lo
	v_and_b32_e32 v9, 0x7f800000, v8
	s_delay_alu instid0(VALU_DEP_1)
	v_cmpx_ne_u32_e32 0x7f800000, v9
	s_cbranch_execz .LBB4_8989
; %bb.8982:                             ;   in Loop: Header=BB4_8848 Depth=3
	v_mov_b32_e32 v147, 0
	s_mov_b32 s35, exec_lo
	v_cmpx_ne_u32_e32 0, v8
	s_cbranch_execz .LBB4_8988
; %bb.8983:                             ;   in Loop: Header=BB4_8848 Depth=3
	v_bfe_u32 v9, v8, 23, 8
	s_delay_alu instid0(VALU_DEP_1) | instskip(SKIP_1) | instid1(VALU_DEP_2)
	v_sub_nc_u32_e32 v135, 0x70, v9
	v_cmp_gt_u32_e32 vcc_lo, 0x71, v9
	v_dual_cndmask_b32 v135, 0, v135 :: v_dual_and_b32 v134, 0x7fffff, v8
	s_delay_alu instid0(VALU_DEP_1) | instskip(SKIP_2) | instid1(VALU_DEP_4)
	v_or_b32_e32 v144, 0x800000, v134
	v_cmp_eq_u32_e32 vcc_lo, 0, v9
	v_add_nc_u32_e32 v9, 0xffffff91, v9
	v_cndmask_b32_e64 v135, v135, 0x6f, vcc_lo
	s_delay_alu instid0(VALU_DEP_4) | instskip(NEXT) | instid1(VALU_DEP_3)
	v_cndmask_b32_e32 v134, v144, v134, vcc_lo
	v_cndmask_b32_e64 v9, v9, 0xffffff92, vcc_lo
	s_delay_alu instid0(VALU_DEP_3) | instskip(NEXT) | instid1(VALU_DEP_3)
	v_lshl_add_u32 v144, 0x200000, v135, -1
	v_lshrrev_b32_e32 v146, v135, v134
	v_lshlrev_b32_e64 v149, v135, 0x100000
	s_delay_alu instid0(VALU_DEP_4) | instskip(NEXT) | instid1(VALU_DEP_4)
	v_add_nc_u32_e32 v135, v135, v9
	v_and_b32_e32 v134, v144, v134
	s_delay_alu instid0(VALU_DEP_4) | instskip(NEXT) | instid1(VALU_DEP_2)
	v_bfe_u32 v147, v146, 21, 1
	v_cmp_eq_u32_e64 s14, v134, v149
	s_delay_alu instid0(VALU_DEP_2) | instskip(NEXT) | instid1(VALU_DEP_1)
	v_add_nc_u32_e32 v144, -1, v147
	v_cndmask_b32_e64 v134, 0, v144, s14
	v_lshrrev_b32_e32 v144, 23, v146
	s_mov_b32 s14, exec_lo
	s_delay_alu instid0(VALU_DEP_2) | instskip(NEXT) | instid1(VALU_DEP_2)
	v_add_nc_u32_e32 v134, v134, v146
	v_xor_b32_e32 v144, 1, v144
	s_delay_alu instid0(VALU_DEP_2) | instskip(NEXT) | instid1(VALU_DEP_1)
	v_and_b32_e32 v9, 0x1fffff, v134
	v_add_nc_u32_e32 v134, v9, v146
                                        ; implicit-def: $vgpr9
	s_delay_alu instid0(VALU_DEP_3)
	v_cmpx_ne_u32_e64 v135, v144
	s_xor_b32 s14, exec_lo, s14
; %bb.8984:                             ;   in Loop: Header=BB4_8848 Depth=3
	s_delay_alu instid0(VALU_DEP_2) | instskip(SKIP_2) | instid1(VALU_DEP_2)
	v_cmp_lt_u32_e32 vcc_lo, 0xffffff, v134
	v_sub_nc_u32_e32 v9, v135, v144
	v_cndmask_b32_e64 v135, 0, 1, vcc_lo
	v_add_co_ci_u32_e32 v9, vcc_lo, 0, v9, vcc_lo
	s_delay_alu instid0(VALU_DEP_2)
	v_lshrrev_b32_e32 v134, v135, v134
; %bb.8985:                             ;   in Loop: Header=BB4_8848 Depth=3
	s_and_not1_saveexec_b32 s14, s14
; %bb.8986:                             ;   in Loop: Header=BB4_8848 Depth=3
	s_delay_alu instid0(VALU_DEP_1)
	v_bfe_u32 v9, v134, 23, 1
; %bb.8987:                             ;   in Loop: Header=BB4_8848 Depth=3
	s_or_b32 exec_lo, exec_lo, s14
	v_lshrrev_b32_e32 v134, 21, v134
	s_delay_alu instid0(VALU_DEP_2) | instskip(SKIP_2) | instid1(VALU_DEP_2)
	v_cmp_gt_i32_e32 vcc_lo, 32, v9
	v_min_i32_e32 v135, 31, v9
	v_lshrrev_b32_e32 v8, 24, v8
	v_dual_cndmask_b32 v134, 3, v134 :: v_dual_lshlrev_b32 v135, 2, v135
	s_delay_alu instid0(VALU_DEP_2) | instskip(NEXT) | instid1(VALU_DEP_2)
	v_and_b32_e32 v8, 0x80, v8
	v_or_b32_e32 v9, v9, v134
	s_delay_alu instid0(VALU_DEP_1) | instskip(SKIP_1) | instid1(VALU_DEP_1)
	v_cmp_ne_u32_e32 vcc_lo, 0, v9
	v_and_b32_e32 v144, 3, v134
	v_or3_b32 v8, v135, v8, v144
	s_delay_alu instid0(VALU_DEP_1)
	v_cndmask_b32_e32 v147, 0, v8, vcc_lo
.LBB4_8988:                             ;   in Loop: Header=BB4_8848 Depth=3
	s_or_b32 exec_lo, exec_lo, s35
.LBB4_8989:                             ;   in Loop: Header=BB4_8848 Depth=3
	s_delay_alu instid0(SALU_CYCLE_1) | instskip(SKIP_3) | instid1(VALU_DEP_1)
	s_or_b32 exec_lo, exec_lo, s34
	v_lshrrev_b32_e32 v8, 24, v10
	s_mov_b32 s14, 0
	s_mov_b32 s35, exec_lo
                                        ; implicit-def: $sgpr34
	v_cmpx_lt_i16_e32 0x7f, v8
	s_xor_b32 s35, exec_lo, s35
	s_cbranch_execnz .LBB4_9347
; %bb.8990:                             ;   in Loop: Header=BB4_8848 Depth=3
	s_or_saveexec_b32 s35, s35
	v_mov_b32_e32 v9, s34
	s_xor_b32 exec_lo, exec_lo, s35
	s_cbranch_execnz .LBB4_9350
.LBB4_8991:                             ;   in Loop: Header=BB4_8848 Depth=3
	s_or_b32 exec_lo, exec_lo, s35
	s_and_saveexec_b32 s34, s14
	s_cbranch_execz .LBB4_8993
.LBB4_8992:                             ;   in Loop: Header=BB4_8848 Depth=3
	v_bfe_u32 v9, v10, 24, 2
	s_delay_alu instid0(VALU_DEP_1) | instskip(NEXT) | instid1(VALU_DEP_1)
	v_clz_i32_u32_e32 v134, v9
	v_min_u32_e32 v134, 32, v134
	s_delay_alu instid0(VALU_DEP_1) | instskip(SKIP_1) | instid1(VALU_DEP_2)
	v_subrev_nc_u32_e32 v135, 29, v134
	v_sub_nc_u32_e32 v134, 30, v134
	v_lshlrev_b32_e32 v8, v135, v8
	v_bfe_u32 v135, v10, 26, 5
	s_delay_alu instid0(VALU_DEP_2) | instskip(NEXT) | instid1(VALU_DEP_2)
	v_and_b32_e32 v8, 3, v8
	v_cmp_eq_u32_e32 vcc_lo, 0, v135
	v_cndmask_b32_e32 v134, v135, v134, vcc_lo
	s_delay_alu instid0(VALU_DEP_3) | instskip(NEXT) | instid1(VALU_DEP_2)
	v_dual_cndmask_b32 v8, v9, v8 :: v_dual_and_b32 v9, 0x80000000, v10
	v_lshl_add_u32 v10, v134, 23, 0x37800000
	s_delay_alu instid0(VALU_DEP_2) | instskip(NEXT) | instid1(VALU_DEP_1)
	v_lshlrev_b32_e32 v8, 21, v8
	v_or3_b32 v9, v9, v10, v8
.LBB4_8993:                             ;   in Loop: Header=BB4_8848 Depth=3
	s_or_b32 exec_lo, exec_lo, s34
	s_delay_alu instid0(VALU_DEP_1) | instskip(SKIP_2) | instid1(VALU_DEP_2)
	v_mul_f32_e32 v8, s31, v9
	v_mov_b32_e32 v144, 0x80
	s_mov_b32 s34, exec_lo
	v_and_b32_e32 v9, 0x7f800000, v8
	s_delay_alu instid0(VALU_DEP_1)
	v_cmpx_ne_u32_e32 0x7f800000, v9
	s_cbranch_execz .LBB4_9001
; %bb.8994:                             ;   in Loop: Header=BB4_8848 Depth=3
	v_mov_b32_e32 v144, 0
	s_mov_b32 s35, exec_lo
	v_cmpx_ne_u32_e32 0, v8
	s_cbranch_execz .LBB4_9000
; %bb.8995:                             ;   in Loop: Header=BB4_8848 Depth=3
	v_bfe_u32 v9, v8, 23, 8
	v_and_b32_e32 v10, 0x7fffff, v8
	s_delay_alu instid0(VALU_DEP_2) | instskip(SKIP_1) | instid1(VALU_DEP_3)
	v_sub_nc_u32_e32 v134, 0x70, v9
	v_cmp_gt_u32_e32 vcc_lo, 0x71, v9
	v_or_b32_e32 v135, 0x800000, v10
	s_delay_alu instid0(VALU_DEP_3) | instskip(SKIP_2) | instid1(VALU_DEP_3)
	v_cndmask_b32_e32 v134, 0, v134, vcc_lo
	v_cmp_eq_u32_e32 vcc_lo, 0, v9
	v_add_nc_u32_e32 v9, 0xffffff91, v9
	v_cndmask_b32_e64 v134, v134, 0x6f, vcc_lo
	v_cndmask_b32_e32 v10, v135, v10, vcc_lo
	s_delay_alu instid0(VALU_DEP_3) | instskip(NEXT) | instid1(VALU_DEP_3)
	v_cndmask_b32_e64 v9, v9, 0xffffff92, vcc_lo
	v_lshl_add_u32 v135, 0x200000, v134, -1
	s_delay_alu instid0(VALU_DEP_3) | instskip(SKIP_1) | instid1(VALU_DEP_4)
	v_lshrrev_b32_e32 v144, v134, v10
	v_lshlrev_b32_e64 v149, v134, 0x100000
	v_add_nc_u32_e32 v134, v134, v9
	s_delay_alu instid0(VALU_DEP_4) | instskip(NEXT) | instid1(VALU_DEP_4)
	v_and_b32_e32 v10, v135, v10
	v_bfe_u32 v146, v144, 21, 1
	s_delay_alu instid0(VALU_DEP_2) | instskip(NEXT) | instid1(VALU_DEP_2)
	v_cmp_eq_u32_e64 s14, v10, v149
	v_add_nc_u32_e32 v135, -1, v146
	s_delay_alu instid0(VALU_DEP_1) | instskip(SKIP_2) | instid1(VALU_DEP_2)
	v_cndmask_b32_e64 v10, 0, v135, s14
	v_lshrrev_b32_e32 v135, 23, v144
	s_mov_b32 s14, exec_lo
	v_add_nc_u32_e32 v10, v10, v144
	s_delay_alu instid0(VALU_DEP_2) | instskip(NEXT) | instid1(VALU_DEP_2)
	v_xor_b32_e32 v135, 1, v135
	v_and_b32_e32 v9, 0x1fffff, v10
	s_delay_alu instid0(VALU_DEP_1) | instskip(NEXT) | instid1(VALU_DEP_3)
	v_add_nc_u32_e32 v10, v9, v144
                                        ; implicit-def: $vgpr9
	v_cmpx_ne_u32_e64 v134, v135
	s_xor_b32 s14, exec_lo, s14
; %bb.8996:                             ;   in Loop: Header=BB4_8848 Depth=3
	s_delay_alu instid0(VALU_DEP_2) | instskip(SKIP_2) | instid1(VALU_DEP_2)
	v_cmp_lt_u32_e32 vcc_lo, 0xffffff, v10
	v_sub_nc_u32_e32 v9, v134, v135
	v_cndmask_b32_e64 v134, 0, 1, vcc_lo
	v_add_co_ci_u32_e32 v9, vcc_lo, 0, v9, vcc_lo
	s_delay_alu instid0(VALU_DEP_2)
	v_lshrrev_b32_e32 v10, v134, v10
; %bb.8997:                             ;   in Loop: Header=BB4_8848 Depth=3
	s_and_not1_saveexec_b32 s14, s14
; %bb.8998:                             ;   in Loop: Header=BB4_8848 Depth=3
	s_delay_alu instid0(VALU_DEP_1)
	v_bfe_u32 v9, v10, 23, 1
; %bb.8999:                             ;   in Loop: Header=BB4_8848 Depth=3
	s_or_b32 exec_lo, exec_lo, s14
	v_lshrrev_b32_e32 v10, 21, v10
	s_delay_alu instid0(VALU_DEP_2) | instskip(SKIP_2) | instid1(VALU_DEP_4)
	v_cmp_gt_i32_e32 vcc_lo, 32, v9
	v_lshrrev_b32_e32 v8, 24, v8
	v_min_i32_e32 v134, 31, v9
	v_cndmask_b32_e32 v10, 3, v10, vcc_lo
	s_delay_alu instid0(VALU_DEP_3) | instskip(NEXT) | instid1(VALU_DEP_3)
	v_and_b32_e32 v8, 0x80, v8
	v_lshlrev_b32_e32 v134, 2, v134
	s_delay_alu instid0(VALU_DEP_3) | instskip(NEXT) | instid1(VALU_DEP_1)
	v_or_b32_e32 v9, v9, v10
	v_cmp_ne_u32_e32 vcc_lo, 0, v9
	v_and_b32_e32 v135, 3, v10
	s_delay_alu instid0(VALU_DEP_1) | instskip(NEXT) | instid1(VALU_DEP_1)
	v_or3_b32 v8, v134, v8, v135
	v_cndmask_b32_e32 v144, 0, v8, vcc_lo
.LBB4_9000:                             ;   in Loop: Header=BB4_8848 Depth=3
	s_or_b32 exec_lo, exec_lo, s35
.LBB4_9001:                             ;   in Loop: Header=BB4_8848 Depth=3
	s_delay_alu instid0(SALU_CYCLE_1) | instskip(SKIP_3) | instid1(VALU_DEP_1)
	s_or_b32 exec_lo, exec_lo, s34
	v_and_b32_e32 v9, 0xff, v11
	s_mov_b32 s14, 0
	s_mov_b32 s35, exec_lo
                                        ; implicit-def: $sgpr34
	v_cmpx_lt_i16_e32 0x7f, v9
	s_xor_b32 s35, exec_lo, s35
	s_cbranch_execnz .LBB4_9351
; %bb.9002:                             ;   in Loop: Header=BB4_8848 Depth=3
	s_or_saveexec_b32 s35, s35
	v_mov_b32_e32 v8, s34
	s_xor_b32 exec_lo, exec_lo, s35
	s_cbranch_execnz .LBB4_9354
.LBB4_9003:                             ;   in Loop: Header=BB4_8848 Depth=3
	s_or_b32 exec_lo, exec_lo, s35
	s_and_saveexec_b32 s34, s14
	s_cbranch_execz .LBB4_9005
.LBB4_9004:                             ;   in Loop: Header=BB4_8848 Depth=3
	v_bfe_u32 v134, v11, 2, 5
	s_delay_alu instid0(VALU_DEP_1) | instskip(SKIP_1) | instid1(VALU_DEP_1)
	v_cmp_eq_u32_e32 vcc_lo, 0, v134
	v_and_b32_e32 v8, 3, v11
	v_clz_i32_u32_e32 v9, v8
	s_delay_alu instid0(VALU_DEP_1) | instskip(NEXT) | instid1(VALU_DEP_1)
	v_min_u32_e32 v9, 32, v9
	v_subrev_nc_u32_e32 v10, 29, v9
	v_sub_nc_u32_e32 v9, 30, v9
	s_delay_alu instid0(VALU_DEP_2) | instskip(NEXT) | instid1(VALU_DEP_1)
	v_lshlrev_b32_e32 v10, v10, v11
	v_dual_cndmask_b32 v9, v134, v9 :: v_dual_and_b32 v10, 3, v10
	v_lshlrev_b32_e32 v135, 24, v11
	s_delay_alu instid0(VALU_DEP_2) | instskip(NEXT) | instid1(VALU_DEP_3)
	v_lshl_add_u32 v9, v9, 23, 0x37800000
	v_cndmask_b32_e32 v8, v8, v10, vcc_lo
	s_delay_alu instid0(VALU_DEP_3) | instskip(NEXT) | instid1(VALU_DEP_2)
	v_and_b32_e32 v10, 0x80000000, v135
	v_lshlrev_b32_e32 v8, 21, v8
	s_delay_alu instid0(VALU_DEP_1)
	v_or3_b32 v8, v10, v9, v8
.LBB4_9005:                             ;   in Loop: Header=BB4_8848 Depth=3
	s_or_b32 exec_lo, exec_lo, s34
	s_delay_alu instid0(VALU_DEP_1) | instskip(SKIP_1) | instid1(VALU_DEP_1)
	v_dual_mul_f32 v8, s31, v8 :: v_dual_mov_b32 v135, 0x80
	s_mov_b32 s34, exec_lo
	v_and_b32_e32 v9, 0x7f800000, v8
	s_delay_alu instid0(VALU_DEP_1)
	v_cmpx_ne_u32_e32 0x7f800000, v9
	s_cbranch_execz .LBB4_9013
; %bb.9006:                             ;   in Loop: Header=BB4_8848 Depth=3
	v_mov_b32_e32 v135, 0
	s_mov_b32 s35, exec_lo
	v_cmpx_ne_u32_e32 0, v8
	s_cbranch_execz .LBB4_9012
; %bb.9007:                             ;   in Loop: Header=BB4_8848 Depth=3
	v_bfe_u32 v9, v8, 23, 8
	v_and_b32_e32 v10, 0x7fffff, v8
	s_delay_alu instid0(VALU_DEP_2) | instskip(SKIP_1) | instid1(VALU_DEP_3)
	v_sub_nc_u32_e32 v134, 0x70, v9
	v_cmp_gt_u32_e32 vcc_lo, 0x71, v9
	v_or_b32_e32 v135, 0x800000, v10
	s_delay_alu instid0(VALU_DEP_3) | instskip(SKIP_2) | instid1(VALU_DEP_3)
	v_cndmask_b32_e32 v134, 0, v134, vcc_lo
	v_cmp_eq_u32_e32 vcc_lo, 0, v9
	v_add_nc_u32_e32 v9, 0xffffff91, v9
	v_cndmask_b32_e64 v134, v134, 0x6f, vcc_lo
	v_cndmask_b32_e32 v10, v135, v10, vcc_lo
	s_delay_alu instid0(VALU_DEP_3) | instskip(NEXT) | instid1(VALU_DEP_3)
	v_cndmask_b32_e64 v9, v9, 0xffffff92, vcc_lo
	v_lshl_add_u32 v135, 0x200000, v134, -1
	s_delay_alu instid0(VALU_DEP_3) | instskip(SKIP_1) | instid1(VALU_DEP_4)
	v_lshrrev_b32_e32 v146, v134, v10
	v_lshlrev_b32_e64 v165, v134, 0x100000
	v_add_nc_u32_e32 v134, v134, v9
	s_delay_alu instid0(VALU_DEP_4) | instskip(NEXT) | instid1(VALU_DEP_4)
	v_and_b32_e32 v10, v135, v10
	v_bfe_u32 v149, v146, 21, 1
	s_delay_alu instid0(VALU_DEP_2) | instskip(NEXT) | instid1(VALU_DEP_2)
	v_cmp_eq_u32_e64 s14, v10, v165
	v_add_nc_u32_e32 v135, -1, v149
	s_delay_alu instid0(VALU_DEP_1) | instskip(SKIP_2) | instid1(VALU_DEP_2)
	v_cndmask_b32_e64 v10, 0, v135, s14
	v_lshrrev_b32_e32 v135, 23, v146
	s_mov_b32 s14, exec_lo
	v_add_nc_u32_e32 v10, v10, v146
	s_delay_alu instid0(VALU_DEP_2) | instskip(NEXT) | instid1(VALU_DEP_2)
	v_xor_b32_e32 v135, 1, v135
	v_and_b32_e32 v9, 0x1fffff, v10
	s_delay_alu instid0(VALU_DEP_1) | instskip(NEXT) | instid1(VALU_DEP_3)
	v_add_nc_u32_e32 v10, v9, v146
                                        ; implicit-def: $vgpr9
	v_cmpx_ne_u32_e64 v134, v135
	s_xor_b32 s14, exec_lo, s14
; %bb.9008:                             ;   in Loop: Header=BB4_8848 Depth=3
	s_delay_alu instid0(VALU_DEP_2) | instskip(SKIP_2) | instid1(VALU_DEP_2)
	v_cmp_lt_u32_e32 vcc_lo, 0xffffff, v10
	v_sub_nc_u32_e32 v9, v134, v135
	v_cndmask_b32_e64 v134, 0, 1, vcc_lo
	v_add_co_ci_u32_e32 v9, vcc_lo, 0, v9, vcc_lo
	s_delay_alu instid0(VALU_DEP_2)
	v_lshrrev_b32_e32 v10, v134, v10
; %bb.9009:                             ;   in Loop: Header=BB4_8848 Depth=3
	s_and_not1_saveexec_b32 s14, s14
; %bb.9010:                             ;   in Loop: Header=BB4_8848 Depth=3
	s_delay_alu instid0(VALU_DEP_1)
	v_bfe_u32 v9, v10, 23, 1
; %bb.9011:                             ;   in Loop: Header=BB4_8848 Depth=3
	s_or_b32 exec_lo, exec_lo, s14
	v_lshrrev_b32_e32 v10, 21, v10
	s_delay_alu instid0(VALU_DEP_2) | instskip(SKIP_2) | instid1(VALU_DEP_3)
	v_min_i32_e32 v134, 31, v9
	v_cmp_gt_i32_e32 vcc_lo, 32, v9
	v_lshrrev_b32_e32 v8, 24, v8
	v_lshlrev_b32_e32 v134, 2, v134
	v_cndmask_b32_e32 v10, 3, v10, vcc_lo
	s_delay_alu instid0(VALU_DEP_3) | instskip(NEXT) | instid1(VALU_DEP_3)
	v_and_b32_e32 v8, 0x80, v8
	v_and_b32_e32 v134, 0xfc, v134
	s_delay_alu instid0(VALU_DEP_3) | instskip(SKIP_1) | instid1(VALU_DEP_2)
	v_and_b32_e32 v135, 3, v10
	v_or_b32_e32 v9, v9, v10
	v_or3_b32 v8, v134, v8, v135
	s_delay_alu instid0(VALU_DEP_2) | instskip(NEXT) | instid1(VALU_DEP_2)
	v_cmp_ne_u32_e32 vcc_lo, 0, v9
	v_cndmask_b32_e32 v135, 0, v8, vcc_lo
.LBB4_9012:                             ;   in Loop: Header=BB4_8848 Depth=3
	s_or_b32 exec_lo, exec_lo, s35
.LBB4_9013:                             ;   in Loop: Header=BB4_8848 Depth=3
	s_delay_alu instid0(SALU_CYCLE_1) | instskip(SKIP_3) | instid1(VALU_DEP_1)
	s_or_b32 exec_lo, exec_lo, s34
	v_lshrrev_b16 v8, 8, v11
	s_mov_b32 s14, 0
	s_mov_b32 s35, exec_lo
                                        ; implicit-def: $sgpr34
	v_cmpx_lt_i16_e32 0x7f, v8
	s_xor_b32 s35, exec_lo, s35
	s_cbranch_execnz .LBB4_9355
; %bb.9014:                             ;   in Loop: Header=BB4_8848 Depth=3
	s_or_saveexec_b32 s35, s35
	v_mov_b32_e32 v9, s34
	s_xor_b32 exec_lo, exec_lo, s35
	s_cbranch_execnz .LBB4_9358
.LBB4_9015:                             ;   in Loop: Header=BB4_8848 Depth=3
	s_or_b32 exec_lo, exec_lo, s35
	s_and_saveexec_b32 s34, s14
	s_cbranch_execz .LBB4_9017
.LBB4_9016:                             ;   in Loop: Header=BB4_8848 Depth=3
	v_and_b32_e32 v9, 0xffff, v8
	v_lshlrev_b32_e32 v8, 24, v8
	s_delay_alu instid0(VALU_DEP_2) | instskip(NEXT) | instid1(VALU_DEP_2)
	v_and_b32_e32 v10, 3, v9
	v_and_b32_e32 v8, 0x80000000, v8
	s_delay_alu instid0(VALU_DEP_2) | instskip(NEXT) | instid1(VALU_DEP_1)
	v_clz_i32_u32_e32 v134, v10
	v_min_u32_e32 v134, 32, v134
	s_delay_alu instid0(VALU_DEP_1) | instskip(SKIP_1) | instid1(VALU_DEP_2)
	v_subrev_nc_u32_e32 v146, 29, v134
	v_sub_nc_u32_e32 v134, 30, v134
	v_lshlrev_b32_e32 v146, v146, v9
	v_bfe_u32 v9, v9, 2, 5
	s_delay_alu instid0(VALU_DEP_2) | instskip(NEXT) | instid1(VALU_DEP_2)
	v_and_b32_e32 v146, 3, v146
	v_cmp_eq_u32_e32 vcc_lo, 0, v9
	v_cndmask_b32_e32 v9, v9, v134, vcc_lo
	s_delay_alu instid0(VALU_DEP_3) | instskip(NEXT) | instid1(VALU_DEP_2)
	v_cndmask_b32_e32 v10, v10, v146, vcc_lo
	v_lshl_add_u32 v9, v9, 23, 0x37800000
	s_delay_alu instid0(VALU_DEP_2) | instskip(NEXT) | instid1(VALU_DEP_1)
	v_lshlrev_b32_e32 v10, 21, v10
	v_or3_b32 v9, v8, v9, v10
.LBB4_9017:                             ;   in Loop: Header=BB4_8848 Depth=3
	s_or_b32 exec_lo, exec_lo, s34
	s_delay_alu instid0(VALU_DEP_1) | instskip(SKIP_1) | instid1(VALU_DEP_1)
	v_dual_mul_f32 v8, s31, v9 :: v_dual_mov_b32 v149, 0x8000
	s_mov_b32 s34, exec_lo
	v_and_b32_e32 v9, 0x7f800000, v8
	s_delay_alu instid0(VALU_DEP_1)
	v_cmpx_ne_u32_e32 0x7f800000, v9
	s_cbranch_execz .LBB4_9025
; %bb.9018:                             ;   in Loop: Header=BB4_8848 Depth=3
	v_mov_b32_e32 v149, 0
	s_mov_b32 s35, exec_lo
	v_cmpx_ne_u32_e32 0, v8
	s_cbranch_execz .LBB4_9024
; %bb.9019:                             ;   in Loop: Header=BB4_8848 Depth=3
	v_bfe_u32 v9, v8, 23, 8
	v_and_b32_e32 v10, 0x7fffff, v8
	s_delay_alu instid0(VALU_DEP_2) | instskip(SKIP_1) | instid1(VALU_DEP_3)
	v_sub_nc_u32_e32 v134, 0x70, v9
	v_cmp_gt_u32_e32 vcc_lo, 0x71, v9
	v_or_b32_e32 v146, 0x800000, v10
	s_delay_alu instid0(VALU_DEP_3) | instskip(SKIP_2) | instid1(VALU_DEP_3)
	v_cndmask_b32_e32 v134, 0, v134, vcc_lo
	v_cmp_eq_u32_e32 vcc_lo, 0, v9
	v_add_nc_u32_e32 v9, 0xffffff91, v9
	v_cndmask_b32_e64 v134, v134, 0x6f, vcc_lo
	v_cndmask_b32_e32 v10, v146, v10, vcc_lo
	s_delay_alu instid0(VALU_DEP_3) | instskip(NEXT) | instid1(VALU_DEP_3)
	v_cndmask_b32_e64 v9, v9, 0xffffff92, vcc_lo
	v_lshl_add_u32 v146, 0x200000, v134, -1
	s_delay_alu instid0(VALU_DEP_3) | instskip(SKIP_1) | instid1(VALU_DEP_4)
	v_lshrrev_b32_e32 v149, v134, v10
	v_lshlrev_b32_e64 v166, v134, 0x100000
	v_add_nc_u32_e32 v134, v134, v9
	s_delay_alu instid0(VALU_DEP_4) | instskip(NEXT) | instid1(VALU_DEP_4)
	v_and_b32_e32 v10, v146, v10
	v_bfe_u32 v165, v149, 21, 1
	s_delay_alu instid0(VALU_DEP_2) | instskip(NEXT) | instid1(VALU_DEP_2)
	v_cmp_eq_u32_e64 s14, v10, v166
	v_add_nc_u32_e32 v146, -1, v165
	s_delay_alu instid0(VALU_DEP_1) | instskip(SKIP_2) | instid1(VALU_DEP_2)
	v_cndmask_b32_e64 v10, 0, v146, s14
	v_lshrrev_b32_e32 v146, 23, v149
	s_mov_b32 s14, exec_lo
	v_add_nc_u32_e32 v10, v10, v149
	s_delay_alu instid0(VALU_DEP_2) | instskip(NEXT) | instid1(VALU_DEP_2)
	v_xor_b32_e32 v146, 1, v146
	v_and_b32_e32 v9, 0x1fffff, v10
	s_delay_alu instid0(VALU_DEP_1) | instskip(NEXT) | instid1(VALU_DEP_3)
	v_add_nc_u32_e32 v10, v9, v149
                                        ; implicit-def: $vgpr9
	v_cmpx_ne_u32_e64 v134, v146
	s_xor_b32 s14, exec_lo, s14
; %bb.9020:                             ;   in Loop: Header=BB4_8848 Depth=3
	s_delay_alu instid0(VALU_DEP_2) | instskip(SKIP_2) | instid1(VALU_DEP_2)
	v_cmp_lt_u32_e32 vcc_lo, 0xffffff, v10
	v_sub_nc_u32_e32 v9, v134, v146
	v_cndmask_b32_e64 v134, 0, 1, vcc_lo
	v_add_co_ci_u32_e32 v9, vcc_lo, 0, v9, vcc_lo
	s_delay_alu instid0(VALU_DEP_2)
	v_lshrrev_b32_e32 v10, v134, v10
; %bb.9021:                             ;   in Loop: Header=BB4_8848 Depth=3
	s_and_not1_saveexec_b32 s14, s14
; %bb.9022:                             ;   in Loop: Header=BB4_8848 Depth=3
	s_delay_alu instid0(VALU_DEP_1)
	v_bfe_u32 v9, v10, 23, 1
; %bb.9023:                             ;   in Loop: Header=BB4_8848 Depth=3
	s_or_b32 exec_lo, exec_lo, s14
	v_lshrrev_b32_e32 v10, 21, v10
	s_delay_alu instid0(VALU_DEP_2) | instskip(SKIP_2) | instid1(VALU_DEP_3)
	v_min_i32_e32 v134, 31, v9
	v_cmp_gt_i32_e32 vcc_lo, 32, v9
	v_lshrrev_b32_e32 v8, 24, v8
	v_lshlrev_b32_e32 v134, 2, v134
	v_cndmask_b32_e32 v10, 3, v10, vcc_lo
	s_delay_alu instid0(VALU_DEP_3) | instskip(NEXT) | instid1(VALU_DEP_3)
	v_and_b32_e32 v8, 0x80, v8
	v_and_b32_e32 v134, 0xfc, v134
	s_delay_alu instid0(VALU_DEP_3) | instskip(SKIP_1) | instid1(VALU_DEP_2)
	v_and_b32_e32 v146, 3, v10
	v_or_b32_e32 v9, v9, v10
	v_or3_b32 v8, v8, v134, v146
	s_delay_alu instid0(VALU_DEP_2) | instskip(NEXT) | instid1(VALU_DEP_2)
	v_cmp_ne_u32_e32 vcc_lo, 0, v9
	v_lshlrev_b32_e32 v8, 8, v8
	s_delay_alu instid0(VALU_DEP_1)
	v_cndmask_b32_e32 v149, 0, v8, vcc_lo
.LBB4_9024:                             ;   in Loop: Header=BB4_8848 Depth=3
	s_or_b32 exec_lo, exec_lo, s35
.LBB4_9025:                             ;   in Loop: Header=BB4_8848 Depth=3
	s_delay_alu instid0(SALU_CYCLE_1) | instskip(SKIP_3) | instid1(VALU_DEP_1)
	s_or_b32 exec_lo, exec_lo, s34
	v_lshrrev_b32_e32 v8, 16, v11
	s_mov_b32 s14, 0
	s_mov_b32 s35, exec_lo
                                        ; implicit-def: $sgpr34
	v_and_b32_e32 v10, 0xff, v8
	s_delay_alu instid0(VALU_DEP_1)
	v_cmpx_lt_i16_e32 0x7f, v10
	s_xor_b32 s35, exec_lo, s35
	s_cbranch_execnz .LBB4_9359
; %bb.9026:                             ;   in Loop: Header=BB4_8848 Depth=3
	s_or_saveexec_b32 s35, s35
	v_mov_b32_e32 v9, s34
	s_xor_b32 exec_lo, exec_lo, s35
	s_cbranch_execnz .LBB4_9362
.LBB4_9027:                             ;   in Loop: Header=BB4_8848 Depth=3
	s_or_b32 exec_lo, exec_lo, s35
	s_and_saveexec_b32 s34, s14
	s_cbranch_execz .LBB4_9029
.LBB4_9028:                             ;   in Loop: Header=BB4_8848 Depth=3
	v_bfe_u32 v9, v11, 16, 2
	v_lshlrev_b32_e32 v146, 8, v11
	s_delay_alu instid0(VALU_DEP_2) | instskip(NEXT) | instid1(VALU_DEP_1)
	v_clz_i32_u32_e32 v10, v9
	v_min_u32_e32 v10, 32, v10
	s_delay_alu instid0(VALU_DEP_1) | instskip(SKIP_1) | instid1(VALU_DEP_2)
	v_subrev_nc_u32_e32 v134, 29, v10
	v_sub_nc_u32_e32 v10, 30, v10
	v_lshlrev_b32_e32 v8, v134, v8
	v_bfe_u32 v134, v11, 18, 5
	s_delay_alu instid0(VALU_DEP_2) | instskip(NEXT) | instid1(VALU_DEP_2)
	v_and_b32_e32 v8, 3, v8
	v_cmp_eq_u32_e32 vcc_lo, 0, v134
	v_cndmask_b32_e32 v10, v134, v10, vcc_lo
	s_delay_alu instid0(VALU_DEP_3) | instskip(NEXT) | instid1(VALU_DEP_2)
	v_dual_cndmask_b32 v8, v9, v8 :: v_dual_and_b32 v9, 0x80000000, v146
	v_lshl_add_u32 v10, v10, 23, 0x37800000
	s_delay_alu instid0(VALU_DEP_2) | instskip(NEXT) | instid1(VALU_DEP_1)
	v_lshlrev_b32_e32 v8, 21, v8
	v_or3_b32 v9, v9, v10, v8
.LBB4_9029:                             ;   in Loop: Header=BB4_8848 Depth=3
	s_or_b32 exec_lo, exec_lo, s34
	s_delay_alu instid0(VALU_DEP_1) | instskip(SKIP_2) | instid1(VALU_DEP_2)
	v_mul_f32_e32 v8, s31, v9
	v_mov_b32_e32 v134, 0x80
	s_mov_b32 s34, exec_lo
	v_and_b32_e32 v9, 0x7f800000, v8
	s_delay_alu instid0(VALU_DEP_1)
	v_cmpx_ne_u32_e32 0x7f800000, v9
	s_cbranch_execz .LBB4_9037
; %bb.9030:                             ;   in Loop: Header=BB4_8848 Depth=3
	v_mov_b32_e32 v134, 0
	s_mov_b32 s35, exec_lo
	v_cmpx_ne_u32_e32 0, v8
	s_cbranch_execz .LBB4_9036
; %bb.9031:                             ;   in Loop: Header=BB4_8848 Depth=3
	v_bfe_u32 v9, v8, 23, 8
	v_and_b32_e32 v10, 0x7fffff, v8
	s_delay_alu instid0(VALU_DEP_2) | instskip(SKIP_1) | instid1(VALU_DEP_3)
	v_sub_nc_u32_e32 v134, 0x70, v9
	v_cmp_gt_u32_e32 vcc_lo, 0x71, v9
	v_or_b32_e32 v146, 0x800000, v10
	s_delay_alu instid0(VALU_DEP_3) | instskip(SKIP_2) | instid1(VALU_DEP_3)
	v_cndmask_b32_e32 v134, 0, v134, vcc_lo
	v_cmp_eq_u32_e32 vcc_lo, 0, v9
	v_add_nc_u32_e32 v9, 0xffffff91, v9
	v_cndmask_b32_e64 v134, v134, 0x6f, vcc_lo
	v_cndmask_b32_e32 v10, v146, v10, vcc_lo
	s_delay_alu instid0(VALU_DEP_3) | instskip(NEXT) | instid1(VALU_DEP_3)
	v_cndmask_b32_e64 v9, v9, 0xffffff92, vcc_lo
	v_lshl_add_u32 v146, 0x200000, v134, -1
	s_delay_alu instid0(VALU_DEP_3) | instskip(SKIP_1) | instid1(VALU_DEP_4)
	v_lshrrev_b32_e32 v165, v134, v10
	v_lshlrev_b32_e64 v167, v134, 0x100000
	v_add_nc_u32_e32 v134, v134, v9
	s_delay_alu instid0(VALU_DEP_4) | instskip(NEXT) | instid1(VALU_DEP_4)
	v_and_b32_e32 v10, v146, v10
	v_bfe_u32 v166, v165, 21, 1
	s_delay_alu instid0(VALU_DEP_2) | instskip(NEXT) | instid1(VALU_DEP_2)
	v_cmp_eq_u32_e64 s14, v10, v167
	v_add_nc_u32_e32 v146, -1, v166
	s_delay_alu instid0(VALU_DEP_1) | instskip(SKIP_2) | instid1(VALU_DEP_2)
	v_cndmask_b32_e64 v10, 0, v146, s14
	v_lshrrev_b32_e32 v146, 23, v165
	s_mov_b32 s14, exec_lo
	v_add_nc_u32_e32 v10, v10, v165
	s_delay_alu instid0(VALU_DEP_2) | instskip(NEXT) | instid1(VALU_DEP_2)
	v_xor_b32_e32 v146, 1, v146
	v_and_b32_e32 v9, 0x1fffff, v10
	s_delay_alu instid0(VALU_DEP_1) | instskip(NEXT) | instid1(VALU_DEP_3)
	v_add_nc_u32_e32 v10, v9, v165
                                        ; implicit-def: $vgpr9
	v_cmpx_ne_u32_e64 v134, v146
	s_xor_b32 s14, exec_lo, s14
; %bb.9032:                             ;   in Loop: Header=BB4_8848 Depth=3
	s_delay_alu instid0(VALU_DEP_2) | instskip(SKIP_2) | instid1(VALU_DEP_2)
	v_cmp_lt_u32_e32 vcc_lo, 0xffffff, v10
	v_sub_nc_u32_e32 v9, v134, v146
	v_cndmask_b32_e64 v134, 0, 1, vcc_lo
	v_add_co_ci_u32_e32 v9, vcc_lo, 0, v9, vcc_lo
	s_delay_alu instid0(VALU_DEP_2)
	v_lshrrev_b32_e32 v10, v134, v10
; %bb.9033:                             ;   in Loop: Header=BB4_8848 Depth=3
	s_and_not1_saveexec_b32 s14, s14
; %bb.9034:                             ;   in Loop: Header=BB4_8848 Depth=3
	s_delay_alu instid0(VALU_DEP_1)
	v_bfe_u32 v9, v10, 23, 1
; %bb.9035:                             ;   in Loop: Header=BB4_8848 Depth=3
	s_or_b32 exec_lo, exec_lo, s14
	v_lshrrev_b32_e32 v10, 21, v10
	s_delay_alu instid0(VALU_DEP_2) | instskip(SKIP_2) | instid1(VALU_DEP_3)
	v_min_i32_e32 v134, 31, v9
	v_cmp_gt_i32_e32 vcc_lo, 32, v9
	v_lshrrev_b32_e32 v8, 24, v8
	v_lshlrev_b32_e32 v134, 2, v134
	v_cndmask_b32_e32 v10, 3, v10, vcc_lo
	s_delay_alu instid0(VALU_DEP_3) | instskip(NEXT) | instid1(VALU_DEP_3)
	v_and_b32_e32 v8, 0x80, v8
	v_and_b32_e32 v134, 0xfc, v134
	s_delay_alu instid0(VALU_DEP_3) | instskip(SKIP_1) | instid1(VALU_DEP_2)
	v_and_b32_e32 v146, 3, v10
	v_or_b32_e32 v9, v9, v10
	v_or3_b32 v8, v134, v8, v146
	s_delay_alu instid0(VALU_DEP_2) | instskip(NEXT) | instid1(VALU_DEP_2)
	v_cmp_ne_u32_e32 vcc_lo, 0, v9
	v_cndmask_b32_e32 v134, 0, v8, vcc_lo
.LBB4_9036:                             ;   in Loop: Header=BB4_8848 Depth=3
	s_or_b32 exec_lo, exec_lo, s35
.LBB4_9037:                             ;   in Loop: Header=BB4_8848 Depth=3
	s_delay_alu instid0(SALU_CYCLE_1) | instskip(SKIP_3) | instid1(VALU_DEP_1)
	s_or_b32 exec_lo, exec_lo, s34
	v_lshrrev_b32_e32 v8, 24, v11
	s_mov_b32 s14, 0
	s_mov_b32 s35, exec_lo
                                        ; implicit-def: $sgpr34
	v_cmpx_lt_i16_e32 0x7f, v8
	s_xor_b32 s35, exec_lo, s35
	s_cbranch_execnz .LBB4_9363
; %bb.9038:                             ;   in Loop: Header=BB4_8848 Depth=3
	s_or_saveexec_b32 s35, s35
	v_mov_b32_e32 v9, s34
	s_xor_b32 exec_lo, exec_lo, s35
	s_cbranch_execnz .LBB4_9366
.LBB4_9039:                             ;   in Loop: Header=BB4_8848 Depth=3
	s_or_b32 exec_lo, exec_lo, s35
	s_and_saveexec_b32 s34, s14
	s_cbranch_execz .LBB4_9041
.LBB4_9040:                             ;   in Loop: Header=BB4_8848 Depth=3
	v_bfe_u32 v9, v11, 24, 2
	s_delay_alu instid0(VALU_DEP_1) | instskip(NEXT) | instid1(VALU_DEP_1)
	v_clz_i32_u32_e32 v10, v9
	v_min_u32_e32 v10, 32, v10
	s_delay_alu instid0(VALU_DEP_1) | instskip(SKIP_1) | instid1(VALU_DEP_2)
	v_subrev_nc_u32_e32 v146, 29, v10
	v_sub_nc_u32_e32 v10, 30, v10
	v_lshlrev_b32_e32 v8, v146, v8
	v_bfe_u32 v146, v11, 26, 5
	s_delay_alu instid0(VALU_DEP_2) | instskip(NEXT) | instid1(VALU_DEP_2)
	v_and_b32_e32 v8, 3, v8
	v_cmp_eq_u32_e32 vcc_lo, 0, v146
	v_cndmask_b32_e32 v10, v146, v10, vcc_lo
	s_delay_alu instid0(VALU_DEP_3) | instskip(NEXT) | instid1(VALU_DEP_2)
	v_dual_cndmask_b32 v8, v9, v8 :: v_dual_and_b32 v9, 0x80000000, v11
	v_lshl_add_u32 v10, v10, 23, 0x37800000
	s_delay_alu instid0(VALU_DEP_2) | instskip(NEXT) | instid1(VALU_DEP_1)
	v_lshlrev_b32_e32 v8, 21, v8
	v_or3_b32 v9, v9, v10, v8
.LBB4_9041:                             ;   in Loop: Header=BB4_8848 Depth=3
	s_or_b32 exec_lo, exec_lo, s34
	s_delay_alu instid0(VALU_DEP_1) | instskip(SKIP_2) | instid1(VALU_DEP_2)
	v_mul_f32_e32 v8, s31, v9
	v_mov_b32_e32 v146, 0x8000
	s_mov_b32 s31, exec_lo
	v_and_b32_e32 v9, 0x7f800000, v8
	s_delay_alu instid0(VALU_DEP_1)
	v_cmpx_ne_u32_e32 0x7f800000, v9
	s_cbranch_execz .LBB4_9049
; %bb.9042:                             ;   in Loop: Header=BB4_8848 Depth=3
	v_mov_b32_e32 v146, 0
	s_mov_b32 s34, exec_lo
	v_cmpx_ne_u32_e32 0, v8
	s_cbranch_execz .LBB4_9048
; %bb.9043:                             ;   in Loop: Header=BB4_8848 Depth=3
	v_bfe_u32 v9, v8, 23, 8
	s_delay_alu instid0(VALU_DEP_1) | instskip(SKIP_1) | instid1(VALU_DEP_2)
	v_sub_nc_u32_e32 v11, 0x70, v9
	v_cmp_gt_u32_e32 vcc_lo, 0x71, v9
	v_dual_cndmask_b32 v11, 0, v11 :: v_dual_and_b32 v10, 0x7fffff, v8
	s_delay_alu instid0(VALU_DEP_1) | instskip(SKIP_2) | instid1(VALU_DEP_4)
	v_or_b32_e32 v146, 0x800000, v10
	v_cmp_eq_u32_e32 vcc_lo, 0, v9
	v_add_nc_u32_e32 v9, 0xffffff91, v9
	v_cndmask_b32_e64 v11, v11, 0x6f, vcc_lo
	s_delay_alu instid0(VALU_DEP_4) | instskip(NEXT) | instid1(VALU_DEP_3)
	v_cndmask_b32_e32 v10, v146, v10, vcc_lo
	v_cndmask_b32_e64 v9, v9, 0xffffff92, vcc_lo
	s_delay_alu instid0(VALU_DEP_3) | instskip(NEXT) | instid1(VALU_DEP_3)
	v_lshl_add_u32 v146, 0x200000, v11, -1
	v_lshrrev_b32_e32 v165, v11, v10
	v_lshlrev_b32_e64 v167, v11, 0x100000
	s_delay_alu instid0(VALU_DEP_4) | instskip(NEXT) | instid1(VALU_DEP_4)
	v_add_nc_u32_e32 v11, v11, v9
	v_and_b32_e32 v10, v146, v10
	s_delay_alu instid0(VALU_DEP_4) | instskip(NEXT) | instid1(VALU_DEP_2)
	v_bfe_u32 v166, v165, 21, 1
	v_cmp_eq_u32_e64 s14, v10, v167
	s_delay_alu instid0(VALU_DEP_2) | instskip(NEXT) | instid1(VALU_DEP_1)
	v_add_nc_u32_e32 v146, -1, v166
	v_cndmask_b32_e64 v10, 0, v146, s14
	v_lshrrev_b32_e32 v146, 23, v165
	s_mov_b32 s14, exec_lo
	s_delay_alu instid0(VALU_DEP_2) | instskip(NEXT) | instid1(VALU_DEP_2)
	v_add_nc_u32_e32 v10, v10, v165
	v_xor_b32_e32 v146, 1, v146
	s_delay_alu instid0(VALU_DEP_2) | instskip(NEXT) | instid1(VALU_DEP_1)
	v_and_b32_e32 v9, 0x1fffff, v10
	v_add_nc_u32_e32 v10, v9, v165
                                        ; implicit-def: $vgpr9
	s_delay_alu instid0(VALU_DEP_3)
	v_cmpx_ne_u32_e64 v11, v146
	s_xor_b32 s14, exec_lo, s14
; %bb.9044:                             ;   in Loop: Header=BB4_8848 Depth=3
	s_delay_alu instid0(VALU_DEP_2) | instskip(SKIP_2) | instid1(VALU_DEP_2)
	v_cmp_lt_u32_e32 vcc_lo, 0xffffff, v10
	v_sub_nc_u32_e32 v9, v11, v146
	v_cndmask_b32_e64 v11, 0, 1, vcc_lo
	v_add_co_ci_u32_e32 v9, vcc_lo, 0, v9, vcc_lo
	s_delay_alu instid0(VALU_DEP_2)
	v_lshrrev_b32_e32 v10, v11, v10
; %bb.9045:                             ;   in Loop: Header=BB4_8848 Depth=3
	s_and_not1_saveexec_b32 s14, s14
; %bb.9046:                             ;   in Loop: Header=BB4_8848 Depth=3
	s_delay_alu instid0(VALU_DEP_1)
	v_bfe_u32 v9, v10, 23, 1
; %bb.9047:                             ;   in Loop: Header=BB4_8848 Depth=3
	s_or_b32 exec_lo, exec_lo, s14
	v_lshrrev_b32_e32 v10, 21, v10
	s_delay_alu instid0(VALU_DEP_2) | instskip(SKIP_2) | instid1(VALU_DEP_2)
	v_cmp_gt_i32_e32 vcc_lo, 32, v9
	v_min_i32_e32 v11, 31, v9
	v_lshrrev_b32_e32 v8, 24, v8
	v_dual_cndmask_b32 v10, 3, v10 :: v_dual_lshlrev_b32 v11, 2, v11
	s_delay_alu instid0(VALU_DEP_2) | instskip(NEXT) | instid1(VALU_DEP_2)
	v_and_b32_e32 v8, 0x80, v8
	v_or_b32_e32 v9, v9, v10
	v_and_b32_e32 v146, 3, v10
	s_delay_alu instid0(VALU_DEP_2) | instskip(SKIP_1) | instid1(VALU_DEP_1)
	v_cmp_ne_u32_e32 vcc_lo, 0, v9
	v_and_b32_e32 v11, 0xfc, v11
	v_or3_b32 v8, v8, v11, v146
	s_delay_alu instid0(VALU_DEP_1) | instskip(NEXT) | instid1(VALU_DEP_1)
	v_lshlrev_b32_e32 v8, 8, v8
	v_cndmask_b32_e32 v146, 0, v8, vcc_lo
.LBB4_9048:                             ;   in Loop: Header=BB4_8848 Depth=3
	s_or_b32 exec_lo, exec_lo, s34
.LBB4_9049:                             ;   in Loop: Header=BB4_8848 Depth=3
	s_delay_alu instid0(SALU_CYCLE_1) | instskip(SKIP_4) | instid1(VALU_DEP_1)
	s_or_b32 exec_lo, exec_lo, s31
	global_load_b128 v[8:11], v[14:15], off slc dlc
	v_and_b32_e32 v166, 0xff, v133
	s_mov_b32 s14, 0
	s_mov_b32 s34, exec_lo
                                        ; implicit-def: $sgpr31
	v_cmpx_lt_i16_e64 0x7f, v166
	s_xor_b32 s34, exec_lo, s34
	s_cbranch_execnz .LBB4_9367
; %bb.9050:                             ;   in Loop: Header=BB4_8848 Depth=3
	s_or_saveexec_b32 s34, s34
	v_mov_b32_e32 v165, s31
	s_xor_b32 exec_lo, exec_lo, s34
	s_cbranch_execnz .LBB4_9370
.LBB4_9051:                             ;   in Loop: Header=BB4_8848 Depth=3
	s_or_b32 exec_lo, exec_lo, s34
	s_and_saveexec_b32 s31, s14
	s_cbranch_execz .LBB4_9053
.LBB4_9052:                             ;   in Loop: Header=BB4_8848 Depth=3
	v_bfe_u32 v176, v133, 2, 5
	s_delay_alu instid0(VALU_DEP_1) | instskip(SKIP_1) | instid1(VALU_DEP_1)
	v_cmp_eq_u32_e32 vcc_lo, 0, v176
	v_and_b32_e32 v165, 3, v133
	v_clz_i32_u32_e32 v166, v165
	s_delay_alu instid0(VALU_DEP_1) | instskip(NEXT) | instid1(VALU_DEP_1)
	v_min_u32_e32 v166, 32, v166
	v_subrev_nc_u32_e32 v167, 29, v166
	v_sub_nc_u32_e32 v166, 30, v166
	s_delay_alu instid0(VALU_DEP_1) | instskip(SKIP_1) | instid1(VALU_DEP_2)
	v_dual_cndmask_b32 v166, v176, v166 :: v_dual_lshlrev_b32 v167, v167, v133
	v_lshlrev_b32_e32 v133, 24, v133
	v_and_b32_e32 v167, 3, v167
	s_delay_alu instid0(VALU_DEP_3) | instskip(NEXT) | instid1(VALU_DEP_3)
	v_lshl_add_u32 v166, v166, 23, 0x37800000
	v_and_b32_e32 v133, 0x80000000, v133
	s_delay_alu instid0(VALU_DEP_3) | instskip(NEXT) | instid1(VALU_DEP_1)
	v_cndmask_b32_e32 v165, v165, v167, vcc_lo
	v_lshlrev_b32_e32 v165, 21, v165
	s_delay_alu instid0(VALU_DEP_1)
	v_or3_b32 v165, v133, v166, v165
.LBB4_9053:                             ;   in Loop: Header=BB4_8848 Depth=3
	s_or_b32 exec_lo, exec_lo, s31
	s_waitcnt vmcnt(0)
	v_and_b32_e32 v166, 0xff, v8
	s_mov_b32 s14, 0
	s_mov_b32 s34, exec_lo
                                        ; implicit-def: $sgpr31
	s_delay_alu instid0(VALU_DEP_1)
	v_cmpx_lt_i16_e64 0x7f, v166
	s_xor_b32 s34, exec_lo, s34
	s_cbranch_execnz .LBB4_9371
; %bb.9054:                             ;   in Loop: Header=BB4_8848 Depth=3
	s_or_saveexec_b32 s34, s34
	v_mov_b32_e32 v133, s31
	s_xor_b32 exec_lo, exec_lo, s34
	s_cbranch_execnz .LBB4_9374
.LBB4_9055:                             ;   in Loop: Header=BB4_8848 Depth=3
	s_or_b32 exec_lo, exec_lo, s34
	s_and_saveexec_b32 s31, s14
	s_cbranch_execz .LBB4_9057
.LBB4_9056:                             ;   in Loop: Header=BB4_8848 Depth=3
	v_bfe_u32 v176, v8, 2, 5
	v_lshlrev_b32_e32 v177, 24, v8
	s_delay_alu instid0(VALU_DEP_2) | instskip(SKIP_1) | instid1(VALU_DEP_1)
	v_cmp_eq_u32_e32 vcc_lo, 0, v176
	v_and_b32_e32 v133, 3, v8
	v_clz_i32_u32_e32 v166, v133
	s_delay_alu instid0(VALU_DEP_1) | instskip(NEXT) | instid1(VALU_DEP_1)
	v_min_u32_e32 v166, 32, v166
	v_subrev_nc_u32_e32 v167, 29, v166
	v_sub_nc_u32_e32 v166, 30, v166
	s_delay_alu instid0(VALU_DEP_1) | instskip(NEXT) | instid1(VALU_DEP_1)
	v_dual_cndmask_b32 v166, v176, v166 :: v_dual_lshlrev_b32 v167, v167, v8
	v_and_b32_e32 v167, 3, v167
	s_delay_alu instid0(VALU_DEP_2) | instskip(NEXT) | instid1(VALU_DEP_2)
	v_lshl_add_u32 v166, v166, 23, 0x37800000
	v_cndmask_b32_e32 v133, v133, v167, vcc_lo
	v_and_b32_e32 v167, 0x80000000, v177
	s_delay_alu instid0(VALU_DEP_2) | instskip(NEXT) | instid1(VALU_DEP_1)
	v_lshlrev_b32_e32 v133, 21, v133
	v_or3_b32 v133, v167, v166, v133
.LBB4_9057:                             ;   in Loop: Header=BB4_8848 Depth=3
	s_or_b32 exec_lo, exec_lo, s31
	s_delay_alu instid0(VALU_DEP_1) | instskip(NEXT) | instid1(VALU_DEP_1)
	v_add_f32_e32 v165, v165, v133
	v_and_b32_e32 v133, 0x7f800000, v165
	s_delay_alu instid0(VALU_DEP_1)
	v_cmp_ne_u32_e32 vcc_lo, 0x7f800000, v133
	v_mov_b32_e32 v133, 0x80
	s_and_saveexec_b32 s31, vcc_lo
	s_cbranch_execz .LBB4_9065
; %bb.9058:                             ;   in Loop: Header=BB4_8848 Depth=3
	v_mov_b32_e32 v133, 0
	s_mov_b32 s34, exec_lo
	v_cmpx_ne_u32_e32 0, v165
	s_cbranch_execz .LBB4_9064
; %bb.9059:                             ;   in Loop: Header=BB4_8848 Depth=3
	v_bfe_u32 v133, v165, 23, 8
	s_delay_alu instid0(VALU_DEP_1) | instskip(SKIP_1) | instid1(VALU_DEP_2)
	v_sub_nc_u32_e32 v167, 0x70, v133
	v_cmp_gt_u32_e32 vcc_lo, 0x71, v133
	v_dual_cndmask_b32 v167, 0, v167 :: v_dual_and_b32 v166, 0x7fffff, v165
	s_delay_alu instid0(VALU_DEP_1) | instskip(SKIP_2) | instid1(VALU_DEP_4)
	v_or_b32_e32 v176, 0x800000, v166
	v_cmp_eq_u32_e32 vcc_lo, 0, v133
	v_add_nc_u32_e32 v133, 0xffffff91, v133
	v_cndmask_b32_e64 v167, v167, 0x6f, vcc_lo
	s_delay_alu instid0(VALU_DEP_4) | instskip(NEXT) | instid1(VALU_DEP_3)
	v_cndmask_b32_e32 v166, v176, v166, vcc_lo
	v_cndmask_b32_e64 v133, v133, 0xffffff92, vcc_lo
	s_delay_alu instid0(VALU_DEP_3) | instskip(NEXT) | instid1(VALU_DEP_3)
	v_lshl_add_u32 v176, 0x200000, v167, -1
	v_lshrrev_b32_e32 v177, v167, v166
	v_lshlrev_b32_e64 v179, v167, 0x100000
	s_delay_alu instid0(VALU_DEP_4) | instskip(NEXT) | instid1(VALU_DEP_4)
	v_add_nc_u32_e32 v167, v167, v133
	v_and_b32_e32 v166, v176, v166
	s_delay_alu instid0(VALU_DEP_4) | instskip(NEXT) | instid1(VALU_DEP_2)
	v_bfe_u32 v178, v177, 21, 1
	v_cmp_eq_u32_e64 s14, v166, v179
	s_delay_alu instid0(VALU_DEP_2) | instskip(NEXT) | instid1(VALU_DEP_1)
	v_add_nc_u32_e32 v176, -1, v178
	v_cndmask_b32_e64 v166, 0, v176, s14
	v_lshrrev_b32_e32 v176, 23, v177
	s_mov_b32 s14, exec_lo
	s_delay_alu instid0(VALU_DEP_2) | instskip(NEXT) | instid1(VALU_DEP_2)
	v_add_nc_u32_e32 v166, v166, v177
	v_xor_b32_e32 v176, 1, v176
	s_delay_alu instid0(VALU_DEP_2) | instskip(NEXT) | instid1(VALU_DEP_1)
	v_and_b32_e32 v133, 0x1fffff, v166
	v_add_nc_u32_e32 v166, v133, v177
                                        ; implicit-def: $vgpr133
	s_delay_alu instid0(VALU_DEP_3)
	v_cmpx_ne_u32_e64 v167, v176
	s_xor_b32 s14, exec_lo, s14
; %bb.9060:                             ;   in Loop: Header=BB4_8848 Depth=3
	s_delay_alu instid0(VALU_DEP_2) | instskip(SKIP_2) | instid1(VALU_DEP_2)
	v_cmp_lt_u32_e32 vcc_lo, 0xffffff, v166
	v_sub_nc_u32_e32 v133, v167, v176
	v_cndmask_b32_e64 v167, 0, 1, vcc_lo
	v_add_co_ci_u32_e32 v133, vcc_lo, 0, v133, vcc_lo
	s_delay_alu instid0(VALU_DEP_2)
	v_lshrrev_b32_e32 v166, v167, v166
; %bb.9061:                             ;   in Loop: Header=BB4_8848 Depth=3
	s_and_not1_saveexec_b32 s14, s14
; %bb.9062:                             ;   in Loop: Header=BB4_8848 Depth=3
	s_delay_alu instid0(VALU_DEP_1)
	v_bfe_u32 v133, v166, 23, 1
; %bb.9063:                             ;   in Loop: Header=BB4_8848 Depth=3
	s_or_b32 exec_lo, exec_lo, s14
	v_lshrrev_b32_e32 v166, 21, v166
	s_delay_alu instid0(VALU_DEP_2) | instskip(SKIP_2) | instid1(VALU_DEP_2)
	v_cmp_gt_i32_e32 vcc_lo, 32, v133
	v_lshrrev_b32_e32 v165, 24, v165
	v_min_i32_e32 v167, 31, v133
	v_dual_cndmask_b32 v166, 3, v166 :: v_dual_and_b32 v165, 0x80, v165
	s_delay_alu instid0(VALU_DEP_2) | instskip(NEXT) | instid1(VALU_DEP_2)
	v_lshlrev_b32_e32 v167, 2, v167
	v_or_b32_e32 v133, v133, v166
	s_delay_alu instid0(VALU_DEP_1) | instskip(SKIP_1) | instid1(VALU_DEP_1)
	v_cmp_ne_u32_e32 vcc_lo, 0, v133
	v_and_b32_e32 v176, 3, v166
	v_or3_b32 v165, v167, v165, v176
	s_delay_alu instid0(VALU_DEP_1)
	v_cndmask_b32_e32 v133, 0, v165, vcc_lo
.LBB4_9064:                             ;   in Loop: Header=BB4_8848 Depth=3
	s_or_b32 exec_lo, exec_lo, s34
.LBB4_9065:                             ;   in Loop: Header=BB4_8848 Depth=3
	s_delay_alu instid0(SALU_CYCLE_1) | instskip(SKIP_3) | instid1(VALU_DEP_1)
	s_or_b32 exec_lo, exec_lo, s31
	v_and_b32_e32 v166, 0xff, v145
	s_mov_b32 s14, 0
	s_mov_b32 s34, exec_lo
                                        ; implicit-def: $sgpr31
	v_cmpx_lt_i16_e64 0x7f, v166
	s_xor_b32 s34, exec_lo, s34
	s_cbranch_execnz .LBB4_9375
; %bb.9066:                             ;   in Loop: Header=BB4_8848 Depth=3
	s_or_saveexec_b32 s34, s34
	v_mov_b32_e32 v165, s31
	s_xor_b32 exec_lo, exec_lo, s34
	s_cbranch_execnz .LBB4_9378
.LBB4_9067:                             ;   in Loop: Header=BB4_8848 Depth=3
	s_or_b32 exec_lo, exec_lo, s34
	s_and_saveexec_b32 s31, s14
	s_cbranch_execz .LBB4_9069
.LBB4_9068:                             ;   in Loop: Header=BB4_8848 Depth=3
	v_bfe_u32 v176, v145, 2, 5
	s_delay_alu instid0(VALU_DEP_1) | instskip(SKIP_1) | instid1(VALU_DEP_1)
	v_cmp_eq_u32_e32 vcc_lo, 0, v176
	v_and_b32_e32 v165, 3, v145
	v_clz_i32_u32_e32 v166, v165
	s_delay_alu instid0(VALU_DEP_1) | instskip(NEXT) | instid1(VALU_DEP_1)
	v_min_u32_e32 v166, 32, v166
	v_subrev_nc_u32_e32 v167, 29, v166
	v_sub_nc_u32_e32 v166, 30, v166
	s_delay_alu instid0(VALU_DEP_1) | instskip(SKIP_1) | instid1(VALU_DEP_2)
	v_dual_cndmask_b32 v166, v176, v166 :: v_dual_lshlrev_b32 v167, v167, v145
	v_lshlrev_b32_e32 v145, 24, v145
	v_and_b32_e32 v167, 3, v167
	s_delay_alu instid0(VALU_DEP_3) | instskip(NEXT) | instid1(VALU_DEP_3)
	v_lshl_add_u32 v166, v166, 23, 0x37800000
	v_and_b32_e32 v145, 0x80000000, v145
	s_delay_alu instid0(VALU_DEP_3) | instskip(NEXT) | instid1(VALU_DEP_1)
	v_cndmask_b32_e32 v165, v165, v167, vcc_lo
	v_lshlrev_b32_e32 v165, 21, v165
	s_delay_alu instid0(VALU_DEP_1)
	v_or3_b32 v165, v145, v166, v165
.LBB4_9069:                             ;   in Loop: Header=BB4_8848 Depth=3
	s_or_b32 exec_lo, exec_lo, s31
	v_lshrrev_b16 v145, 8, v8
	s_mov_b32 s14, 0
	s_mov_b32 s34, exec_lo
                                        ; implicit-def: $sgpr31
	s_delay_alu instid0(VALU_DEP_1)
	v_cmpx_lt_i16_e64 0x7f, v145
	s_xor_b32 s34, exec_lo, s34
	s_cbranch_execnz .LBB4_9379
; %bb.9070:                             ;   in Loop: Header=BB4_8848 Depth=3
	s_or_saveexec_b32 s34, s34
	v_mov_b32_e32 v166, s31
	s_xor_b32 exec_lo, exec_lo, s34
	s_cbranch_execnz .LBB4_9382
.LBB4_9071:                             ;   in Loop: Header=BB4_8848 Depth=3
	s_or_b32 exec_lo, exec_lo, s34
	s_and_saveexec_b32 s31, s14
	s_cbranch_execz .LBB4_9073
.LBB4_9072:                             ;   in Loop: Header=BB4_8848 Depth=3
	v_and_b32_e32 v166, 0xffff, v145
	v_lshlrev_b32_e32 v145, 24, v145
	s_delay_alu instid0(VALU_DEP_2) | instskip(NEXT) | instid1(VALU_DEP_2)
	v_and_b32_e32 v167, 3, v166
	v_and_b32_e32 v145, 0x80000000, v145
	s_delay_alu instid0(VALU_DEP_2) | instskip(NEXT) | instid1(VALU_DEP_1)
	v_clz_i32_u32_e32 v176, v167
	v_min_u32_e32 v176, 32, v176
	s_delay_alu instid0(VALU_DEP_1) | instskip(SKIP_1) | instid1(VALU_DEP_2)
	v_subrev_nc_u32_e32 v177, 29, v176
	v_sub_nc_u32_e32 v176, 30, v176
	v_lshlrev_b32_e32 v177, v177, v166
	v_bfe_u32 v166, v166, 2, 5
	s_delay_alu instid0(VALU_DEP_2) | instskip(NEXT) | instid1(VALU_DEP_2)
	v_and_b32_e32 v177, 3, v177
	v_cmp_eq_u32_e32 vcc_lo, 0, v166
	s_delay_alu instid0(VALU_DEP_2) | instskip(NEXT) | instid1(VALU_DEP_1)
	v_dual_cndmask_b32 v166, v166, v176 :: v_dual_cndmask_b32 v167, v167, v177
	v_lshl_add_u32 v166, v166, 23, 0x37800000
	s_delay_alu instid0(VALU_DEP_2) | instskip(NEXT) | instid1(VALU_DEP_1)
	v_lshlrev_b32_e32 v167, 21, v167
	v_or3_b32 v166, v145, v166, v167
.LBB4_9073:                             ;   in Loop: Header=BB4_8848 Depth=3
	s_or_b32 exec_lo, exec_lo, s31
	s_delay_alu instid0(VALU_DEP_1) | instskip(NEXT) | instid1(VALU_DEP_1)
	v_add_f32_e32 v165, v165, v166
	v_and_b32_e32 v145, 0x7f800000, v165
	s_delay_alu instid0(VALU_DEP_1)
	v_cmp_ne_u32_e32 vcc_lo, 0x7f800000, v145
	v_mov_b32_e32 v145, 0x80
	s_and_saveexec_b32 s31, vcc_lo
	s_cbranch_execz .LBB4_9081
; %bb.9074:                             ;   in Loop: Header=BB4_8848 Depth=3
	v_mov_b32_e32 v145, 0
	s_mov_b32 s34, exec_lo
	v_cmpx_ne_u32_e32 0, v165
	s_cbranch_execz .LBB4_9080
; %bb.9075:                             ;   in Loop: Header=BB4_8848 Depth=3
	v_bfe_u32 v145, v165, 23, 8
	s_delay_alu instid0(VALU_DEP_1) | instskip(SKIP_1) | instid1(VALU_DEP_2)
	v_sub_nc_u32_e32 v167, 0x70, v145
	v_cmp_gt_u32_e32 vcc_lo, 0x71, v145
	v_dual_cndmask_b32 v167, 0, v167 :: v_dual_and_b32 v166, 0x7fffff, v165
	s_delay_alu instid0(VALU_DEP_1) | instskip(SKIP_2) | instid1(VALU_DEP_4)
	v_or_b32_e32 v176, 0x800000, v166
	v_cmp_eq_u32_e32 vcc_lo, 0, v145
	v_add_nc_u32_e32 v145, 0xffffff91, v145
	v_cndmask_b32_e64 v167, v167, 0x6f, vcc_lo
	s_delay_alu instid0(VALU_DEP_4) | instskip(NEXT) | instid1(VALU_DEP_3)
	v_cndmask_b32_e32 v166, v176, v166, vcc_lo
	v_cndmask_b32_e64 v145, v145, 0xffffff92, vcc_lo
	s_delay_alu instid0(VALU_DEP_3) | instskip(NEXT) | instid1(VALU_DEP_3)
	v_lshl_add_u32 v176, 0x200000, v167, -1
	v_lshrrev_b32_e32 v177, v167, v166
	v_lshlrev_b32_e64 v179, v167, 0x100000
	s_delay_alu instid0(VALU_DEP_4) | instskip(NEXT) | instid1(VALU_DEP_4)
	v_add_nc_u32_e32 v167, v167, v145
	v_and_b32_e32 v166, v176, v166
	s_delay_alu instid0(VALU_DEP_4) | instskip(NEXT) | instid1(VALU_DEP_2)
	v_bfe_u32 v178, v177, 21, 1
	v_cmp_eq_u32_e64 s14, v166, v179
	s_delay_alu instid0(VALU_DEP_2) | instskip(NEXT) | instid1(VALU_DEP_1)
	v_add_nc_u32_e32 v176, -1, v178
	v_cndmask_b32_e64 v166, 0, v176, s14
	v_lshrrev_b32_e32 v176, 23, v177
	s_mov_b32 s14, exec_lo
	s_delay_alu instid0(VALU_DEP_2) | instskip(NEXT) | instid1(VALU_DEP_2)
	v_add_nc_u32_e32 v166, v166, v177
	v_xor_b32_e32 v176, 1, v176
	s_delay_alu instid0(VALU_DEP_2) | instskip(NEXT) | instid1(VALU_DEP_1)
	v_and_b32_e32 v145, 0x1fffff, v166
	v_add_nc_u32_e32 v166, v145, v177
                                        ; implicit-def: $vgpr145
	s_delay_alu instid0(VALU_DEP_3)
	v_cmpx_ne_u32_e64 v167, v176
	s_xor_b32 s14, exec_lo, s14
; %bb.9076:                             ;   in Loop: Header=BB4_8848 Depth=3
	s_delay_alu instid0(VALU_DEP_2) | instskip(SKIP_2) | instid1(VALU_DEP_2)
	v_cmp_lt_u32_e32 vcc_lo, 0xffffff, v166
	v_sub_nc_u32_e32 v145, v167, v176
	v_cndmask_b32_e64 v167, 0, 1, vcc_lo
	v_add_co_ci_u32_e32 v145, vcc_lo, 0, v145, vcc_lo
	s_delay_alu instid0(VALU_DEP_2)
	v_lshrrev_b32_e32 v166, v167, v166
; %bb.9077:                             ;   in Loop: Header=BB4_8848 Depth=3
	s_and_not1_saveexec_b32 s14, s14
; %bb.9078:                             ;   in Loop: Header=BB4_8848 Depth=3
	s_delay_alu instid0(VALU_DEP_1)
	v_bfe_u32 v145, v166, 23, 1
; %bb.9079:                             ;   in Loop: Header=BB4_8848 Depth=3
	s_or_b32 exec_lo, exec_lo, s14
	v_lshrrev_b32_e32 v166, 21, v166
	s_delay_alu instid0(VALU_DEP_2) | instskip(SKIP_2) | instid1(VALU_DEP_2)
	v_cmp_gt_i32_e32 vcc_lo, 32, v145
	v_lshrrev_b32_e32 v165, 24, v165
	v_min_i32_e32 v167, 31, v145
	v_dual_cndmask_b32 v166, 3, v166 :: v_dual_and_b32 v165, 0x80, v165
	s_delay_alu instid0(VALU_DEP_2) | instskip(NEXT) | instid1(VALU_DEP_2)
	v_lshlrev_b32_e32 v167, 2, v167
	v_or_b32_e32 v145, v145, v166
	s_delay_alu instid0(VALU_DEP_1) | instskip(SKIP_1) | instid1(VALU_DEP_1)
	v_cmp_ne_u32_e32 vcc_lo, 0, v145
	v_and_b32_e32 v176, 3, v166
	v_or3_b32 v165, v167, v165, v176
	s_delay_alu instid0(VALU_DEP_1)
	v_cndmask_b32_e32 v145, 0, v165, vcc_lo
.LBB4_9080:                             ;   in Loop: Header=BB4_8848 Depth=3
	s_or_b32 exec_lo, exec_lo, s34
.LBB4_9081:                             ;   in Loop: Header=BB4_8848 Depth=3
	s_delay_alu instid0(SALU_CYCLE_1) | instskip(SKIP_3) | instid1(VALU_DEP_1)
	s_or_b32 exec_lo, exec_lo, s31
	v_and_b32_e32 v166, 0xff, v151
	s_mov_b32 s14, 0
	s_mov_b32 s34, exec_lo
                                        ; implicit-def: $sgpr31
	v_cmpx_lt_i16_e64 0x7f, v166
	s_xor_b32 s34, exec_lo, s34
	s_cbranch_execnz .LBB4_9383
; %bb.9082:                             ;   in Loop: Header=BB4_8848 Depth=3
	s_or_saveexec_b32 s34, s34
	v_mov_b32_e32 v165, s31
	s_xor_b32 exec_lo, exec_lo, s34
	s_cbranch_execnz .LBB4_9386
.LBB4_9083:                             ;   in Loop: Header=BB4_8848 Depth=3
	s_or_b32 exec_lo, exec_lo, s34
	s_and_saveexec_b32 s31, s14
	s_cbranch_execz .LBB4_9085
.LBB4_9084:                             ;   in Loop: Header=BB4_8848 Depth=3
	v_bfe_u32 v176, v151, 2, 5
	s_delay_alu instid0(VALU_DEP_1) | instskip(SKIP_1) | instid1(VALU_DEP_1)
	v_cmp_eq_u32_e32 vcc_lo, 0, v176
	v_and_b32_e32 v165, 3, v151
	v_clz_i32_u32_e32 v166, v165
	s_delay_alu instid0(VALU_DEP_1) | instskip(NEXT) | instid1(VALU_DEP_1)
	v_min_u32_e32 v166, 32, v166
	v_subrev_nc_u32_e32 v167, 29, v166
	v_sub_nc_u32_e32 v166, 30, v166
	s_delay_alu instid0(VALU_DEP_1) | instskip(SKIP_1) | instid1(VALU_DEP_2)
	v_dual_cndmask_b32 v166, v176, v166 :: v_dual_lshlrev_b32 v167, v167, v151
	v_lshlrev_b32_e32 v151, 24, v151
	v_and_b32_e32 v167, 3, v167
	s_delay_alu instid0(VALU_DEP_3) | instskip(NEXT) | instid1(VALU_DEP_3)
	v_lshl_add_u32 v166, v166, 23, 0x37800000
	v_and_b32_e32 v151, 0x80000000, v151
	s_delay_alu instid0(VALU_DEP_3) | instskip(NEXT) | instid1(VALU_DEP_1)
	v_cndmask_b32_e32 v165, v165, v167, vcc_lo
	v_lshlrev_b32_e32 v165, 21, v165
	s_delay_alu instid0(VALU_DEP_1)
	v_or3_b32 v165, v151, v166, v165
.LBB4_9085:                             ;   in Loop: Header=BB4_8848 Depth=3
	s_or_b32 exec_lo, exec_lo, s31
	v_lshrrev_b32_e32 v151, 16, v8
	s_mov_b32 s14, 0
	s_mov_b32 s34, exec_lo
                                        ; implicit-def: $sgpr31
	s_delay_alu instid0(VALU_DEP_1) | instskip(NEXT) | instid1(VALU_DEP_1)
	v_and_b32_e32 v167, 0xff, v151
	v_cmpx_lt_i16_e64 0x7f, v167
	s_xor_b32 s34, exec_lo, s34
	s_cbranch_execnz .LBB4_9387
; %bb.9086:                             ;   in Loop: Header=BB4_8848 Depth=3
	s_or_saveexec_b32 s34, s34
	v_mov_b32_e32 v166, s31
	s_xor_b32 exec_lo, exec_lo, s34
	s_cbranch_execnz .LBB4_9390
.LBB4_9087:                             ;   in Loop: Header=BB4_8848 Depth=3
	s_or_b32 exec_lo, exec_lo, s34
	s_and_saveexec_b32 s31, s14
	s_cbranch_execz .LBB4_9089
.LBB4_9088:                             ;   in Loop: Header=BB4_8848 Depth=3
	v_bfe_u32 v166, v8, 16, 2
	v_lshlrev_b32_e32 v177, 8, v8
	s_delay_alu instid0(VALU_DEP_2) | instskip(NEXT) | instid1(VALU_DEP_1)
	v_clz_i32_u32_e32 v167, v166
	v_min_u32_e32 v167, 32, v167
	s_delay_alu instid0(VALU_DEP_1) | instskip(SKIP_1) | instid1(VALU_DEP_2)
	v_subrev_nc_u32_e32 v176, 29, v167
	v_sub_nc_u32_e32 v167, 30, v167
	v_lshlrev_b32_e32 v151, v176, v151
	v_bfe_u32 v176, v8, 18, 5
	s_delay_alu instid0(VALU_DEP_2) | instskip(NEXT) | instid1(VALU_DEP_2)
	v_and_b32_e32 v151, 3, v151
	v_cmp_eq_u32_e32 vcc_lo, 0, v176
	v_cndmask_b32_e32 v167, v176, v167, vcc_lo
	s_delay_alu instid0(VALU_DEP_3) | instskip(NEXT) | instid1(VALU_DEP_2)
	v_dual_cndmask_b32 v151, v166, v151 :: v_dual_and_b32 v166, 0x80000000, v177
	v_lshl_add_u32 v167, v167, 23, 0x37800000
	s_delay_alu instid0(VALU_DEP_2) | instskip(NEXT) | instid1(VALU_DEP_1)
	v_lshlrev_b32_e32 v151, 21, v151
	v_or3_b32 v166, v166, v167, v151
.LBB4_9089:                             ;   in Loop: Header=BB4_8848 Depth=3
	s_or_b32 exec_lo, exec_lo, s31
	s_delay_alu instid0(VALU_DEP_1) | instskip(NEXT) | instid1(VALU_DEP_1)
	v_add_f32_e32 v165, v165, v166
	v_and_b32_e32 v151, 0x7f800000, v165
	s_delay_alu instid0(VALU_DEP_1)
	v_cmp_ne_u32_e32 vcc_lo, 0x7f800000, v151
	v_mov_b32_e32 v151, 0x80
	s_and_saveexec_b32 s31, vcc_lo
	s_cbranch_execz .LBB4_9097
; %bb.9090:                             ;   in Loop: Header=BB4_8848 Depth=3
	v_mov_b32_e32 v151, 0
	s_mov_b32 s34, exec_lo
	v_cmpx_ne_u32_e32 0, v165
	s_cbranch_execz .LBB4_9096
; %bb.9091:                             ;   in Loop: Header=BB4_8848 Depth=3
	v_bfe_u32 v151, v165, 23, 8
	s_delay_alu instid0(VALU_DEP_1) | instskip(SKIP_1) | instid1(VALU_DEP_2)
	v_sub_nc_u32_e32 v167, 0x70, v151
	v_cmp_gt_u32_e32 vcc_lo, 0x71, v151
	v_dual_cndmask_b32 v167, 0, v167 :: v_dual_and_b32 v166, 0x7fffff, v165
	s_delay_alu instid0(VALU_DEP_1) | instskip(SKIP_2) | instid1(VALU_DEP_4)
	v_or_b32_e32 v176, 0x800000, v166
	v_cmp_eq_u32_e32 vcc_lo, 0, v151
	v_add_nc_u32_e32 v151, 0xffffff91, v151
	v_cndmask_b32_e64 v167, v167, 0x6f, vcc_lo
	s_delay_alu instid0(VALU_DEP_4) | instskip(NEXT) | instid1(VALU_DEP_3)
	v_cndmask_b32_e32 v166, v176, v166, vcc_lo
	v_cndmask_b32_e64 v151, v151, 0xffffff92, vcc_lo
	s_delay_alu instid0(VALU_DEP_3) | instskip(NEXT) | instid1(VALU_DEP_3)
	v_lshl_add_u32 v176, 0x200000, v167, -1
	v_lshrrev_b32_e32 v177, v167, v166
	v_lshlrev_b32_e64 v179, v167, 0x100000
	s_delay_alu instid0(VALU_DEP_4) | instskip(NEXT) | instid1(VALU_DEP_4)
	v_add_nc_u32_e32 v167, v167, v151
	v_and_b32_e32 v166, v176, v166
	s_delay_alu instid0(VALU_DEP_4) | instskip(NEXT) | instid1(VALU_DEP_2)
	v_bfe_u32 v178, v177, 21, 1
	v_cmp_eq_u32_e64 s14, v166, v179
	s_delay_alu instid0(VALU_DEP_2) | instskip(NEXT) | instid1(VALU_DEP_1)
	v_add_nc_u32_e32 v176, -1, v178
	v_cndmask_b32_e64 v166, 0, v176, s14
	v_lshrrev_b32_e32 v176, 23, v177
	s_mov_b32 s14, exec_lo
	s_delay_alu instid0(VALU_DEP_2) | instskip(NEXT) | instid1(VALU_DEP_2)
	v_add_nc_u32_e32 v166, v166, v177
	v_xor_b32_e32 v176, 1, v176
	s_delay_alu instid0(VALU_DEP_2) | instskip(NEXT) | instid1(VALU_DEP_1)
	v_and_b32_e32 v151, 0x1fffff, v166
	v_add_nc_u32_e32 v166, v151, v177
                                        ; implicit-def: $vgpr151
	s_delay_alu instid0(VALU_DEP_3)
	v_cmpx_ne_u32_e64 v167, v176
	s_xor_b32 s14, exec_lo, s14
; %bb.9092:                             ;   in Loop: Header=BB4_8848 Depth=3
	s_delay_alu instid0(VALU_DEP_2) | instskip(SKIP_2) | instid1(VALU_DEP_2)
	v_cmp_lt_u32_e32 vcc_lo, 0xffffff, v166
	v_sub_nc_u32_e32 v151, v167, v176
	v_cndmask_b32_e64 v167, 0, 1, vcc_lo
	v_add_co_ci_u32_e32 v151, vcc_lo, 0, v151, vcc_lo
	s_delay_alu instid0(VALU_DEP_2)
	v_lshrrev_b32_e32 v166, v167, v166
; %bb.9093:                             ;   in Loop: Header=BB4_8848 Depth=3
	s_and_not1_saveexec_b32 s14, s14
; %bb.9094:                             ;   in Loop: Header=BB4_8848 Depth=3
	s_delay_alu instid0(VALU_DEP_1)
	v_bfe_u32 v151, v166, 23, 1
; %bb.9095:                             ;   in Loop: Header=BB4_8848 Depth=3
	s_or_b32 exec_lo, exec_lo, s14
	v_lshrrev_b32_e32 v166, 21, v166
	s_delay_alu instid0(VALU_DEP_2) | instskip(SKIP_2) | instid1(VALU_DEP_2)
	v_cmp_gt_i32_e32 vcc_lo, 32, v151
	v_lshrrev_b32_e32 v165, 24, v165
	v_min_i32_e32 v167, 31, v151
	v_dual_cndmask_b32 v166, 3, v166 :: v_dual_and_b32 v165, 0x80, v165
	s_delay_alu instid0(VALU_DEP_2) | instskip(NEXT) | instid1(VALU_DEP_2)
	v_lshlrev_b32_e32 v167, 2, v167
	v_or_b32_e32 v151, v151, v166
	s_delay_alu instid0(VALU_DEP_1) | instskip(SKIP_1) | instid1(VALU_DEP_1)
	v_cmp_ne_u32_e32 vcc_lo, 0, v151
	v_and_b32_e32 v176, 3, v166
	v_or3_b32 v165, v167, v165, v176
	s_delay_alu instid0(VALU_DEP_1)
	v_cndmask_b32_e32 v151, 0, v165, vcc_lo
.LBB4_9096:                             ;   in Loop: Header=BB4_8848 Depth=3
	s_or_b32 exec_lo, exec_lo, s34
.LBB4_9097:                             ;   in Loop: Header=BB4_8848 Depth=3
	s_delay_alu instid0(SALU_CYCLE_1) | instskip(SKIP_3) | instid1(VALU_DEP_1)
	s_or_b32 exec_lo, exec_lo, s31
	v_and_b32_e32 v166, 0xff, v162
	s_mov_b32 s14, 0
	s_mov_b32 s34, exec_lo
                                        ; implicit-def: $sgpr31
	v_cmpx_lt_i16_e64 0x7f, v166
	s_xor_b32 s34, exec_lo, s34
	s_cbranch_execnz .LBB4_9391
; %bb.9098:                             ;   in Loop: Header=BB4_8848 Depth=3
	s_or_saveexec_b32 s34, s34
	v_mov_b32_e32 v165, s31
	s_xor_b32 exec_lo, exec_lo, s34
	s_cbranch_execnz .LBB4_9394
.LBB4_9099:                             ;   in Loop: Header=BB4_8848 Depth=3
	s_or_b32 exec_lo, exec_lo, s34
	s_and_saveexec_b32 s31, s14
	s_cbranch_execz .LBB4_9101
.LBB4_9100:                             ;   in Loop: Header=BB4_8848 Depth=3
	v_lshlrev_b32_e32 v162, 8, v162
	s_delay_alu instid0(VALU_DEP_1) | instskip(SKIP_1) | instid1(VALU_DEP_2)
	v_and_b32_e32 v165, 0xff00, v162
	v_bfe_u32 v162, v162, 10, 5
	v_bfe_u32 v167, v165, 8, 2
	s_delay_alu instid0(VALU_DEP_2) | instskip(NEXT) | instid1(VALU_DEP_2)
	v_cmp_eq_u32_e32 vcc_lo, 0, v162
	v_clz_i32_u32_e32 v176, v167
	s_delay_alu instid0(VALU_DEP_1) | instskip(NEXT) | instid1(VALU_DEP_1)
	v_min_u32_e32 v176, 32, v176
	v_subrev_nc_u32_e32 v177, 29, v176
	v_sub_nc_u32_e32 v176, 30, v176
	s_delay_alu instid0(VALU_DEP_2) | instskip(NEXT) | instid1(VALU_DEP_2)
	v_lshlrev_b32_e32 v166, v177, v166
	v_cndmask_b32_e32 v162, v162, v176, vcc_lo
	s_delay_alu instid0(VALU_DEP_2) | instskip(SKIP_1) | instid1(VALU_DEP_3)
	v_and_b32_e32 v166, 3, v166
	v_lshlrev_b32_e32 v165, 16, v165
	v_lshl_add_u32 v162, v162, 23, 0x37800000
	s_delay_alu instid0(VALU_DEP_2) | instskip(NEXT) | instid1(VALU_DEP_1)
	v_dual_cndmask_b32 v166, v167, v166 :: v_dual_and_b32 v165, 0x80000000, v165
	v_lshlrev_b32_e32 v166, 21, v166
	s_delay_alu instid0(VALU_DEP_1)
	v_or3_b32 v165, v165, v162, v166
.LBB4_9101:                             ;   in Loop: Header=BB4_8848 Depth=3
	s_or_b32 exec_lo, exec_lo, s31
	v_lshrrev_b32_e32 v162, 24, v8
	s_mov_b32 s14, 0
	s_mov_b32 s34, exec_lo
                                        ; implicit-def: $sgpr31
	s_delay_alu instid0(VALU_DEP_1)
	v_cmpx_lt_i16_e64 0x7f, v162
	s_xor_b32 s34, exec_lo, s34
	s_cbranch_execnz .LBB4_9395
; %bb.9102:                             ;   in Loop: Header=BB4_8848 Depth=3
	s_or_saveexec_b32 s34, s34
	v_mov_b32_e32 v166, s31
	s_xor_b32 exec_lo, exec_lo, s34
	s_cbranch_execnz .LBB4_9398
.LBB4_9103:                             ;   in Loop: Header=BB4_8848 Depth=3
	s_or_b32 exec_lo, exec_lo, s34
	s_and_saveexec_b32 s31, s14
	s_cbranch_execz .LBB4_9105
.LBB4_9104:                             ;   in Loop: Header=BB4_8848 Depth=3
	v_bfe_u32 v166, v8, 24, 2
	s_delay_alu instid0(VALU_DEP_1) | instskip(NEXT) | instid1(VALU_DEP_1)
	v_clz_i32_u32_e32 v167, v166
	v_min_u32_e32 v167, 32, v167
	s_delay_alu instid0(VALU_DEP_1) | instskip(SKIP_1) | instid1(VALU_DEP_2)
	v_subrev_nc_u32_e32 v176, 29, v167
	v_sub_nc_u32_e32 v167, 30, v167
	v_lshlrev_b32_e32 v162, v176, v162
	v_bfe_u32 v176, v8, 26, 5
	v_and_b32_e32 v8, 0x80000000, v8
	s_delay_alu instid0(VALU_DEP_2) | instskip(NEXT) | instid1(VALU_DEP_4)
	v_cmp_eq_u32_e32 vcc_lo, 0, v176
	v_dual_cndmask_b32 v167, v176, v167 :: v_dual_and_b32 v162, 3, v162
	s_delay_alu instid0(VALU_DEP_1) | instskip(NEXT) | instid1(VALU_DEP_2)
	v_cndmask_b32_e32 v162, v166, v162, vcc_lo
	v_lshl_add_u32 v166, v167, 23, 0x37800000
	s_delay_alu instid0(VALU_DEP_2) | instskip(NEXT) | instid1(VALU_DEP_1)
	v_lshlrev_b32_e32 v162, 21, v162
	v_or3_b32 v166, v8, v166, v162
.LBB4_9105:                             ;   in Loop: Header=BB4_8848 Depth=3
	s_or_b32 exec_lo, exec_lo, s31
	s_delay_alu instid0(VALU_DEP_1) | instskip(NEXT) | instid1(VALU_DEP_1)
	v_add_f32_e32 v162, v165, v166
	v_and_b32_e32 v8, 0x7f800000, v162
	s_delay_alu instid0(VALU_DEP_1)
	v_cmp_ne_u32_e32 vcc_lo, 0x7f800000, v8
	v_mov_b32_e32 v8, 0x80
	s_and_saveexec_b32 s31, vcc_lo
	s_cbranch_execz .LBB4_9113
; %bb.9106:                             ;   in Loop: Header=BB4_8848 Depth=3
	v_mov_b32_e32 v8, 0
	s_mov_b32 s34, exec_lo
	v_cmpx_ne_u32_e32 0, v162
	s_cbranch_execz .LBB4_9112
; %bb.9107:                             ;   in Loop: Header=BB4_8848 Depth=3
	v_bfe_u32 v8, v162, 23, 8
	v_and_b32_e32 v165, 0x7fffff, v162
	s_delay_alu instid0(VALU_DEP_2) | instskip(SKIP_1) | instid1(VALU_DEP_3)
	v_sub_nc_u32_e32 v166, 0x70, v8
	v_cmp_gt_u32_e32 vcc_lo, 0x71, v8
	v_or_b32_e32 v167, 0x800000, v165
	s_delay_alu instid0(VALU_DEP_3) | instskip(SKIP_1) | instid1(VALU_DEP_3)
	v_cndmask_b32_e32 v166, 0, v166, vcc_lo
	v_cmp_eq_u32_e32 vcc_lo, 0, v8
	v_dual_cndmask_b32 v165, v167, v165 :: v_dual_add_nc_u32 v8, 0xffffff91, v8
	s_delay_alu instid0(VALU_DEP_3) | instskip(NEXT) | instid1(VALU_DEP_2)
	v_cndmask_b32_e64 v166, v166, 0x6f, vcc_lo
	v_cndmask_b32_e64 v8, v8, 0xffffff92, vcc_lo
	s_delay_alu instid0(VALU_DEP_2) | instskip(SKIP_2) | instid1(VALU_DEP_4)
	v_lshrrev_b32_e32 v176, v166, v165
	v_lshl_add_u32 v167, 0x200000, v166, -1
	v_lshlrev_b32_e64 v178, v166, 0x100000
	v_add_nc_u32_e32 v166, v166, v8
	s_delay_alu instid0(VALU_DEP_4) | instskip(NEXT) | instid1(VALU_DEP_4)
	v_bfe_u32 v177, v176, 21, 1
	v_and_b32_e32 v165, v167, v165
	s_delay_alu instid0(VALU_DEP_2) | instskip(NEXT) | instid1(VALU_DEP_2)
	v_add_nc_u32_e32 v167, -1, v177
	v_cmp_eq_u32_e64 s14, v165, v178
	s_delay_alu instid0(VALU_DEP_1) | instskip(SKIP_2) | instid1(VALU_DEP_2)
	v_cndmask_b32_e64 v165, 0, v167, s14
	v_lshrrev_b32_e32 v167, 23, v176
	s_mov_b32 s14, exec_lo
	v_add_nc_u32_e32 v165, v165, v176
	s_delay_alu instid0(VALU_DEP_2) | instskip(NEXT) | instid1(VALU_DEP_2)
	v_xor_b32_e32 v167, 1, v167
	v_and_b32_e32 v8, 0x1fffff, v165
	s_delay_alu instid0(VALU_DEP_1) | instskip(NEXT) | instid1(VALU_DEP_3)
	v_add_nc_u32_e32 v165, v8, v176
                                        ; implicit-def: $vgpr8
	v_cmpx_ne_u32_e64 v166, v167
	s_xor_b32 s14, exec_lo, s14
; %bb.9108:                             ;   in Loop: Header=BB4_8848 Depth=3
	s_delay_alu instid0(VALU_DEP_2) | instskip(SKIP_2) | instid1(VALU_DEP_2)
	v_cmp_lt_u32_e32 vcc_lo, 0xffffff, v165
	v_sub_nc_u32_e32 v8, v166, v167
	v_cndmask_b32_e64 v166, 0, 1, vcc_lo
	v_add_co_ci_u32_e32 v8, vcc_lo, 0, v8, vcc_lo
	s_delay_alu instid0(VALU_DEP_2)
	v_lshrrev_b32_e32 v165, v166, v165
; %bb.9109:                             ;   in Loop: Header=BB4_8848 Depth=3
	s_and_not1_saveexec_b32 s14, s14
; %bb.9110:                             ;   in Loop: Header=BB4_8848 Depth=3
	s_delay_alu instid0(VALU_DEP_1)
	v_bfe_u32 v8, v165, 23, 1
; %bb.9111:                             ;   in Loop: Header=BB4_8848 Depth=3
	s_or_b32 exec_lo, exec_lo, s14
	v_lshrrev_b32_e32 v165, 21, v165
	s_delay_alu instid0(VALU_DEP_2) | instskip(SKIP_2) | instid1(VALU_DEP_2)
	v_cmp_gt_i32_e32 vcc_lo, 32, v8
	v_lshrrev_b32_e32 v162, 24, v162
	v_min_i32_e32 v166, 31, v8
	v_dual_cndmask_b32 v165, 3, v165 :: v_dual_and_b32 v162, 0x80, v162
	s_delay_alu instid0(VALU_DEP_2) | instskip(NEXT) | instid1(VALU_DEP_2)
	v_lshlrev_b32_e32 v166, 2, v166
	v_or_b32_e32 v8, v8, v165
	s_delay_alu instid0(VALU_DEP_1) | instskip(SKIP_1) | instid1(VALU_DEP_1)
	v_cmp_ne_u32_e32 vcc_lo, 0, v8
	v_and_b32_e32 v167, 3, v165
	v_or3_b32 v162, v166, v162, v167
	s_delay_alu instid0(VALU_DEP_1)
	v_cndmask_b32_e32 v8, 0, v162, vcc_lo
.LBB4_9112:                             ;   in Loop: Header=BB4_8848 Depth=3
	s_or_b32 exec_lo, exec_lo, s34
.LBB4_9113:                             ;   in Loop: Header=BB4_8848 Depth=3
	s_delay_alu instid0(SALU_CYCLE_1) | instskip(SKIP_3) | instid1(VALU_DEP_1)
	s_or_b32 exec_lo, exec_lo, s31
	v_or_b32_e32 v164, v164, v161
	s_mov_b32 s14, 0
	s_mov_b32 s34, exec_lo
                                        ; implicit-def: $sgpr31
	v_and_b32_e32 v162, 0xff, v164
	s_delay_alu instid0(VALU_DEP_1)
	v_cmpx_lt_i16_e64 0x7f, v162
	s_xor_b32 s34, exec_lo, s34
	s_cbranch_execnz .LBB4_9399
; %bb.9114:                             ;   in Loop: Header=BB4_8848 Depth=3
	s_or_saveexec_b32 s34, s34
	v_mov_b32_e32 v161, s31
	s_xor_b32 exec_lo, exec_lo, s34
	s_cbranch_execnz .LBB4_9402
.LBB4_9115:                             ;   in Loop: Header=BB4_8848 Depth=3
	s_or_b32 exec_lo, exec_lo, s34
	s_and_saveexec_b32 s31, s14
	s_cbranch_execz .LBB4_9117
.LBB4_9116:                             ;   in Loop: Header=BB4_8848 Depth=3
	v_bfe_u32 v166, v164, 2, 5
	v_lshlrev_b32_e32 v167, 24, v164
	s_delay_alu instid0(VALU_DEP_2) | instskip(SKIP_1) | instid1(VALU_DEP_1)
	v_cmp_eq_u32_e32 vcc_lo, 0, v166
	v_and_b32_e32 v161, 3, v164
	v_clz_i32_u32_e32 v162, v161
	s_delay_alu instid0(VALU_DEP_1) | instskip(NEXT) | instid1(VALU_DEP_1)
	v_min_u32_e32 v162, 32, v162
	v_subrev_nc_u32_e32 v165, 29, v162
	v_sub_nc_u32_e32 v162, 30, v162
	s_delay_alu instid0(VALU_DEP_1) | instskip(NEXT) | instid1(VALU_DEP_1)
	v_dual_cndmask_b32 v162, v166, v162 :: v_dual_lshlrev_b32 v165, v165, v164
	v_and_b32_e32 v165, 3, v165
	s_delay_alu instid0(VALU_DEP_2) | instskip(NEXT) | instid1(VALU_DEP_2)
	v_lshl_add_u32 v162, v162, 23, 0x37800000
	v_cndmask_b32_e32 v161, v161, v165, vcc_lo
	v_and_b32_e32 v165, 0x80000000, v167
	s_delay_alu instid0(VALU_DEP_2) | instskip(NEXT) | instid1(VALU_DEP_1)
	v_lshlrev_b32_e32 v161, 21, v161
	v_or3_b32 v161, v165, v162, v161
.LBB4_9117:                             ;   in Loop: Header=BB4_8848 Depth=3
	s_or_b32 exec_lo, exec_lo, s31
	v_and_b32_e32 v165, 0xff, v9
	s_mov_b32 s14, 0
	s_mov_b32 s34, exec_lo
                                        ; implicit-def: $sgpr31
	s_delay_alu instid0(VALU_DEP_1)
	v_cmpx_lt_i16_e64 0x7f, v165
	s_xor_b32 s34, exec_lo, s34
	s_cbranch_execnz .LBB4_9403
; %bb.9118:                             ;   in Loop: Header=BB4_8848 Depth=3
	s_or_saveexec_b32 s34, s34
	v_mov_b32_e32 v162, s31
	s_xor_b32 exec_lo, exec_lo, s34
	s_cbranch_execnz .LBB4_9406
.LBB4_9119:                             ;   in Loop: Header=BB4_8848 Depth=3
	s_or_b32 exec_lo, exec_lo, s34
	s_and_saveexec_b32 s31, s14
	s_cbranch_execz .LBB4_9121
.LBB4_9120:                             ;   in Loop: Header=BB4_8848 Depth=3
	v_and_b32_e32 v162, 3, v9
	v_bfe_u32 v167, v9, 2, 5
	v_lshlrev_b32_e32 v176, 24, v9
	s_delay_alu instid0(VALU_DEP_3) | instskip(NEXT) | instid1(VALU_DEP_3)
	v_clz_i32_u32_e32 v165, v162
	v_cmp_eq_u32_e32 vcc_lo, 0, v167
	s_delay_alu instid0(VALU_DEP_2) | instskip(NEXT) | instid1(VALU_DEP_1)
	v_min_u32_e32 v165, 32, v165
	v_subrev_nc_u32_e32 v166, 29, v165
	v_sub_nc_u32_e32 v165, 30, v165
	s_delay_alu instid0(VALU_DEP_2) | instskip(NEXT) | instid1(VALU_DEP_1)
	v_lshlrev_b32_e32 v166, v166, v9
	v_dual_cndmask_b32 v165, v167, v165 :: v_dual_and_b32 v166, 3, v166
	s_delay_alu instid0(VALU_DEP_1) | instskip(NEXT) | instid1(VALU_DEP_2)
	v_lshl_add_u32 v165, v165, 23, 0x37800000
	v_cndmask_b32_e32 v162, v162, v166, vcc_lo
	v_and_b32_e32 v166, 0x80000000, v176
	s_delay_alu instid0(VALU_DEP_2) | instskip(NEXT) | instid1(VALU_DEP_1)
	v_lshlrev_b32_e32 v162, 21, v162
	v_or3_b32 v162, v166, v165, v162
.LBB4_9121:                             ;   in Loop: Header=BB4_8848 Depth=3
	s_or_b32 exec_lo, exec_lo, s31
	s_delay_alu instid0(VALU_DEP_1) | instskip(NEXT) | instid1(VALU_DEP_1)
	v_add_f32_e32 v162, v161, v162
	v_and_b32_e32 v161, 0x7f800000, v162
	s_delay_alu instid0(VALU_DEP_1)
	v_cmp_ne_u32_e32 vcc_lo, 0x7f800000, v161
	v_mov_b32_e32 v161, 0x80
	s_and_saveexec_b32 s31, vcc_lo
	s_cbranch_execz .LBB4_9129
; %bb.9122:                             ;   in Loop: Header=BB4_8848 Depth=3
	v_mov_b32_e32 v161, 0
	s_mov_b32 s34, exec_lo
	v_cmpx_ne_u32_e32 0, v162
	s_cbranch_execz .LBB4_9128
; %bb.9123:                             ;   in Loop: Header=BB4_8848 Depth=3
	v_bfe_u32 v161, v162, 23, 8
	v_and_b32_e32 v165, 0x7fffff, v162
	s_delay_alu instid0(VALU_DEP_2) | instskip(SKIP_1) | instid1(VALU_DEP_3)
	v_sub_nc_u32_e32 v166, 0x70, v161
	v_cmp_gt_u32_e32 vcc_lo, 0x71, v161
	v_or_b32_e32 v167, 0x800000, v165
	s_delay_alu instid0(VALU_DEP_3) | instskip(SKIP_2) | instid1(VALU_DEP_4)
	v_cndmask_b32_e32 v166, 0, v166, vcc_lo
	v_cmp_eq_u32_e32 vcc_lo, 0, v161
	v_add_nc_u32_e32 v161, 0xffffff91, v161
	v_cndmask_b32_e32 v165, v167, v165, vcc_lo
	s_delay_alu instid0(VALU_DEP_4) | instskip(NEXT) | instid1(VALU_DEP_3)
	v_cndmask_b32_e64 v166, v166, 0x6f, vcc_lo
	v_cndmask_b32_e64 v161, v161, 0xffffff92, vcc_lo
	s_delay_alu instid0(VALU_DEP_2) | instskip(SKIP_2) | instid1(VALU_DEP_4)
	v_lshrrev_b32_e32 v176, v166, v165
	v_lshl_add_u32 v167, 0x200000, v166, -1
	v_lshlrev_b32_e64 v178, v166, 0x100000
	v_add_nc_u32_e32 v166, v166, v161
	s_delay_alu instid0(VALU_DEP_4) | instskip(NEXT) | instid1(VALU_DEP_4)
	v_bfe_u32 v177, v176, 21, 1
	v_and_b32_e32 v165, v167, v165
	s_delay_alu instid0(VALU_DEP_2) | instskip(NEXT) | instid1(VALU_DEP_2)
	v_add_nc_u32_e32 v167, -1, v177
	v_cmp_eq_u32_e64 s14, v165, v178
	s_delay_alu instid0(VALU_DEP_1) | instskip(SKIP_2) | instid1(VALU_DEP_2)
	v_cndmask_b32_e64 v165, 0, v167, s14
	v_lshrrev_b32_e32 v167, 23, v176
	s_mov_b32 s14, exec_lo
	v_add_nc_u32_e32 v165, v165, v176
	s_delay_alu instid0(VALU_DEP_2) | instskip(NEXT) | instid1(VALU_DEP_2)
	v_xor_b32_e32 v167, 1, v167
	v_and_b32_e32 v161, 0x1fffff, v165
	s_delay_alu instid0(VALU_DEP_1) | instskip(NEXT) | instid1(VALU_DEP_3)
	v_add_nc_u32_e32 v165, v161, v176
                                        ; implicit-def: $vgpr161
	v_cmpx_ne_u32_e64 v166, v167
	s_xor_b32 s14, exec_lo, s14
; %bb.9124:                             ;   in Loop: Header=BB4_8848 Depth=3
	s_delay_alu instid0(VALU_DEP_2) | instskip(SKIP_2) | instid1(VALU_DEP_2)
	v_cmp_lt_u32_e32 vcc_lo, 0xffffff, v165
	v_sub_nc_u32_e32 v161, v166, v167
	v_cndmask_b32_e64 v166, 0, 1, vcc_lo
	v_add_co_ci_u32_e32 v161, vcc_lo, 0, v161, vcc_lo
	s_delay_alu instid0(VALU_DEP_2)
	v_lshrrev_b32_e32 v165, v166, v165
; %bb.9125:                             ;   in Loop: Header=BB4_8848 Depth=3
	s_and_not1_saveexec_b32 s14, s14
; %bb.9126:                             ;   in Loop: Header=BB4_8848 Depth=3
	s_delay_alu instid0(VALU_DEP_1)
	v_bfe_u32 v161, v165, 23, 1
; %bb.9127:                             ;   in Loop: Header=BB4_8848 Depth=3
	s_or_b32 exec_lo, exec_lo, s14
	v_lshrrev_b32_e32 v165, 21, v165
	s_delay_alu instid0(VALU_DEP_2) | instskip(SKIP_2) | instid1(VALU_DEP_2)
	v_cmp_gt_i32_e32 vcc_lo, 32, v161
	v_lshrrev_b32_e32 v162, 24, v162
	v_min_i32_e32 v166, 31, v161
	v_dual_cndmask_b32 v165, 3, v165 :: v_dual_and_b32 v162, 0x80, v162
	s_delay_alu instid0(VALU_DEP_2) | instskip(NEXT) | instid1(VALU_DEP_2)
	v_lshlrev_b32_e32 v166, 2, v166
	v_and_b32_e32 v167, 3, v165
	v_or_b32_e32 v161, v161, v165
	s_delay_alu instid0(VALU_DEP_2) | instskip(NEXT) | instid1(VALU_DEP_2)
	v_or3_b32 v162, v166, v162, v167
	v_cmp_ne_u32_e32 vcc_lo, 0, v161
	s_delay_alu instid0(VALU_DEP_2)
	v_cndmask_b32_e32 v161, 0, v162, vcc_lo
.LBB4_9128:                             ;   in Loop: Header=BB4_8848 Depth=3
	s_or_b32 exec_lo, exec_lo, s34
.LBB4_9129:                             ;   in Loop: Header=BB4_8848 Depth=3
	s_delay_alu instid0(SALU_CYCLE_1) | instskip(SKIP_3) | instid1(VALU_DEP_1)
	s_or_b32 exec_lo, exec_lo, s31
	v_lshrrev_b16 v165, 8, v164
	s_mov_b32 s14, 0
	s_mov_b32 s34, exec_lo
                                        ; implicit-def: $sgpr31
	v_cmpx_lt_i16_e64 0x7f, v165
	s_xor_b32 s34, exec_lo, s34
	s_cbranch_execnz .LBB4_9407
; %bb.9130:                             ;   in Loop: Header=BB4_8848 Depth=3
	s_or_saveexec_b32 s34, s34
	v_mov_b32_e32 v162, s31
	s_xor_b32 exec_lo, exec_lo, s34
	s_cbranch_execnz .LBB4_9410
.LBB4_9131:                             ;   in Loop: Header=BB4_8848 Depth=3
	s_or_b32 exec_lo, exec_lo, s34
	s_and_saveexec_b32 s31, s14
	s_cbranch_execz .LBB4_9133
.LBB4_9132:                             ;   in Loop: Header=BB4_8848 Depth=3
	v_and_b32_e32 v162, 0xffff, v165
	s_delay_alu instid0(VALU_DEP_1) | instskip(NEXT) | instid1(VALU_DEP_1)
	v_and_b32_e32 v166, 3, v162
	v_clz_i32_u32_e32 v167, v166
	s_delay_alu instid0(VALU_DEP_1) | instskip(NEXT) | instid1(VALU_DEP_1)
	v_min_u32_e32 v167, 32, v167
	v_subrev_nc_u32_e32 v176, 29, v167
	v_sub_nc_u32_e32 v167, 30, v167
	s_delay_alu instid0(VALU_DEP_2) | instskip(SKIP_1) | instid1(VALU_DEP_2)
	v_lshlrev_b32_e32 v176, v176, v162
	v_bfe_u32 v162, v162, 2, 5
	v_and_b32_e32 v176, 3, v176
	s_delay_alu instid0(VALU_DEP_2) | instskip(SKIP_1) | instid1(VALU_DEP_1)
	v_cmp_eq_u32_e32 vcc_lo, 0, v162
	v_dual_cndmask_b32 v162, v162, v167 :: v_dual_lshlrev_b32 v165, 24, v165
	v_dual_cndmask_b32 v166, v166, v176 :: v_dual_and_b32 v165, 0x80000000, v165
	s_delay_alu instid0(VALU_DEP_2) | instskip(NEXT) | instid1(VALU_DEP_2)
	v_lshl_add_u32 v162, v162, 23, 0x37800000
	v_lshlrev_b32_e32 v166, 21, v166
	s_delay_alu instid0(VALU_DEP_1)
	v_or3_b32 v162, v165, v162, v166
.LBB4_9133:                             ;   in Loop: Header=BB4_8848 Depth=3
	s_or_b32 exec_lo, exec_lo, s31
	v_lshrrev_b16 v165, 8, v9
	s_mov_b32 s14, 0
	s_mov_b32 s34, exec_lo
                                        ; implicit-def: $sgpr31
	s_delay_alu instid0(VALU_DEP_1)
	v_cmpx_lt_i16_e64 0x7f, v165
	s_xor_b32 s34, exec_lo, s34
	s_cbranch_execnz .LBB4_9411
; %bb.9134:                             ;   in Loop: Header=BB4_8848 Depth=3
	s_or_saveexec_b32 s34, s34
	v_mov_b32_e32 v166, s31
	s_xor_b32 exec_lo, exec_lo, s34
	s_cbranch_execnz .LBB4_9414
.LBB4_9135:                             ;   in Loop: Header=BB4_8848 Depth=3
	s_or_b32 exec_lo, exec_lo, s34
	s_and_saveexec_b32 s31, s14
	s_cbranch_execz .LBB4_9137
.LBB4_9136:                             ;   in Loop: Header=BB4_8848 Depth=3
	v_and_b32_e32 v166, 0xffff, v165
	v_lshlrev_b32_e32 v165, 24, v165
	s_delay_alu instid0(VALU_DEP_2) | instskip(NEXT) | instid1(VALU_DEP_2)
	v_and_b32_e32 v167, 3, v166
	v_and_b32_e32 v165, 0x80000000, v165
	s_delay_alu instid0(VALU_DEP_2) | instskip(NEXT) | instid1(VALU_DEP_1)
	v_clz_i32_u32_e32 v176, v167
	v_min_u32_e32 v176, 32, v176
	s_delay_alu instid0(VALU_DEP_1) | instskip(SKIP_1) | instid1(VALU_DEP_2)
	v_subrev_nc_u32_e32 v177, 29, v176
	v_sub_nc_u32_e32 v176, 30, v176
	v_lshlrev_b32_e32 v177, v177, v166
	v_bfe_u32 v166, v166, 2, 5
	s_delay_alu instid0(VALU_DEP_2) | instskip(NEXT) | instid1(VALU_DEP_2)
	v_and_b32_e32 v177, 3, v177
	v_cmp_eq_u32_e32 vcc_lo, 0, v166
	s_delay_alu instid0(VALU_DEP_2) | instskip(NEXT) | instid1(VALU_DEP_1)
	v_dual_cndmask_b32 v166, v166, v176 :: v_dual_cndmask_b32 v167, v167, v177
	v_lshl_add_u32 v166, v166, 23, 0x37800000
	s_delay_alu instid0(VALU_DEP_2) | instskip(NEXT) | instid1(VALU_DEP_1)
	v_lshlrev_b32_e32 v167, 21, v167
	v_or3_b32 v166, v165, v166, v167
.LBB4_9137:                             ;   in Loop: Header=BB4_8848 Depth=3
	s_or_b32 exec_lo, exec_lo, s31
	s_delay_alu instid0(VALU_DEP_1) | instskip(NEXT) | instid1(VALU_DEP_1)
	v_add_f32_e32 v165, v162, v166
	v_and_b32_e32 v162, 0x7f800000, v165
	s_delay_alu instid0(VALU_DEP_1)
	v_cmp_ne_u32_e32 vcc_lo, 0x7f800000, v162
	v_mov_b32_e32 v162, 0x8000
	s_and_saveexec_b32 s31, vcc_lo
	s_cbranch_execz .LBB4_9145
; %bb.9138:                             ;   in Loop: Header=BB4_8848 Depth=3
	v_mov_b32_e32 v162, 0
	s_mov_b32 s34, exec_lo
	v_cmpx_ne_u32_e32 0, v165
	s_cbranch_execz .LBB4_9144
; %bb.9139:                             ;   in Loop: Header=BB4_8848 Depth=3
	v_bfe_u32 v162, v165, 23, 8
	s_delay_alu instid0(VALU_DEP_1) | instskip(SKIP_1) | instid1(VALU_DEP_2)
	v_sub_nc_u32_e32 v167, 0x70, v162
	v_cmp_gt_u32_e32 vcc_lo, 0x71, v162
	v_dual_cndmask_b32 v167, 0, v167 :: v_dual_and_b32 v166, 0x7fffff, v165
	s_delay_alu instid0(VALU_DEP_1) | instskip(SKIP_2) | instid1(VALU_DEP_4)
	v_or_b32_e32 v176, 0x800000, v166
	v_cmp_eq_u32_e32 vcc_lo, 0, v162
	v_add_nc_u32_e32 v162, 0xffffff91, v162
	v_cndmask_b32_e64 v167, v167, 0x6f, vcc_lo
	s_delay_alu instid0(VALU_DEP_4) | instskip(NEXT) | instid1(VALU_DEP_3)
	v_cndmask_b32_e32 v166, v176, v166, vcc_lo
	v_cndmask_b32_e64 v162, v162, 0xffffff92, vcc_lo
	s_delay_alu instid0(VALU_DEP_3) | instskip(NEXT) | instid1(VALU_DEP_3)
	v_lshl_add_u32 v176, 0x200000, v167, -1
	v_lshrrev_b32_e32 v177, v167, v166
	v_lshlrev_b32_e64 v179, v167, 0x100000
	s_delay_alu instid0(VALU_DEP_4) | instskip(NEXT) | instid1(VALU_DEP_4)
	v_add_nc_u32_e32 v167, v167, v162
	v_and_b32_e32 v166, v176, v166
	s_delay_alu instid0(VALU_DEP_4) | instskip(NEXT) | instid1(VALU_DEP_2)
	v_bfe_u32 v178, v177, 21, 1
	v_cmp_eq_u32_e64 s14, v166, v179
	s_delay_alu instid0(VALU_DEP_2) | instskip(NEXT) | instid1(VALU_DEP_1)
	v_add_nc_u32_e32 v176, -1, v178
	v_cndmask_b32_e64 v166, 0, v176, s14
	v_lshrrev_b32_e32 v176, 23, v177
	s_mov_b32 s14, exec_lo
	s_delay_alu instid0(VALU_DEP_2) | instskip(NEXT) | instid1(VALU_DEP_2)
	v_add_nc_u32_e32 v166, v166, v177
	v_xor_b32_e32 v176, 1, v176
	s_delay_alu instid0(VALU_DEP_2) | instskip(NEXT) | instid1(VALU_DEP_1)
	v_and_b32_e32 v162, 0x1fffff, v166
	v_add_nc_u32_e32 v166, v162, v177
                                        ; implicit-def: $vgpr162
	s_delay_alu instid0(VALU_DEP_3)
	v_cmpx_ne_u32_e64 v167, v176
	s_xor_b32 s14, exec_lo, s14
; %bb.9140:                             ;   in Loop: Header=BB4_8848 Depth=3
	s_delay_alu instid0(VALU_DEP_2) | instskip(SKIP_2) | instid1(VALU_DEP_2)
	v_cmp_lt_u32_e32 vcc_lo, 0xffffff, v166
	v_sub_nc_u32_e32 v162, v167, v176
	v_cndmask_b32_e64 v167, 0, 1, vcc_lo
	v_add_co_ci_u32_e32 v162, vcc_lo, 0, v162, vcc_lo
	s_delay_alu instid0(VALU_DEP_2)
	v_lshrrev_b32_e32 v166, v167, v166
; %bb.9141:                             ;   in Loop: Header=BB4_8848 Depth=3
	s_and_not1_saveexec_b32 s14, s14
; %bb.9142:                             ;   in Loop: Header=BB4_8848 Depth=3
	s_delay_alu instid0(VALU_DEP_1)
	v_bfe_u32 v162, v166, 23, 1
; %bb.9143:                             ;   in Loop: Header=BB4_8848 Depth=3
	s_or_b32 exec_lo, exec_lo, s14
	v_lshrrev_b32_e32 v166, 21, v166
	s_delay_alu instid0(VALU_DEP_2) | instskip(SKIP_2) | instid1(VALU_DEP_2)
	v_cmp_gt_i32_e32 vcc_lo, 32, v162
	v_min_i32_e32 v167, 31, v162
	v_lshrrev_b32_e32 v165, 24, v165
	v_dual_cndmask_b32 v166, 3, v166 :: v_dual_lshlrev_b32 v167, 2, v167
	s_delay_alu instid0(VALU_DEP_2) | instskip(NEXT) | instid1(VALU_DEP_2)
	v_and_b32_e32 v165, 0x80, v165
	v_or_b32_e32 v162, v162, v166
	v_and_b32_e32 v176, 3, v166
	s_delay_alu instid0(VALU_DEP_2) | instskip(SKIP_1) | instid1(VALU_DEP_1)
	v_cmp_ne_u32_e32 vcc_lo, 0, v162
	v_and_b32_e32 v167, 0xfc, v167
	v_or3_b32 v165, v165, v167, v176
	s_delay_alu instid0(VALU_DEP_1) | instskip(NEXT) | instid1(VALU_DEP_1)
	v_lshlrev_b32_e32 v165, 8, v165
	v_cndmask_b32_e32 v162, 0, v165, vcc_lo
.LBB4_9144:                             ;   in Loop: Header=BB4_8848 Depth=3
	s_or_b32 exec_lo, exec_lo, s34
.LBB4_9145:                             ;   in Loop: Header=BB4_8848 Depth=3
	s_delay_alu instid0(SALU_CYCLE_1) | instskip(SKIP_3) | instid1(VALU_DEP_1)
	s_or_b32 exec_lo, exec_lo, s31
	v_or_b32_e32 v163, v163, v160
	s_mov_b32 s14, 0
	s_mov_b32 s34, exec_lo
                                        ; implicit-def: $sgpr31
	v_and_b32_e32 v165, 0xff, v163
	s_delay_alu instid0(VALU_DEP_1)
	v_cmpx_lt_i16_e64 0x7f, v165
	s_xor_b32 s34, exec_lo, s34
	s_cbranch_execnz .LBB4_9415
; %bb.9146:                             ;   in Loop: Header=BB4_8848 Depth=3
	s_or_saveexec_b32 s34, s34
	v_mov_b32_e32 v160, s31
	s_xor_b32 exec_lo, exec_lo, s34
	s_cbranch_execnz .LBB4_9418
.LBB4_9147:                             ;   in Loop: Header=BB4_8848 Depth=3
	s_or_b32 exec_lo, exec_lo, s34
	v_lshl_or_b32 v163, v163, 16, v164
	s_and_saveexec_b32 s31, s14
	s_cbranch_execz .LBB4_9149
.LBB4_9148:                             ;   in Loop: Header=BB4_8848 Depth=3
	s_delay_alu instid0(VALU_DEP_1) | instskip(SKIP_1) | instid1(VALU_DEP_2)
	v_bfe_u32 v160, v163, 16, 2
	v_lshrrev_b32_e32 v165, 16, v163
	v_clz_i32_u32_e32 v164, v160
	s_delay_alu instid0(VALU_DEP_1) | instskip(NEXT) | instid1(VALU_DEP_1)
	v_min_u32_e32 v164, 32, v164
	v_subrev_nc_u32_e32 v166, 29, v164
	v_sub_nc_u32_e32 v164, 30, v164
	s_delay_alu instid0(VALU_DEP_2) | instskip(SKIP_1) | instid1(VALU_DEP_1)
	v_lshlrev_b32_e32 v165, v166, v165
	v_bfe_u32 v166, v163, 18, 5
	v_cmp_eq_u32_e32 vcc_lo, 0, v166
	s_delay_alu instid0(VALU_DEP_3) | instskip(NEXT) | instid1(VALU_DEP_1)
	v_dual_cndmask_b32 v164, v166, v164 :: v_dual_and_b32 v165, 3, v165
	v_dual_cndmask_b32 v160, v160, v165 :: v_dual_lshlrev_b32 v167, 8, v163
	s_delay_alu instid0(VALU_DEP_2) | instskip(NEXT) | instid1(VALU_DEP_2)
	v_lshl_add_u32 v164, v164, 23, 0x37800000
	v_and_b32_e32 v165, 0x80000000, v167
	s_delay_alu instid0(VALU_DEP_3) | instskip(NEXT) | instid1(VALU_DEP_1)
	v_lshlrev_b32_e32 v160, 21, v160
	v_or3_b32 v160, v165, v164, v160
.LBB4_9149:                             ;   in Loop: Header=BB4_8848 Depth=3
	s_or_b32 exec_lo, exec_lo, s31
	v_lshrrev_b32_e32 v164, 16, v9
	s_mov_b32 s14, 0
	s_mov_b32 s34, exec_lo
                                        ; implicit-def: $sgpr31
	s_delay_alu instid0(VALU_DEP_1) | instskip(NEXT) | instid1(VALU_DEP_1)
	v_and_b32_e32 v166, 0xff, v164
	v_cmpx_lt_i16_e64 0x7f, v166
	s_xor_b32 s34, exec_lo, s34
	s_cbranch_execnz .LBB4_9419
; %bb.9150:                             ;   in Loop: Header=BB4_8848 Depth=3
	s_or_saveexec_b32 s34, s34
	v_mov_b32_e32 v165, s31
	s_xor_b32 exec_lo, exec_lo, s34
	s_cbranch_execnz .LBB4_9422
.LBB4_9151:                             ;   in Loop: Header=BB4_8848 Depth=3
	s_or_b32 exec_lo, exec_lo, s34
	s_and_saveexec_b32 s31, s14
	s_cbranch_execz .LBB4_9153
.LBB4_9152:                             ;   in Loop: Header=BB4_8848 Depth=3
	v_bfe_u32 v165, v9, 16, 2
	v_lshlrev_b32_e32 v176, 8, v9
	s_delay_alu instid0(VALU_DEP_2) | instskip(NEXT) | instid1(VALU_DEP_1)
	v_clz_i32_u32_e32 v166, v165
	v_min_u32_e32 v166, 32, v166
	s_delay_alu instid0(VALU_DEP_1) | instskip(SKIP_1) | instid1(VALU_DEP_2)
	v_subrev_nc_u32_e32 v167, 29, v166
	v_sub_nc_u32_e32 v166, 30, v166
	v_lshlrev_b32_e32 v164, v167, v164
	v_bfe_u32 v167, v9, 18, 5
	s_delay_alu instid0(VALU_DEP_2) | instskip(NEXT) | instid1(VALU_DEP_2)
	v_and_b32_e32 v164, 3, v164
	v_cmp_eq_u32_e32 vcc_lo, 0, v167
	v_cndmask_b32_e32 v166, v167, v166, vcc_lo
	s_delay_alu instid0(VALU_DEP_3) | instskip(SKIP_1) | instid1(VALU_DEP_3)
	v_cndmask_b32_e32 v164, v165, v164, vcc_lo
	v_and_b32_e32 v165, 0x80000000, v176
	v_lshl_add_u32 v166, v166, 23, 0x37800000
	s_delay_alu instid0(VALU_DEP_3) | instskip(NEXT) | instid1(VALU_DEP_1)
	v_lshlrev_b32_e32 v164, 21, v164
	v_or3_b32 v165, v165, v166, v164
.LBB4_9153:                             ;   in Loop: Header=BB4_8848 Depth=3
	s_or_b32 exec_lo, exec_lo, s31
	s_delay_alu instid0(VALU_DEP_1) | instskip(NEXT) | instid1(VALU_DEP_1)
	v_add_f32_e32 v164, v160, v165
	v_and_b32_e32 v160, 0x7f800000, v164
	s_delay_alu instid0(VALU_DEP_1)
	v_cmp_ne_u32_e32 vcc_lo, 0x7f800000, v160
	v_mov_b32_e32 v160, 0x80
	s_and_saveexec_b32 s31, vcc_lo
	s_cbranch_execz .LBB4_9161
; %bb.9154:                             ;   in Loop: Header=BB4_8848 Depth=3
	v_mov_b32_e32 v160, 0
	s_mov_b32 s34, exec_lo
	v_cmpx_ne_u32_e32 0, v164
	s_cbranch_execz .LBB4_9160
; %bb.9155:                             ;   in Loop: Header=BB4_8848 Depth=3
	v_bfe_u32 v160, v164, 23, 8
	s_delay_alu instid0(VALU_DEP_1) | instskip(SKIP_1) | instid1(VALU_DEP_2)
	v_sub_nc_u32_e32 v166, 0x70, v160
	v_cmp_gt_u32_e32 vcc_lo, 0x71, v160
	v_dual_cndmask_b32 v166, 0, v166 :: v_dual_and_b32 v165, 0x7fffff, v164
	s_delay_alu instid0(VALU_DEP_1) | instskip(SKIP_2) | instid1(VALU_DEP_4)
	v_or_b32_e32 v167, 0x800000, v165
	v_cmp_eq_u32_e32 vcc_lo, 0, v160
	v_add_nc_u32_e32 v160, 0xffffff91, v160
	v_cndmask_b32_e64 v166, v166, 0x6f, vcc_lo
	s_delay_alu instid0(VALU_DEP_4) | instskip(NEXT) | instid1(VALU_DEP_3)
	v_cndmask_b32_e32 v165, v167, v165, vcc_lo
	v_cndmask_b32_e64 v160, v160, 0xffffff92, vcc_lo
	s_delay_alu instid0(VALU_DEP_3) | instskip(NEXT) | instid1(VALU_DEP_3)
	v_lshl_add_u32 v167, 0x200000, v166, -1
	v_lshrrev_b32_e32 v176, v166, v165
	v_lshlrev_b32_e64 v178, v166, 0x100000
	s_delay_alu instid0(VALU_DEP_4) | instskip(NEXT) | instid1(VALU_DEP_4)
	v_add_nc_u32_e32 v166, v166, v160
	v_and_b32_e32 v165, v167, v165
	s_delay_alu instid0(VALU_DEP_4) | instskip(NEXT) | instid1(VALU_DEP_2)
	v_bfe_u32 v177, v176, 21, 1
	v_cmp_eq_u32_e64 s14, v165, v178
	s_delay_alu instid0(VALU_DEP_2) | instskip(NEXT) | instid1(VALU_DEP_1)
	v_add_nc_u32_e32 v167, -1, v177
	v_cndmask_b32_e64 v165, 0, v167, s14
	v_lshrrev_b32_e32 v167, 23, v176
	s_mov_b32 s14, exec_lo
	s_delay_alu instid0(VALU_DEP_2) | instskip(NEXT) | instid1(VALU_DEP_2)
	v_add_nc_u32_e32 v165, v165, v176
	v_xor_b32_e32 v167, 1, v167
	s_delay_alu instid0(VALU_DEP_2) | instskip(NEXT) | instid1(VALU_DEP_1)
	v_and_b32_e32 v160, 0x1fffff, v165
	v_add_nc_u32_e32 v165, v160, v176
                                        ; implicit-def: $vgpr160
	s_delay_alu instid0(VALU_DEP_3)
	v_cmpx_ne_u32_e64 v166, v167
	s_xor_b32 s14, exec_lo, s14
; %bb.9156:                             ;   in Loop: Header=BB4_8848 Depth=3
	s_delay_alu instid0(VALU_DEP_2) | instskip(SKIP_2) | instid1(VALU_DEP_2)
	v_cmp_lt_u32_e32 vcc_lo, 0xffffff, v165
	v_sub_nc_u32_e32 v160, v166, v167
	v_cndmask_b32_e64 v166, 0, 1, vcc_lo
	v_add_co_ci_u32_e32 v160, vcc_lo, 0, v160, vcc_lo
	s_delay_alu instid0(VALU_DEP_2)
	v_lshrrev_b32_e32 v165, v166, v165
; %bb.9157:                             ;   in Loop: Header=BB4_8848 Depth=3
	s_and_not1_saveexec_b32 s14, s14
; %bb.9158:                             ;   in Loop: Header=BB4_8848 Depth=3
	s_delay_alu instid0(VALU_DEP_1)
	v_bfe_u32 v160, v165, 23, 1
; %bb.9159:                             ;   in Loop: Header=BB4_8848 Depth=3
	s_or_b32 exec_lo, exec_lo, s14
	v_lshrrev_b32_e32 v165, 21, v165
	s_delay_alu instid0(VALU_DEP_2) | instskip(SKIP_2) | instid1(VALU_DEP_2)
	v_cmp_gt_i32_e32 vcc_lo, 32, v160
	v_min_i32_e32 v166, 31, v160
	v_lshrrev_b32_e32 v164, 24, v164
	v_dual_cndmask_b32 v165, 3, v165 :: v_dual_lshlrev_b32 v166, 2, v166
	s_delay_alu instid0(VALU_DEP_2) | instskip(NEXT) | instid1(VALU_DEP_2)
	v_and_b32_e32 v164, 0x80, v164
	v_or_b32_e32 v160, v160, v165
	s_delay_alu instid0(VALU_DEP_3) | instskip(NEXT) | instid1(VALU_DEP_2)
	v_and_b32_e32 v166, 0xfc, v166
	v_cmp_ne_u32_e32 vcc_lo, 0, v160
	v_and_b32_e32 v167, 3, v165
	s_delay_alu instid0(VALU_DEP_1) | instskip(NEXT) | instid1(VALU_DEP_1)
	v_or3_b32 v164, v166, v164, v167
	v_cndmask_b32_e32 v160, 0, v164, vcc_lo
.LBB4_9160:                             ;   in Loop: Header=BB4_8848 Depth=3
	s_or_b32 exec_lo, exec_lo, s34
.LBB4_9161:                             ;   in Loop: Header=BB4_8848 Depth=3
	s_delay_alu instid0(SALU_CYCLE_1) | instskip(SKIP_3) | instid1(VALU_DEP_1)
	s_or_b32 exec_lo, exec_lo, s31
	v_lshrrev_b32_e32 v165, 24, v163
	s_mov_b32 s14, 0
	s_mov_b32 s34, exec_lo
                                        ; implicit-def: $sgpr31
	v_cmpx_lt_i16_e64 0x7f, v165
	s_xor_b32 s34, exec_lo, s34
	s_cbranch_execnz .LBB4_9423
; %bb.9162:                             ;   in Loop: Header=BB4_8848 Depth=3
	s_or_saveexec_b32 s34, s34
	v_mov_b32_e32 v164, s31
	s_xor_b32 exec_lo, exec_lo, s34
	s_cbranch_execnz .LBB4_9426
.LBB4_9163:                             ;   in Loop: Header=BB4_8848 Depth=3
	s_or_b32 exec_lo, exec_lo, s34
	s_and_saveexec_b32 s31, s14
	s_cbranch_execz .LBB4_9165
.LBB4_9164:                             ;   in Loop: Header=BB4_8848 Depth=3
	v_bfe_u32 v164, v163, 24, 2
	s_delay_alu instid0(VALU_DEP_1) | instskip(NEXT) | instid1(VALU_DEP_1)
	v_clz_i32_u32_e32 v166, v164
	v_min_u32_e32 v166, 32, v166
	s_delay_alu instid0(VALU_DEP_1) | instskip(SKIP_1) | instid1(VALU_DEP_2)
	v_subrev_nc_u32_e32 v167, 29, v166
	v_sub_nc_u32_e32 v166, 30, v166
	v_lshlrev_b32_e32 v165, v167, v165
	v_bfe_u32 v167, v163, 26, 5
	v_and_b32_e32 v163, 0x80000000, v163
	s_delay_alu instid0(VALU_DEP_2) | instskip(NEXT) | instid1(VALU_DEP_4)
	v_cmp_eq_u32_e32 vcc_lo, 0, v167
	v_dual_cndmask_b32 v166, v167, v166 :: v_dual_and_b32 v165, 3, v165
	s_delay_alu instid0(VALU_DEP_1) | instskip(NEXT) | instid1(VALU_DEP_2)
	v_cndmask_b32_e32 v164, v164, v165, vcc_lo
	v_lshl_add_u32 v165, v166, 23, 0x37800000
	s_delay_alu instid0(VALU_DEP_2) | instskip(NEXT) | instid1(VALU_DEP_1)
	v_lshlrev_b32_e32 v164, 21, v164
	v_or3_b32 v164, v163, v165, v164
.LBB4_9165:                             ;   in Loop: Header=BB4_8848 Depth=3
	s_or_b32 exec_lo, exec_lo, s31
	v_lshrrev_b32_e32 v163, 24, v9
	s_mov_b32 s14, 0
	s_mov_b32 s34, exec_lo
                                        ; implicit-def: $sgpr31
	s_delay_alu instid0(VALU_DEP_1)
	v_cmpx_lt_i16_e64 0x7f, v163
	s_xor_b32 s34, exec_lo, s34
	s_cbranch_execnz .LBB4_9427
; %bb.9166:                             ;   in Loop: Header=BB4_8848 Depth=3
	s_or_saveexec_b32 s34, s34
	v_mov_b32_e32 v165, s31
	s_xor_b32 exec_lo, exec_lo, s34
	s_cbranch_execnz .LBB4_9430
.LBB4_9167:                             ;   in Loop: Header=BB4_8848 Depth=3
	s_or_b32 exec_lo, exec_lo, s34
	s_and_saveexec_b32 s31, s14
	s_cbranch_execz .LBB4_9169
.LBB4_9168:                             ;   in Loop: Header=BB4_8848 Depth=3
	v_bfe_u32 v165, v9, 24, 2
	s_delay_alu instid0(VALU_DEP_1) | instskip(NEXT) | instid1(VALU_DEP_1)
	v_clz_i32_u32_e32 v166, v165
	v_min_u32_e32 v166, 32, v166
	s_delay_alu instid0(VALU_DEP_1) | instskip(SKIP_1) | instid1(VALU_DEP_2)
	v_subrev_nc_u32_e32 v167, 29, v166
	v_sub_nc_u32_e32 v166, 30, v166
	v_lshlrev_b32_e32 v163, v167, v163
	v_bfe_u32 v167, v9, 26, 5
	v_and_b32_e32 v9, 0x80000000, v9
	s_delay_alu instid0(VALU_DEP_2) | instskip(NEXT) | instid1(VALU_DEP_4)
	v_cmp_eq_u32_e32 vcc_lo, 0, v167
	v_dual_cndmask_b32 v166, v167, v166 :: v_dual_and_b32 v163, 3, v163
	s_delay_alu instid0(VALU_DEP_1) | instskip(NEXT) | instid1(VALU_DEP_2)
	v_cndmask_b32_e32 v163, v165, v163, vcc_lo
	v_lshl_add_u32 v165, v166, 23, 0x37800000
	s_delay_alu instid0(VALU_DEP_2) | instskip(NEXT) | instid1(VALU_DEP_1)
	v_lshlrev_b32_e32 v163, 21, v163
	v_or3_b32 v165, v9, v165, v163
.LBB4_9169:                             ;   in Loop: Header=BB4_8848 Depth=3
	s_or_b32 exec_lo, exec_lo, s31
	s_delay_alu instid0(VALU_DEP_1) | instskip(NEXT) | instid1(VALU_DEP_1)
	v_add_f32_e32 v163, v164, v165
	v_and_b32_e32 v9, 0x7f800000, v163
	s_delay_alu instid0(VALU_DEP_1)
	v_cmp_ne_u32_e32 vcc_lo, 0x7f800000, v9
	v_mov_b32_e32 v9, 0x8000
	s_and_saveexec_b32 s31, vcc_lo
	s_cbranch_execz .LBB4_9177
; %bb.9170:                             ;   in Loop: Header=BB4_8848 Depth=3
	v_mov_b32_e32 v9, 0
	s_mov_b32 s34, exec_lo
	v_cmpx_ne_u32_e32 0, v163
	s_cbranch_execz .LBB4_9176
; %bb.9171:                             ;   in Loop: Header=BB4_8848 Depth=3
	v_bfe_u32 v9, v163, 23, 8
	s_delay_alu instid0(VALU_DEP_1) | instskip(SKIP_1) | instid1(VALU_DEP_2)
	v_sub_nc_u32_e32 v165, 0x70, v9
	v_cmp_gt_u32_e32 vcc_lo, 0x71, v9
	v_dual_cndmask_b32 v165, 0, v165 :: v_dual_and_b32 v164, 0x7fffff, v163
	s_delay_alu instid0(VALU_DEP_1) | instskip(SKIP_2) | instid1(VALU_DEP_4)
	v_or_b32_e32 v166, 0x800000, v164
	v_cmp_eq_u32_e32 vcc_lo, 0, v9
	v_add_nc_u32_e32 v9, 0xffffff91, v9
	v_cndmask_b32_e64 v165, v165, 0x6f, vcc_lo
	s_delay_alu instid0(VALU_DEP_4) | instskip(NEXT) | instid1(VALU_DEP_3)
	v_cndmask_b32_e32 v164, v166, v164, vcc_lo
	v_cndmask_b32_e64 v9, v9, 0xffffff92, vcc_lo
	s_delay_alu instid0(VALU_DEP_3) | instskip(NEXT) | instid1(VALU_DEP_3)
	v_lshl_add_u32 v166, 0x200000, v165, -1
	v_lshrrev_b32_e32 v167, v165, v164
	v_lshlrev_b32_e64 v177, v165, 0x100000
	s_delay_alu instid0(VALU_DEP_4) | instskip(NEXT) | instid1(VALU_DEP_4)
	v_add_nc_u32_e32 v165, v165, v9
	v_and_b32_e32 v164, v166, v164
	s_delay_alu instid0(VALU_DEP_4) | instskip(NEXT) | instid1(VALU_DEP_2)
	v_bfe_u32 v176, v167, 21, 1
	v_cmp_eq_u32_e64 s14, v164, v177
	s_delay_alu instid0(VALU_DEP_2) | instskip(NEXT) | instid1(VALU_DEP_1)
	v_add_nc_u32_e32 v166, -1, v176
	v_cndmask_b32_e64 v164, 0, v166, s14
	v_lshrrev_b32_e32 v166, 23, v167
	s_mov_b32 s14, exec_lo
	s_delay_alu instid0(VALU_DEP_2) | instskip(NEXT) | instid1(VALU_DEP_2)
	v_add_nc_u32_e32 v164, v164, v167
	v_xor_b32_e32 v166, 1, v166
	s_delay_alu instid0(VALU_DEP_2) | instskip(NEXT) | instid1(VALU_DEP_1)
	v_and_b32_e32 v9, 0x1fffff, v164
	v_add_nc_u32_e32 v164, v9, v167
                                        ; implicit-def: $vgpr9
	s_delay_alu instid0(VALU_DEP_3)
	v_cmpx_ne_u32_e64 v165, v166
	s_xor_b32 s14, exec_lo, s14
; %bb.9172:                             ;   in Loop: Header=BB4_8848 Depth=3
	s_delay_alu instid0(VALU_DEP_2) | instskip(SKIP_2) | instid1(VALU_DEP_2)
	v_cmp_lt_u32_e32 vcc_lo, 0xffffff, v164
	v_sub_nc_u32_e32 v9, v165, v166
	v_cndmask_b32_e64 v165, 0, 1, vcc_lo
	v_add_co_ci_u32_e32 v9, vcc_lo, 0, v9, vcc_lo
	s_delay_alu instid0(VALU_DEP_2)
	v_lshrrev_b32_e32 v164, v165, v164
; %bb.9173:                             ;   in Loop: Header=BB4_8848 Depth=3
	s_and_not1_saveexec_b32 s14, s14
; %bb.9174:                             ;   in Loop: Header=BB4_8848 Depth=3
	s_delay_alu instid0(VALU_DEP_1)
	v_bfe_u32 v9, v164, 23, 1
; %bb.9175:                             ;   in Loop: Header=BB4_8848 Depth=3
	s_or_b32 exec_lo, exec_lo, s14
	v_lshrrev_b32_e32 v164, 21, v164
	s_delay_alu instid0(VALU_DEP_2) | instskip(SKIP_2) | instid1(VALU_DEP_2)
	v_cmp_gt_i32_e32 vcc_lo, 32, v9
	v_min_i32_e32 v165, 31, v9
	v_lshrrev_b32_e32 v163, 24, v163
	v_dual_cndmask_b32 v164, 3, v164 :: v_dual_lshlrev_b32 v165, 2, v165
	s_delay_alu instid0(VALU_DEP_2) | instskip(NEXT) | instid1(VALU_DEP_2)
	v_and_b32_e32 v163, 0x80, v163
	v_or_b32_e32 v9, v9, v164
	s_delay_alu instid0(VALU_DEP_3) | instskip(NEXT) | instid1(VALU_DEP_2)
	v_and_b32_e32 v165, 0xfc, v165
	v_cmp_ne_u32_e32 vcc_lo, 0, v9
	v_and_b32_e32 v166, 3, v164
	s_delay_alu instid0(VALU_DEP_1) | instskip(NEXT) | instid1(VALU_DEP_1)
	v_or3_b32 v163, v163, v165, v166
	v_lshlrev_b32_e32 v163, 8, v163
	s_delay_alu instid0(VALU_DEP_1)
	v_cndmask_b32_e32 v9, 0, v163, vcc_lo
.LBB4_9176:                             ;   in Loop: Header=BB4_8848 Depth=3
	s_or_b32 exec_lo, exec_lo, s34
.LBB4_9177:                             ;   in Loop: Header=BB4_8848 Depth=3
	s_delay_alu instid0(SALU_CYCLE_1) | instskip(SKIP_3) | instid1(VALU_DEP_1)
	s_or_b32 exec_lo, exec_lo, s31
	v_and_b32_e32 v164, 0xff, v150
	s_mov_b32 s14, 0
	s_mov_b32 s34, exec_lo
                                        ; implicit-def: $sgpr31
	v_cmpx_lt_i16_e64 0x7f, v164
	s_xor_b32 s34, exec_lo, s34
	s_cbranch_execnz .LBB4_9431
; %bb.9178:                             ;   in Loop: Header=BB4_8848 Depth=3
	s_or_saveexec_b32 s34, s34
	v_mov_b32_e32 v163, s31
	s_xor_b32 exec_lo, exec_lo, s34
	s_cbranch_execnz .LBB4_9434
.LBB4_9179:                             ;   in Loop: Header=BB4_8848 Depth=3
	s_or_b32 exec_lo, exec_lo, s34
	s_and_saveexec_b32 s31, s14
	s_cbranch_execz .LBB4_9181
.LBB4_9180:                             ;   in Loop: Header=BB4_8848 Depth=3
	v_bfe_u32 v166, v150, 2, 5
	s_delay_alu instid0(VALU_DEP_1) | instskip(SKIP_1) | instid1(VALU_DEP_1)
	v_cmp_eq_u32_e32 vcc_lo, 0, v166
	v_and_b32_e32 v163, 3, v150
	v_clz_i32_u32_e32 v164, v163
	s_delay_alu instid0(VALU_DEP_1) | instskip(NEXT) | instid1(VALU_DEP_1)
	v_min_u32_e32 v164, 32, v164
	v_subrev_nc_u32_e32 v165, 29, v164
	v_sub_nc_u32_e32 v164, 30, v164
	s_delay_alu instid0(VALU_DEP_1) | instskip(NEXT) | instid1(VALU_DEP_1)
	v_dual_cndmask_b32 v164, v166, v164 :: v_dual_lshlrev_b32 v165, v165, v150
	v_and_b32_e32 v165, 3, v165
	v_lshlrev_b32_e32 v150, 24, v150
	s_delay_alu instid0(VALU_DEP_3) | instskip(NEXT) | instid1(VALU_DEP_2)
	v_lshl_add_u32 v164, v164, 23, 0x37800000
	v_dual_cndmask_b32 v163, v163, v165 :: v_dual_and_b32 v150, 0x80000000, v150
	s_delay_alu instid0(VALU_DEP_1) | instskip(NEXT) | instid1(VALU_DEP_1)
	v_lshlrev_b32_e32 v163, 21, v163
	v_or3_b32 v163, v150, v164, v163
.LBB4_9181:                             ;   in Loop: Header=BB4_8848 Depth=3
	s_or_b32 exec_lo, exec_lo, s31
	v_and_b32_e32 v164, 0xff, v10
	s_mov_b32 s14, 0
	s_mov_b32 s34, exec_lo
                                        ; implicit-def: $sgpr31
	s_delay_alu instid0(VALU_DEP_1)
	v_cmpx_lt_i16_e64 0x7f, v164
	s_xor_b32 s34, exec_lo, s34
	s_cbranch_execnz .LBB4_9435
; %bb.9182:                             ;   in Loop: Header=BB4_8848 Depth=3
	s_or_saveexec_b32 s34, s34
	v_mov_b32_e32 v150, s31
	s_xor_b32 exec_lo, exec_lo, s34
	s_cbranch_execnz .LBB4_9438
.LBB4_9183:                             ;   in Loop: Header=BB4_8848 Depth=3
	s_or_b32 exec_lo, exec_lo, s34
	s_and_saveexec_b32 s31, s14
	s_cbranch_execz .LBB4_9185
.LBB4_9184:                             ;   in Loop: Header=BB4_8848 Depth=3
	v_and_b32_e32 v150, 3, v10
	v_bfe_u32 v166, v10, 2, 5
	s_delay_alu instid0(VALU_DEP_2) | instskip(NEXT) | instid1(VALU_DEP_2)
	v_clz_i32_u32_e32 v164, v150
	v_cmp_eq_u32_e32 vcc_lo, 0, v166
	s_delay_alu instid0(VALU_DEP_2) | instskip(NEXT) | instid1(VALU_DEP_1)
	v_min_u32_e32 v164, 32, v164
	v_subrev_nc_u32_e32 v165, 29, v164
	v_sub_nc_u32_e32 v164, 30, v164
	s_delay_alu instid0(VALU_DEP_1) | instskip(NEXT) | instid1(VALU_DEP_1)
	v_dual_cndmask_b32 v164, v166, v164 :: v_dual_lshlrev_b32 v165, v165, v10
	v_and_b32_e32 v165, 3, v165
	v_lshlrev_b32_e32 v167, 24, v10
	s_delay_alu instid0(VALU_DEP_3) | instskip(NEXT) | instid1(VALU_DEP_2)
	v_lshl_add_u32 v164, v164, 23, 0x37800000
	v_dual_cndmask_b32 v150, v150, v165 :: v_dual_and_b32 v165, 0x80000000, v167
	s_delay_alu instid0(VALU_DEP_1) | instskip(NEXT) | instid1(VALU_DEP_1)
	v_lshlrev_b32_e32 v150, 21, v150
	v_or3_b32 v150, v165, v164, v150
.LBB4_9185:                             ;   in Loop: Header=BB4_8848 Depth=3
	s_or_b32 exec_lo, exec_lo, s31
	s_delay_alu instid0(VALU_DEP_1) | instskip(NEXT) | instid1(VALU_DEP_1)
	v_add_f32_e32 v163, v163, v150
	v_and_b32_e32 v150, 0x7f800000, v163
	s_delay_alu instid0(VALU_DEP_1)
	v_cmp_ne_u32_e32 vcc_lo, 0x7f800000, v150
	v_mov_b32_e32 v150, 0x80
	s_and_saveexec_b32 s31, vcc_lo
	s_cbranch_execz .LBB4_9193
; %bb.9186:                             ;   in Loop: Header=BB4_8848 Depth=3
	v_mov_b32_e32 v150, 0
	s_mov_b32 s34, exec_lo
	v_cmpx_ne_u32_e32 0, v163
	s_cbranch_execz .LBB4_9192
; %bb.9187:                             ;   in Loop: Header=BB4_8848 Depth=3
	v_bfe_u32 v150, v163, 23, 8
	s_delay_alu instid0(VALU_DEP_1) | instskip(SKIP_1) | instid1(VALU_DEP_2)
	v_sub_nc_u32_e32 v165, 0x70, v150
	v_cmp_gt_u32_e32 vcc_lo, 0x71, v150
	v_dual_cndmask_b32 v165, 0, v165 :: v_dual_and_b32 v164, 0x7fffff, v163
	s_delay_alu instid0(VALU_DEP_1) | instskip(SKIP_2) | instid1(VALU_DEP_4)
	v_or_b32_e32 v166, 0x800000, v164
	v_cmp_eq_u32_e32 vcc_lo, 0, v150
	v_add_nc_u32_e32 v150, 0xffffff91, v150
	v_cndmask_b32_e64 v165, v165, 0x6f, vcc_lo
	s_delay_alu instid0(VALU_DEP_2) | instskip(SKIP_1) | instid1(VALU_DEP_3)
	v_cndmask_b32_e64 v150, v150, 0xffffff92, vcc_lo
	v_cndmask_b32_e32 v164, v166, v164, vcc_lo
	v_lshl_add_u32 v166, 0x200000, v165, -1
	v_lshlrev_b32_e64 v177, v165, 0x100000
	s_delay_alu instid0(VALU_DEP_3) | instskip(SKIP_1) | instid1(VALU_DEP_4)
	v_lshrrev_b32_e32 v167, v165, v164
	v_add_nc_u32_e32 v165, v165, v150
	v_and_b32_e32 v164, v166, v164
	s_delay_alu instid0(VALU_DEP_3) | instskip(NEXT) | instid1(VALU_DEP_2)
	v_bfe_u32 v176, v167, 21, 1
	v_cmp_eq_u32_e64 s14, v164, v177
	s_delay_alu instid0(VALU_DEP_2) | instskip(NEXT) | instid1(VALU_DEP_1)
	v_add_nc_u32_e32 v166, -1, v176
	v_cndmask_b32_e64 v164, 0, v166, s14
	v_lshrrev_b32_e32 v166, 23, v167
	s_mov_b32 s14, exec_lo
	s_delay_alu instid0(VALU_DEP_2) | instskip(NEXT) | instid1(VALU_DEP_2)
	v_add_nc_u32_e32 v164, v164, v167
	v_xor_b32_e32 v166, 1, v166
	s_delay_alu instid0(VALU_DEP_2) | instskip(NEXT) | instid1(VALU_DEP_1)
	v_and_b32_e32 v150, 0x1fffff, v164
	v_add_nc_u32_e32 v164, v150, v167
                                        ; implicit-def: $vgpr150
	s_delay_alu instid0(VALU_DEP_3)
	v_cmpx_ne_u32_e64 v165, v166
	s_xor_b32 s14, exec_lo, s14
; %bb.9188:                             ;   in Loop: Header=BB4_8848 Depth=3
	s_delay_alu instid0(VALU_DEP_2) | instskip(SKIP_2) | instid1(VALU_DEP_2)
	v_cmp_lt_u32_e32 vcc_lo, 0xffffff, v164
	v_sub_nc_u32_e32 v150, v165, v166
	v_cndmask_b32_e64 v165, 0, 1, vcc_lo
	v_add_co_ci_u32_e32 v150, vcc_lo, 0, v150, vcc_lo
	s_delay_alu instid0(VALU_DEP_2)
	v_lshrrev_b32_e32 v164, v165, v164
; %bb.9189:                             ;   in Loop: Header=BB4_8848 Depth=3
	s_and_not1_saveexec_b32 s14, s14
; %bb.9190:                             ;   in Loop: Header=BB4_8848 Depth=3
	s_delay_alu instid0(VALU_DEP_1)
	v_bfe_u32 v150, v164, 23, 1
; %bb.9191:                             ;   in Loop: Header=BB4_8848 Depth=3
	s_or_b32 exec_lo, exec_lo, s14
	v_lshrrev_b32_e32 v164, 21, v164
	s_delay_alu instid0(VALU_DEP_2) | instskip(SKIP_2) | instid1(VALU_DEP_2)
	v_cmp_gt_i32_e32 vcc_lo, 32, v150
	v_lshrrev_b32_e32 v163, 24, v163
	v_min_i32_e32 v165, 31, v150
	v_dual_cndmask_b32 v164, 3, v164 :: v_dual_and_b32 v163, 0x80, v163
	s_delay_alu instid0(VALU_DEP_1) | instskip(SKIP_1) | instid1(VALU_DEP_2)
	v_or_b32_e32 v150, v150, v164
	v_and_b32_e32 v166, 3, v164
	v_cmp_ne_u32_e32 vcc_lo, 0, v150
	v_lshlrev_b32_e32 v165, 2, v165
	s_delay_alu instid0(VALU_DEP_1) | instskip(NEXT) | instid1(VALU_DEP_1)
	v_or3_b32 v163, v165, v163, v166
	v_cndmask_b32_e32 v150, 0, v163, vcc_lo
.LBB4_9192:                             ;   in Loop: Header=BB4_8848 Depth=3
	s_or_b32 exec_lo, exec_lo, s34
.LBB4_9193:                             ;   in Loop: Header=BB4_8848 Depth=3
	s_delay_alu instid0(SALU_CYCLE_1) | instskip(SKIP_3) | instid1(VALU_DEP_1)
	s_or_b32 exec_lo, exec_lo, s31
	v_and_b32_e32 v164, 0xff, v148
	s_mov_b32 s14, 0
	s_mov_b32 s34, exec_lo
                                        ; implicit-def: $sgpr31
	v_cmpx_lt_i16_e64 0x7f, v164
	s_xor_b32 s34, exec_lo, s34
	s_cbranch_execnz .LBB4_9439
; %bb.9194:                             ;   in Loop: Header=BB4_8848 Depth=3
	s_or_saveexec_b32 s34, s34
	v_mov_b32_e32 v163, s31
	s_xor_b32 exec_lo, exec_lo, s34
	s_cbranch_execnz .LBB4_9442
.LBB4_9195:                             ;   in Loop: Header=BB4_8848 Depth=3
	s_or_b32 exec_lo, exec_lo, s34
	s_and_saveexec_b32 s31, s14
	s_cbranch_execz .LBB4_9197
.LBB4_9196:                             ;   in Loop: Header=BB4_8848 Depth=3
	v_and_b32_e32 v163, 3, v148
	v_bfe_u32 v166, v148, 2, 5
	s_delay_alu instid0(VALU_DEP_2) | instskip(NEXT) | instid1(VALU_DEP_2)
	v_clz_i32_u32_e32 v164, v163
	v_cmp_eq_u32_e32 vcc_lo, 0, v166
	s_delay_alu instid0(VALU_DEP_2) | instskip(NEXT) | instid1(VALU_DEP_1)
	v_min_u32_e32 v164, 32, v164
	v_subrev_nc_u32_e32 v165, 29, v164
	v_sub_nc_u32_e32 v164, 30, v164
	s_delay_alu instid0(VALU_DEP_2) | instskip(NEXT) | instid1(VALU_DEP_1)
	v_lshlrev_b32_e32 v165, v165, v148
	v_dual_cndmask_b32 v164, v166, v164 :: v_dual_and_b32 v165, 3, v165
	v_lshlrev_b32_e32 v148, 24, v148
	s_delay_alu instid0(VALU_DEP_2) | instskip(NEXT) | instid1(VALU_DEP_2)
	v_lshl_add_u32 v164, v164, 23, 0x37800000
	v_dual_cndmask_b32 v163, v163, v165 :: v_dual_and_b32 v148, 0x80000000, v148
	s_delay_alu instid0(VALU_DEP_1) | instskip(NEXT) | instid1(VALU_DEP_1)
	v_lshlrev_b32_e32 v163, 21, v163
	v_or3_b32 v163, v148, v164, v163
.LBB4_9197:                             ;   in Loop: Header=BB4_8848 Depth=3
	s_or_b32 exec_lo, exec_lo, s31
	v_lshrrev_b16 v148, 8, v10
	s_mov_b32 s14, 0
	s_mov_b32 s34, exec_lo
                                        ; implicit-def: $sgpr31
	s_delay_alu instid0(VALU_DEP_1)
	v_cmpx_lt_i16_e64 0x7f, v148
	s_xor_b32 s34, exec_lo, s34
	s_cbranch_execnz .LBB4_9443
; %bb.9198:                             ;   in Loop: Header=BB4_8848 Depth=3
	s_or_saveexec_b32 s34, s34
	v_mov_b32_e32 v164, s31
	s_xor_b32 exec_lo, exec_lo, s34
	s_cbranch_execnz .LBB4_9446
.LBB4_9199:                             ;   in Loop: Header=BB4_8848 Depth=3
	s_or_b32 exec_lo, exec_lo, s34
	s_and_saveexec_b32 s31, s14
	s_cbranch_execz .LBB4_9201
.LBB4_9200:                             ;   in Loop: Header=BB4_8848 Depth=3
	v_and_b32_e32 v164, 0xffff, v148
	v_lshlrev_b32_e32 v148, 24, v148
	s_delay_alu instid0(VALU_DEP_2) | instskip(NEXT) | instid1(VALU_DEP_2)
	v_and_b32_e32 v165, 3, v164
	v_and_b32_e32 v148, 0x80000000, v148
	s_delay_alu instid0(VALU_DEP_2) | instskip(NEXT) | instid1(VALU_DEP_1)
	v_clz_i32_u32_e32 v166, v165
	v_min_u32_e32 v166, 32, v166
	s_delay_alu instid0(VALU_DEP_1) | instskip(SKIP_1) | instid1(VALU_DEP_2)
	v_subrev_nc_u32_e32 v167, 29, v166
	v_sub_nc_u32_e32 v166, 30, v166
	v_lshlrev_b32_e32 v167, v167, v164
	v_bfe_u32 v164, v164, 2, 5
	s_delay_alu instid0(VALU_DEP_2) | instskip(NEXT) | instid1(VALU_DEP_2)
	v_and_b32_e32 v167, 3, v167
	v_cmp_eq_u32_e32 vcc_lo, 0, v164
	s_delay_alu instid0(VALU_DEP_2) | instskip(NEXT) | instid1(VALU_DEP_1)
	v_dual_cndmask_b32 v164, v164, v166 :: v_dual_cndmask_b32 v165, v165, v167
	v_lshl_add_u32 v164, v164, 23, 0x37800000
	s_delay_alu instid0(VALU_DEP_2) | instskip(NEXT) | instid1(VALU_DEP_1)
	v_lshlrev_b32_e32 v165, 21, v165
	v_or3_b32 v164, v148, v164, v165
.LBB4_9201:                             ;   in Loop: Header=BB4_8848 Depth=3
	s_or_b32 exec_lo, exec_lo, s31
	s_delay_alu instid0(VALU_DEP_1) | instskip(NEXT) | instid1(VALU_DEP_1)
	v_add_f32_e32 v163, v163, v164
	v_and_b32_e32 v148, 0x7f800000, v163
	s_delay_alu instid0(VALU_DEP_1)
	v_cmp_ne_u32_e32 vcc_lo, 0x7f800000, v148
	v_mov_b32_e32 v148, 0x80
	s_and_saveexec_b32 s31, vcc_lo
	s_cbranch_execz .LBB4_9209
; %bb.9202:                             ;   in Loop: Header=BB4_8848 Depth=3
	v_mov_b32_e32 v148, 0
	s_mov_b32 s34, exec_lo
	v_cmpx_ne_u32_e32 0, v163
	s_cbranch_execz .LBB4_9208
; %bb.9203:                             ;   in Loop: Header=BB4_8848 Depth=3
	v_bfe_u32 v148, v163, 23, 8
	s_delay_alu instid0(VALU_DEP_1) | instskip(SKIP_1) | instid1(VALU_DEP_2)
	v_sub_nc_u32_e32 v165, 0x70, v148
	v_cmp_gt_u32_e32 vcc_lo, 0x71, v148
	v_dual_cndmask_b32 v165, 0, v165 :: v_dual_and_b32 v164, 0x7fffff, v163
	s_delay_alu instid0(VALU_DEP_1) | instskip(SKIP_2) | instid1(VALU_DEP_4)
	v_or_b32_e32 v166, 0x800000, v164
	v_cmp_eq_u32_e32 vcc_lo, 0, v148
	v_add_nc_u32_e32 v148, 0xffffff91, v148
	v_cndmask_b32_e64 v165, v165, 0x6f, vcc_lo
	s_delay_alu instid0(VALU_DEP_4) | instskip(NEXT) | instid1(VALU_DEP_3)
	v_cndmask_b32_e32 v164, v166, v164, vcc_lo
	v_cndmask_b32_e64 v148, v148, 0xffffff92, vcc_lo
	s_delay_alu instid0(VALU_DEP_3) | instskip(NEXT) | instid1(VALU_DEP_3)
	v_lshl_add_u32 v166, 0x200000, v165, -1
	v_lshrrev_b32_e32 v167, v165, v164
	v_lshlrev_b32_e64 v177, v165, 0x100000
	s_delay_alu instid0(VALU_DEP_4) | instskip(NEXT) | instid1(VALU_DEP_4)
	v_add_nc_u32_e32 v165, v165, v148
	v_and_b32_e32 v164, v166, v164
	s_delay_alu instid0(VALU_DEP_4) | instskip(NEXT) | instid1(VALU_DEP_2)
	v_bfe_u32 v176, v167, 21, 1
	v_cmp_eq_u32_e64 s14, v164, v177
	s_delay_alu instid0(VALU_DEP_2) | instskip(NEXT) | instid1(VALU_DEP_1)
	v_add_nc_u32_e32 v166, -1, v176
	v_cndmask_b32_e64 v164, 0, v166, s14
	v_lshrrev_b32_e32 v166, 23, v167
	s_mov_b32 s14, exec_lo
	s_delay_alu instid0(VALU_DEP_2) | instskip(NEXT) | instid1(VALU_DEP_2)
	v_add_nc_u32_e32 v164, v164, v167
	v_xor_b32_e32 v166, 1, v166
	s_delay_alu instid0(VALU_DEP_2) | instskip(NEXT) | instid1(VALU_DEP_1)
	v_and_b32_e32 v148, 0x1fffff, v164
	v_add_nc_u32_e32 v164, v148, v167
                                        ; implicit-def: $vgpr148
	s_delay_alu instid0(VALU_DEP_3)
	v_cmpx_ne_u32_e64 v165, v166
	s_xor_b32 s14, exec_lo, s14
; %bb.9204:                             ;   in Loop: Header=BB4_8848 Depth=3
	s_delay_alu instid0(VALU_DEP_2) | instskip(SKIP_2) | instid1(VALU_DEP_2)
	v_cmp_lt_u32_e32 vcc_lo, 0xffffff, v164
	v_sub_nc_u32_e32 v148, v165, v166
	v_cndmask_b32_e64 v165, 0, 1, vcc_lo
	v_add_co_ci_u32_e32 v148, vcc_lo, 0, v148, vcc_lo
	s_delay_alu instid0(VALU_DEP_2)
	v_lshrrev_b32_e32 v164, v165, v164
; %bb.9205:                             ;   in Loop: Header=BB4_8848 Depth=3
	s_and_not1_saveexec_b32 s14, s14
; %bb.9206:                             ;   in Loop: Header=BB4_8848 Depth=3
	s_delay_alu instid0(VALU_DEP_1)
	v_bfe_u32 v148, v164, 23, 1
; %bb.9207:                             ;   in Loop: Header=BB4_8848 Depth=3
	s_or_b32 exec_lo, exec_lo, s14
	v_lshrrev_b32_e32 v164, 21, v164
	s_delay_alu instid0(VALU_DEP_2) | instskip(SKIP_2) | instid1(VALU_DEP_2)
	v_cmp_gt_i32_e32 vcc_lo, 32, v148
	v_lshrrev_b32_e32 v163, 24, v163
	v_min_i32_e32 v165, 31, v148
	v_dual_cndmask_b32 v164, 3, v164 :: v_dual_and_b32 v163, 0x80, v163
	s_delay_alu instid0(VALU_DEP_1) | instskip(SKIP_1) | instid1(VALU_DEP_2)
	v_or_b32_e32 v148, v148, v164
	v_and_b32_e32 v166, 3, v164
	v_cmp_ne_u32_e32 vcc_lo, 0, v148
	v_lshlrev_b32_e32 v165, 2, v165
	s_delay_alu instid0(VALU_DEP_1) | instskip(NEXT) | instid1(VALU_DEP_1)
	v_or3_b32 v163, v165, v163, v166
	v_cndmask_b32_e32 v148, 0, v163, vcc_lo
.LBB4_9208:                             ;   in Loop: Header=BB4_8848 Depth=3
	s_or_b32 exec_lo, exec_lo, s34
.LBB4_9209:                             ;   in Loop: Header=BB4_8848 Depth=3
	s_delay_alu instid0(SALU_CYCLE_1) | instskip(SKIP_3) | instid1(VALU_DEP_1)
	s_or_b32 exec_lo, exec_lo, s31
	v_and_b32_e32 v164, 0xff, v147
	s_mov_b32 s14, 0
	s_mov_b32 s34, exec_lo
                                        ; implicit-def: $sgpr31
	v_cmpx_lt_i16_e64 0x7f, v164
	s_xor_b32 s34, exec_lo, s34
	s_cbranch_execnz .LBB4_9447
; %bb.9210:                             ;   in Loop: Header=BB4_8848 Depth=3
	s_or_saveexec_b32 s34, s34
	v_mov_b32_e32 v163, s31
	s_xor_b32 exec_lo, exec_lo, s34
	s_cbranch_execnz .LBB4_9450
.LBB4_9211:                             ;   in Loop: Header=BB4_8848 Depth=3
	s_or_b32 exec_lo, exec_lo, s34
	s_and_saveexec_b32 s31, s14
	s_cbranch_execz .LBB4_9213
.LBB4_9212:                             ;   in Loop: Header=BB4_8848 Depth=3
	v_bfe_u32 v166, v147, 2, 5
	s_delay_alu instid0(VALU_DEP_1) | instskip(SKIP_1) | instid1(VALU_DEP_1)
	v_cmp_eq_u32_e32 vcc_lo, 0, v166
	v_and_b32_e32 v163, 3, v147
	v_clz_i32_u32_e32 v164, v163
	s_delay_alu instid0(VALU_DEP_1) | instskip(NEXT) | instid1(VALU_DEP_1)
	v_min_u32_e32 v164, 32, v164
	v_subrev_nc_u32_e32 v165, 29, v164
	v_sub_nc_u32_e32 v164, 30, v164
	s_delay_alu instid0(VALU_DEP_1) | instskip(SKIP_1) | instid1(VALU_DEP_2)
	v_dual_cndmask_b32 v164, v166, v164 :: v_dual_lshlrev_b32 v165, v165, v147
	v_lshlrev_b32_e32 v147, 24, v147
	v_and_b32_e32 v165, 3, v165
	s_delay_alu instid0(VALU_DEP_3) | instskip(NEXT) | instid1(VALU_DEP_3)
	v_lshl_add_u32 v164, v164, 23, 0x37800000
	v_and_b32_e32 v147, 0x80000000, v147
	s_delay_alu instid0(VALU_DEP_3) | instskip(NEXT) | instid1(VALU_DEP_1)
	v_cndmask_b32_e32 v163, v163, v165, vcc_lo
	v_lshlrev_b32_e32 v163, 21, v163
	s_delay_alu instid0(VALU_DEP_1)
	v_or3_b32 v163, v147, v164, v163
.LBB4_9213:                             ;   in Loop: Header=BB4_8848 Depth=3
	s_or_b32 exec_lo, exec_lo, s31
	v_lshrrev_b32_e32 v147, 16, v10
	s_mov_b32 s14, 0
	s_mov_b32 s34, exec_lo
                                        ; implicit-def: $sgpr31
	s_delay_alu instid0(VALU_DEP_1) | instskip(NEXT) | instid1(VALU_DEP_1)
	v_and_b32_e32 v165, 0xff, v147
	v_cmpx_lt_i16_e64 0x7f, v165
	s_xor_b32 s34, exec_lo, s34
	s_cbranch_execnz .LBB4_9451
; %bb.9214:                             ;   in Loop: Header=BB4_8848 Depth=3
	s_or_saveexec_b32 s34, s34
	v_mov_b32_e32 v164, s31
	s_xor_b32 exec_lo, exec_lo, s34
	s_cbranch_execnz .LBB4_9454
.LBB4_9215:                             ;   in Loop: Header=BB4_8848 Depth=3
	s_or_b32 exec_lo, exec_lo, s34
	s_and_saveexec_b32 s31, s14
	s_cbranch_execz .LBB4_9217
.LBB4_9216:                             ;   in Loop: Header=BB4_8848 Depth=3
	v_bfe_u32 v164, v10, 16, 2
	v_lshlrev_b32_e32 v167, 8, v10
	s_delay_alu instid0(VALU_DEP_2) | instskip(NEXT) | instid1(VALU_DEP_1)
	v_clz_i32_u32_e32 v165, v164
	v_min_u32_e32 v165, 32, v165
	s_delay_alu instid0(VALU_DEP_1) | instskip(SKIP_1) | instid1(VALU_DEP_2)
	v_subrev_nc_u32_e32 v166, 29, v165
	v_sub_nc_u32_e32 v165, 30, v165
	v_lshlrev_b32_e32 v147, v166, v147
	v_bfe_u32 v166, v10, 18, 5
	s_delay_alu instid0(VALU_DEP_2) | instskip(NEXT) | instid1(VALU_DEP_2)
	v_and_b32_e32 v147, 3, v147
	v_cmp_eq_u32_e32 vcc_lo, 0, v166
	v_cndmask_b32_e32 v165, v166, v165, vcc_lo
	s_delay_alu instid0(VALU_DEP_3) | instskip(SKIP_1) | instid1(VALU_DEP_3)
	v_cndmask_b32_e32 v147, v164, v147, vcc_lo
	v_and_b32_e32 v164, 0x80000000, v167
	v_lshl_add_u32 v165, v165, 23, 0x37800000
	s_delay_alu instid0(VALU_DEP_3) | instskip(NEXT) | instid1(VALU_DEP_1)
	v_lshlrev_b32_e32 v147, 21, v147
	v_or3_b32 v164, v164, v165, v147
.LBB4_9217:                             ;   in Loop: Header=BB4_8848 Depth=3
	s_or_b32 exec_lo, exec_lo, s31
	s_delay_alu instid0(VALU_DEP_1) | instskip(NEXT) | instid1(VALU_DEP_1)
	v_add_f32_e32 v163, v163, v164
	v_and_b32_e32 v147, 0x7f800000, v163
	s_delay_alu instid0(VALU_DEP_1)
	v_cmp_ne_u32_e32 vcc_lo, 0x7f800000, v147
	v_mov_b32_e32 v147, 0x80
	s_and_saveexec_b32 s31, vcc_lo
	s_cbranch_execz .LBB4_9225
; %bb.9218:                             ;   in Loop: Header=BB4_8848 Depth=3
	v_mov_b32_e32 v147, 0
	s_mov_b32 s34, exec_lo
	v_cmpx_ne_u32_e32 0, v163
	s_cbranch_execz .LBB4_9224
; %bb.9219:                             ;   in Loop: Header=BB4_8848 Depth=3
	v_bfe_u32 v147, v163, 23, 8
	s_delay_alu instid0(VALU_DEP_1) | instskip(SKIP_1) | instid1(VALU_DEP_2)
	v_sub_nc_u32_e32 v165, 0x70, v147
	v_cmp_gt_u32_e32 vcc_lo, 0x71, v147
	v_dual_cndmask_b32 v165, 0, v165 :: v_dual_and_b32 v164, 0x7fffff, v163
	s_delay_alu instid0(VALU_DEP_1) | instskip(SKIP_2) | instid1(VALU_DEP_4)
	v_or_b32_e32 v166, 0x800000, v164
	v_cmp_eq_u32_e32 vcc_lo, 0, v147
	v_add_nc_u32_e32 v147, 0xffffff91, v147
	v_cndmask_b32_e64 v165, v165, 0x6f, vcc_lo
	s_delay_alu instid0(VALU_DEP_4) | instskip(NEXT) | instid1(VALU_DEP_3)
	v_cndmask_b32_e32 v164, v166, v164, vcc_lo
	v_cndmask_b32_e64 v147, v147, 0xffffff92, vcc_lo
	s_delay_alu instid0(VALU_DEP_3) | instskip(NEXT) | instid1(VALU_DEP_3)
	v_lshl_add_u32 v166, 0x200000, v165, -1
	v_lshrrev_b32_e32 v167, v165, v164
	v_lshlrev_b32_e64 v177, v165, 0x100000
	s_delay_alu instid0(VALU_DEP_4) | instskip(NEXT) | instid1(VALU_DEP_4)
	v_add_nc_u32_e32 v165, v165, v147
	v_and_b32_e32 v164, v166, v164
	s_delay_alu instid0(VALU_DEP_4) | instskip(NEXT) | instid1(VALU_DEP_2)
	v_bfe_u32 v176, v167, 21, 1
	v_cmp_eq_u32_e64 s14, v164, v177
	s_delay_alu instid0(VALU_DEP_2) | instskip(NEXT) | instid1(VALU_DEP_1)
	v_add_nc_u32_e32 v166, -1, v176
	v_cndmask_b32_e64 v164, 0, v166, s14
	v_lshrrev_b32_e32 v166, 23, v167
	s_mov_b32 s14, exec_lo
	s_delay_alu instid0(VALU_DEP_2) | instskip(NEXT) | instid1(VALU_DEP_2)
	v_add_nc_u32_e32 v164, v164, v167
	v_xor_b32_e32 v166, 1, v166
	s_delay_alu instid0(VALU_DEP_2) | instskip(NEXT) | instid1(VALU_DEP_1)
	v_and_b32_e32 v147, 0x1fffff, v164
	v_add_nc_u32_e32 v164, v147, v167
                                        ; implicit-def: $vgpr147
	s_delay_alu instid0(VALU_DEP_3)
	v_cmpx_ne_u32_e64 v165, v166
	s_xor_b32 s14, exec_lo, s14
; %bb.9220:                             ;   in Loop: Header=BB4_8848 Depth=3
	s_delay_alu instid0(VALU_DEP_2) | instskip(SKIP_2) | instid1(VALU_DEP_2)
	v_cmp_lt_u32_e32 vcc_lo, 0xffffff, v164
	v_sub_nc_u32_e32 v147, v165, v166
	v_cndmask_b32_e64 v165, 0, 1, vcc_lo
	v_add_co_ci_u32_e32 v147, vcc_lo, 0, v147, vcc_lo
	s_delay_alu instid0(VALU_DEP_2)
	v_lshrrev_b32_e32 v164, v165, v164
; %bb.9221:                             ;   in Loop: Header=BB4_8848 Depth=3
	s_and_not1_saveexec_b32 s14, s14
; %bb.9222:                             ;   in Loop: Header=BB4_8848 Depth=3
	s_delay_alu instid0(VALU_DEP_1)
	v_bfe_u32 v147, v164, 23, 1
; %bb.9223:                             ;   in Loop: Header=BB4_8848 Depth=3
	s_or_b32 exec_lo, exec_lo, s14
	v_lshrrev_b32_e32 v164, 21, v164
	s_delay_alu instid0(VALU_DEP_2) | instskip(SKIP_2) | instid1(VALU_DEP_2)
	v_cmp_gt_i32_e32 vcc_lo, 32, v147
	v_lshrrev_b32_e32 v163, 24, v163
	v_min_i32_e32 v165, 31, v147
	v_dual_cndmask_b32 v164, 3, v164 :: v_dual_and_b32 v163, 0x80, v163
	s_delay_alu instid0(VALU_DEP_2) | instskip(NEXT) | instid1(VALU_DEP_2)
	v_lshlrev_b32_e32 v165, 2, v165
	v_or_b32_e32 v147, v147, v164
	s_delay_alu instid0(VALU_DEP_1) | instskip(SKIP_1) | instid1(VALU_DEP_1)
	v_cmp_ne_u32_e32 vcc_lo, 0, v147
	v_and_b32_e32 v166, 3, v164
	v_or3_b32 v163, v165, v163, v166
	s_delay_alu instid0(VALU_DEP_1)
	v_cndmask_b32_e32 v147, 0, v163, vcc_lo
.LBB4_9224:                             ;   in Loop: Header=BB4_8848 Depth=3
	s_or_b32 exec_lo, exec_lo, s34
.LBB4_9225:                             ;   in Loop: Header=BB4_8848 Depth=3
	s_delay_alu instid0(SALU_CYCLE_1) | instskip(SKIP_3) | instid1(VALU_DEP_1)
	s_or_b32 exec_lo, exec_lo, s31
	v_and_b32_e32 v164, 0xff, v144
	s_mov_b32 s14, 0
	s_mov_b32 s34, exec_lo
                                        ; implicit-def: $sgpr31
	v_cmpx_lt_i16_e64 0x7f, v164
	s_xor_b32 s34, exec_lo, s34
	s_cbranch_execnz .LBB4_9455
; %bb.9226:                             ;   in Loop: Header=BB4_8848 Depth=3
	s_or_saveexec_b32 s34, s34
	v_mov_b32_e32 v163, s31
	s_xor_b32 exec_lo, exec_lo, s34
	s_cbranch_execnz .LBB4_9458
.LBB4_9227:                             ;   in Loop: Header=BB4_8848 Depth=3
	s_or_b32 exec_lo, exec_lo, s34
	s_and_saveexec_b32 s31, s14
	s_cbranch_execz .LBB4_9229
.LBB4_9228:                             ;   in Loop: Header=BB4_8848 Depth=3
	v_lshlrev_b32_e32 v144, 8, v144
	s_delay_alu instid0(VALU_DEP_1) | instskip(SKIP_1) | instid1(VALU_DEP_2)
	v_and_b32_e32 v163, 0xff00, v144
	v_bfe_u32 v144, v144, 10, 5
	v_bfe_u32 v165, v163, 8, 2
	s_delay_alu instid0(VALU_DEP_2) | instskip(NEXT) | instid1(VALU_DEP_2)
	v_cmp_eq_u32_e32 vcc_lo, 0, v144
	v_clz_i32_u32_e32 v166, v165
	s_delay_alu instid0(VALU_DEP_1) | instskip(NEXT) | instid1(VALU_DEP_1)
	v_min_u32_e32 v166, 32, v166
	v_subrev_nc_u32_e32 v167, 29, v166
	v_sub_nc_u32_e32 v166, 30, v166
	s_delay_alu instid0(VALU_DEP_2) | instskip(NEXT) | instid1(VALU_DEP_2)
	v_lshlrev_b32_e32 v164, v167, v164
	v_cndmask_b32_e32 v144, v144, v166, vcc_lo
	s_delay_alu instid0(VALU_DEP_2) | instskip(SKIP_1) | instid1(VALU_DEP_3)
	v_and_b32_e32 v164, 3, v164
	v_lshlrev_b32_e32 v163, 16, v163
	v_lshl_add_u32 v144, v144, 23, 0x37800000
	s_delay_alu instid0(VALU_DEP_2) | instskip(NEXT) | instid1(VALU_DEP_1)
	v_dual_cndmask_b32 v164, v165, v164 :: v_dual_and_b32 v163, 0x80000000, v163
	v_lshlrev_b32_e32 v164, 21, v164
	s_delay_alu instid0(VALU_DEP_1)
	v_or3_b32 v163, v163, v144, v164
.LBB4_9229:                             ;   in Loop: Header=BB4_8848 Depth=3
	s_or_b32 exec_lo, exec_lo, s31
	v_lshrrev_b32_e32 v144, 24, v10
	s_mov_b32 s14, 0
	s_mov_b32 s34, exec_lo
                                        ; implicit-def: $sgpr31
	s_delay_alu instid0(VALU_DEP_1)
	v_cmpx_lt_i16_e64 0x7f, v144
	s_xor_b32 s34, exec_lo, s34
	s_cbranch_execnz .LBB4_9459
; %bb.9230:                             ;   in Loop: Header=BB4_8848 Depth=3
	s_or_saveexec_b32 s34, s34
	v_mov_b32_e32 v164, s31
	s_xor_b32 exec_lo, exec_lo, s34
	s_cbranch_execnz .LBB4_9462
.LBB4_9231:                             ;   in Loop: Header=BB4_8848 Depth=3
	s_or_b32 exec_lo, exec_lo, s34
	s_and_saveexec_b32 s31, s14
	s_cbranch_execz .LBB4_9233
.LBB4_9232:                             ;   in Loop: Header=BB4_8848 Depth=3
	v_bfe_u32 v164, v10, 24, 2
	s_delay_alu instid0(VALU_DEP_1) | instskip(NEXT) | instid1(VALU_DEP_1)
	v_clz_i32_u32_e32 v165, v164
	v_min_u32_e32 v165, 32, v165
	s_delay_alu instid0(VALU_DEP_1) | instskip(SKIP_1) | instid1(VALU_DEP_2)
	v_subrev_nc_u32_e32 v166, 29, v165
	v_sub_nc_u32_e32 v165, 30, v165
	v_lshlrev_b32_e32 v144, v166, v144
	v_bfe_u32 v166, v10, 26, 5
	v_and_b32_e32 v10, 0x80000000, v10
	s_delay_alu instid0(VALU_DEP_2) | instskip(NEXT) | instid1(VALU_DEP_4)
	v_cmp_eq_u32_e32 vcc_lo, 0, v166
	v_dual_cndmask_b32 v165, v166, v165 :: v_dual_and_b32 v144, 3, v144
	s_delay_alu instid0(VALU_DEP_1) | instskip(NEXT) | instid1(VALU_DEP_2)
	v_cndmask_b32_e32 v144, v164, v144, vcc_lo
	v_lshl_add_u32 v164, v165, 23, 0x37800000
	s_delay_alu instid0(VALU_DEP_2) | instskip(NEXT) | instid1(VALU_DEP_1)
	v_lshlrev_b32_e32 v144, 21, v144
	v_or3_b32 v164, v10, v164, v144
.LBB4_9233:                             ;   in Loop: Header=BB4_8848 Depth=3
	s_or_b32 exec_lo, exec_lo, s31
	s_delay_alu instid0(VALU_DEP_1) | instskip(NEXT) | instid1(VALU_DEP_1)
	v_add_f32_e32 v144, v163, v164
	v_and_b32_e32 v10, 0x7f800000, v144
	s_delay_alu instid0(VALU_DEP_1)
	v_cmp_ne_u32_e32 vcc_lo, 0x7f800000, v10
	v_mov_b32_e32 v10, 0x80
	s_and_saveexec_b32 s31, vcc_lo
	s_cbranch_execz .LBB4_9241
; %bb.9234:                             ;   in Loop: Header=BB4_8848 Depth=3
	v_mov_b32_e32 v10, 0
	s_mov_b32 s34, exec_lo
	v_cmpx_ne_u32_e32 0, v144
	s_cbranch_execz .LBB4_9240
; %bb.9235:                             ;   in Loop: Header=BB4_8848 Depth=3
	v_bfe_u32 v10, v144, 23, 8
	v_and_b32_e32 v163, 0x7fffff, v144
	s_delay_alu instid0(VALU_DEP_2) | instskip(SKIP_1) | instid1(VALU_DEP_3)
	v_sub_nc_u32_e32 v164, 0x70, v10
	v_cmp_gt_u32_e32 vcc_lo, 0x71, v10
	v_or_b32_e32 v165, 0x800000, v163
	s_delay_alu instid0(VALU_DEP_3) | instskip(SKIP_1) | instid1(VALU_DEP_3)
	v_cndmask_b32_e32 v164, 0, v164, vcc_lo
	v_cmp_eq_u32_e32 vcc_lo, 0, v10
	v_dual_cndmask_b32 v163, v165, v163 :: v_dual_add_nc_u32 v10, 0xffffff91, v10
	s_delay_alu instid0(VALU_DEP_3) | instskip(NEXT) | instid1(VALU_DEP_2)
	v_cndmask_b32_e64 v164, v164, 0x6f, vcc_lo
	v_cndmask_b32_e64 v10, v10, 0xffffff92, vcc_lo
	s_delay_alu instid0(VALU_DEP_2) | instskip(SKIP_2) | instid1(VALU_DEP_4)
	v_lshrrev_b32_e32 v166, v164, v163
	v_lshl_add_u32 v165, 0x200000, v164, -1
	v_lshlrev_b32_e64 v176, v164, 0x100000
	v_add_nc_u32_e32 v164, v164, v10
	s_delay_alu instid0(VALU_DEP_4) | instskip(NEXT) | instid1(VALU_DEP_4)
	v_bfe_u32 v167, v166, 21, 1
	v_and_b32_e32 v163, v165, v163
	s_delay_alu instid0(VALU_DEP_2) | instskip(NEXT) | instid1(VALU_DEP_2)
	v_add_nc_u32_e32 v165, -1, v167
	v_cmp_eq_u32_e64 s14, v163, v176
	s_delay_alu instid0(VALU_DEP_1) | instskip(SKIP_2) | instid1(VALU_DEP_2)
	v_cndmask_b32_e64 v163, 0, v165, s14
	v_lshrrev_b32_e32 v165, 23, v166
	s_mov_b32 s14, exec_lo
	v_add_nc_u32_e32 v163, v163, v166
	s_delay_alu instid0(VALU_DEP_2) | instskip(NEXT) | instid1(VALU_DEP_2)
	v_xor_b32_e32 v165, 1, v165
	v_and_b32_e32 v10, 0x1fffff, v163
	s_delay_alu instid0(VALU_DEP_1) | instskip(NEXT) | instid1(VALU_DEP_3)
	v_add_nc_u32_e32 v163, v10, v166
                                        ; implicit-def: $vgpr10
	v_cmpx_ne_u32_e64 v164, v165
	s_xor_b32 s14, exec_lo, s14
; %bb.9236:                             ;   in Loop: Header=BB4_8848 Depth=3
	s_delay_alu instid0(VALU_DEP_2) | instskip(SKIP_2) | instid1(VALU_DEP_2)
	v_cmp_lt_u32_e32 vcc_lo, 0xffffff, v163
	v_sub_nc_u32_e32 v10, v164, v165
	v_cndmask_b32_e64 v164, 0, 1, vcc_lo
	v_add_co_ci_u32_e32 v10, vcc_lo, 0, v10, vcc_lo
	s_delay_alu instid0(VALU_DEP_2)
	v_lshrrev_b32_e32 v163, v164, v163
; %bb.9237:                             ;   in Loop: Header=BB4_8848 Depth=3
	s_and_not1_saveexec_b32 s14, s14
; %bb.9238:                             ;   in Loop: Header=BB4_8848 Depth=3
	s_delay_alu instid0(VALU_DEP_1)
	v_bfe_u32 v10, v163, 23, 1
; %bb.9239:                             ;   in Loop: Header=BB4_8848 Depth=3
	s_or_b32 exec_lo, exec_lo, s14
	v_lshrrev_b32_e32 v163, 21, v163
	s_delay_alu instid0(VALU_DEP_2) | instskip(SKIP_2) | instid1(VALU_DEP_2)
	v_cmp_gt_i32_e32 vcc_lo, 32, v10
	v_lshrrev_b32_e32 v144, 24, v144
	v_min_i32_e32 v164, 31, v10
	v_dual_cndmask_b32 v163, 3, v163 :: v_dual_and_b32 v144, 0x80, v144
	s_delay_alu instid0(VALU_DEP_2) | instskip(NEXT) | instid1(VALU_DEP_2)
	v_lshlrev_b32_e32 v164, 2, v164
	v_or_b32_e32 v10, v10, v163
	s_delay_alu instid0(VALU_DEP_1) | instskip(SKIP_1) | instid1(VALU_DEP_1)
	v_cmp_ne_u32_e32 vcc_lo, 0, v10
	v_and_b32_e32 v165, 3, v163
	v_or3_b32 v144, v164, v144, v165
	s_delay_alu instid0(VALU_DEP_1)
	v_cndmask_b32_e32 v10, 0, v144, vcc_lo
.LBB4_9240:                             ;   in Loop: Header=BB4_8848 Depth=3
	s_or_b32 exec_lo, exec_lo, s34
.LBB4_9241:                             ;   in Loop: Header=BB4_8848 Depth=3
	s_delay_alu instid0(SALU_CYCLE_1) | instskip(SKIP_3) | instid1(VALU_DEP_1)
	s_or_b32 exec_lo, exec_lo, s31
	v_or_b32_e32 v144, v149, v135
	s_mov_b32 s14, 0
	s_mov_b32 s34, exec_lo
                                        ; implicit-def: $sgpr31
	v_and_b32_e32 v149, 0xff, v144
	s_delay_alu instid0(VALU_DEP_1)
	v_cmpx_lt_i16_e64 0x7f, v149
	s_xor_b32 s34, exec_lo, s34
	s_cbranch_execnz .LBB4_9463
; %bb.9242:                             ;   in Loop: Header=BB4_8848 Depth=3
	s_or_saveexec_b32 s34, s34
	v_mov_b32_e32 v135, s31
	s_xor_b32 exec_lo, exec_lo, s34
	s_cbranch_execnz .LBB4_9466
.LBB4_9243:                             ;   in Loop: Header=BB4_8848 Depth=3
	s_or_b32 exec_lo, exec_lo, s34
	s_and_saveexec_b32 s31, s14
	s_cbranch_execz .LBB4_9245
.LBB4_9244:                             ;   in Loop: Header=BB4_8848 Depth=3
	v_and_b32_e32 v135, 3, v144
	v_bfe_u32 v164, v144, 2, 5
	v_lshlrev_b32_e32 v165, 24, v144
	s_delay_alu instid0(VALU_DEP_3) | instskip(NEXT) | instid1(VALU_DEP_3)
	v_clz_i32_u32_e32 v149, v135
	v_cmp_eq_u32_e32 vcc_lo, 0, v164
	s_delay_alu instid0(VALU_DEP_2) | instskip(NEXT) | instid1(VALU_DEP_1)
	v_min_u32_e32 v149, 32, v149
	v_subrev_nc_u32_e32 v163, 29, v149
	v_sub_nc_u32_e32 v149, 30, v149
	s_delay_alu instid0(VALU_DEP_2) | instskip(NEXT) | instid1(VALU_DEP_2)
	v_lshlrev_b32_e32 v163, v163, v144
	v_cndmask_b32_e32 v149, v164, v149, vcc_lo
	s_delay_alu instid0(VALU_DEP_2) | instskip(NEXT) | instid1(VALU_DEP_2)
	v_and_b32_e32 v163, 3, v163
	v_lshl_add_u32 v149, v149, 23, 0x37800000
	s_delay_alu instid0(VALU_DEP_2) | instskip(SKIP_1) | instid1(VALU_DEP_2)
	v_cndmask_b32_e32 v135, v135, v163, vcc_lo
	v_and_b32_e32 v163, 0x80000000, v165
	v_lshlrev_b32_e32 v135, 21, v135
	s_delay_alu instid0(VALU_DEP_1)
	v_or3_b32 v135, v163, v149, v135
.LBB4_9245:                             ;   in Loop: Header=BB4_8848 Depth=3
	s_or_b32 exec_lo, exec_lo, s31
	v_and_b32_e32 v163, 0xff, v11
	s_mov_b32 s14, 0
	s_mov_b32 s34, exec_lo
                                        ; implicit-def: $sgpr31
	s_delay_alu instid0(VALU_DEP_1)
	v_cmpx_lt_i16_e64 0x7f, v163
	s_xor_b32 s34, exec_lo, s34
	s_cbranch_execnz .LBB4_9467
; %bb.9246:                             ;   in Loop: Header=BB4_8848 Depth=3
	s_or_saveexec_b32 s34, s34
	v_mov_b32_e32 v149, s31
	s_xor_b32 exec_lo, exec_lo, s34
	s_cbranch_execnz .LBB4_9470
.LBB4_9247:                             ;   in Loop: Header=BB4_8848 Depth=3
	s_or_b32 exec_lo, exec_lo, s34
	s_and_saveexec_b32 s31, s14
	s_cbranch_execz .LBB4_9249
.LBB4_9248:                             ;   in Loop: Header=BB4_8848 Depth=3
	v_and_b32_e32 v149, 3, v11
	v_bfe_u32 v165, v11, 2, 5
	s_delay_alu instid0(VALU_DEP_2) | instskip(NEXT) | instid1(VALU_DEP_2)
	v_clz_i32_u32_e32 v163, v149
	v_cmp_eq_u32_e32 vcc_lo, 0, v165
	s_delay_alu instid0(VALU_DEP_2) | instskip(NEXT) | instid1(VALU_DEP_1)
	v_min_u32_e32 v163, 32, v163
	v_subrev_nc_u32_e32 v164, 29, v163
	v_sub_nc_u32_e32 v163, 30, v163
	s_delay_alu instid0(VALU_DEP_2) | instskip(NEXT) | instid1(VALU_DEP_1)
	v_lshlrev_b32_e32 v164, v164, v11
	v_dual_cndmask_b32 v163, v165, v163 :: v_dual_and_b32 v164, 3, v164
	v_lshlrev_b32_e32 v166, 24, v11
	s_delay_alu instid0(VALU_DEP_2) | instskip(NEXT) | instid1(VALU_DEP_2)
	v_lshl_add_u32 v163, v163, 23, 0x37800000
	v_dual_cndmask_b32 v149, v149, v164 :: v_dual_and_b32 v164, 0x80000000, v166
	s_delay_alu instid0(VALU_DEP_1) | instskip(NEXT) | instid1(VALU_DEP_1)
	v_lshlrev_b32_e32 v149, 21, v149
	v_or3_b32 v149, v164, v163, v149
.LBB4_9249:                             ;   in Loop: Header=BB4_8848 Depth=3
	s_or_b32 exec_lo, exec_lo, s31
	s_delay_alu instid0(VALU_DEP_1) | instskip(NEXT) | instid1(VALU_DEP_1)
	v_add_f32_e32 v149, v135, v149
	v_and_b32_e32 v135, 0x7f800000, v149
	s_delay_alu instid0(VALU_DEP_1)
	v_cmp_ne_u32_e32 vcc_lo, 0x7f800000, v135
	v_mov_b32_e32 v135, 0x80
	s_and_saveexec_b32 s31, vcc_lo
	s_cbranch_execz .LBB4_9257
; %bb.9250:                             ;   in Loop: Header=BB4_8848 Depth=3
	v_mov_b32_e32 v135, 0
	s_mov_b32 s34, exec_lo
	v_cmpx_ne_u32_e32 0, v149
	s_cbranch_execz .LBB4_9256
; %bb.9251:                             ;   in Loop: Header=BB4_8848 Depth=3
	v_bfe_u32 v135, v149, 23, 8
	s_delay_alu instid0(VALU_DEP_1) | instskip(SKIP_1) | instid1(VALU_DEP_2)
	v_sub_nc_u32_e32 v164, 0x70, v135
	v_cmp_gt_u32_e32 vcc_lo, 0x71, v135
	v_dual_cndmask_b32 v164, 0, v164 :: v_dual_and_b32 v163, 0x7fffff, v149
	s_delay_alu instid0(VALU_DEP_1) | instskip(SKIP_2) | instid1(VALU_DEP_4)
	v_or_b32_e32 v165, 0x800000, v163
	v_cmp_eq_u32_e32 vcc_lo, 0, v135
	v_add_nc_u32_e32 v135, 0xffffff91, v135
	v_cndmask_b32_e64 v164, v164, 0x6f, vcc_lo
	s_delay_alu instid0(VALU_DEP_4) | instskip(NEXT) | instid1(VALU_DEP_3)
	v_cndmask_b32_e32 v163, v165, v163, vcc_lo
	v_cndmask_b32_e64 v135, v135, 0xffffff92, vcc_lo
	s_delay_alu instid0(VALU_DEP_3) | instskip(NEXT) | instid1(VALU_DEP_3)
	v_lshl_add_u32 v165, 0x200000, v164, -1
	v_lshrrev_b32_e32 v166, v164, v163
	v_lshlrev_b32_e64 v176, v164, 0x100000
	s_delay_alu instid0(VALU_DEP_4) | instskip(NEXT) | instid1(VALU_DEP_4)
	v_add_nc_u32_e32 v164, v164, v135
	v_and_b32_e32 v163, v165, v163
	s_delay_alu instid0(VALU_DEP_4) | instskip(NEXT) | instid1(VALU_DEP_2)
	v_bfe_u32 v167, v166, 21, 1
	v_cmp_eq_u32_e64 s14, v163, v176
	s_delay_alu instid0(VALU_DEP_2) | instskip(NEXT) | instid1(VALU_DEP_1)
	v_add_nc_u32_e32 v165, -1, v167
	v_cndmask_b32_e64 v163, 0, v165, s14
	v_lshrrev_b32_e32 v165, 23, v166
	s_mov_b32 s14, exec_lo
	s_delay_alu instid0(VALU_DEP_2) | instskip(NEXT) | instid1(VALU_DEP_2)
	v_add_nc_u32_e32 v163, v163, v166
	v_xor_b32_e32 v165, 1, v165
	s_delay_alu instid0(VALU_DEP_2) | instskip(NEXT) | instid1(VALU_DEP_1)
	v_and_b32_e32 v135, 0x1fffff, v163
	v_add_nc_u32_e32 v163, v135, v166
                                        ; implicit-def: $vgpr135
	s_delay_alu instid0(VALU_DEP_3)
	v_cmpx_ne_u32_e64 v164, v165
	s_xor_b32 s14, exec_lo, s14
; %bb.9252:                             ;   in Loop: Header=BB4_8848 Depth=3
	s_delay_alu instid0(VALU_DEP_2) | instskip(SKIP_2) | instid1(VALU_DEP_2)
	v_cmp_lt_u32_e32 vcc_lo, 0xffffff, v163
	v_sub_nc_u32_e32 v135, v164, v165
	v_cndmask_b32_e64 v164, 0, 1, vcc_lo
	v_add_co_ci_u32_e32 v135, vcc_lo, 0, v135, vcc_lo
	s_delay_alu instid0(VALU_DEP_2)
	v_lshrrev_b32_e32 v163, v164, v163
; %bb.9253:                             ;   in Loop: Header=BB4_8848 Depth=3
	s_and_not1_saveexec_b32 s14, s14
; %bb.9254:                             ;   in Loop: Header=BB4_8848 Depth=3
	s_delay_alu instid0(VALU_DEP_1)
	v_bfe_u32 v135, v163, 23, 1
; %bb.9255:                             ;   in Loop: Header=BB4_8848 Depth=3
	s_or_b32 exec_lo, exec_lo, s14
	v_lshrrev_b32_e32 v163, 21, v163
	s_delay_alu instid0(VALU_DEP_2) | instskip(SKIP_2) | instid1(VALU_DEP_4)
	v_cmp_gt_i32_e32 vcc_lo, 32, v135
	v_lshrrev_b32_e32 v149, 24, v149
	v_min_i32_e32 v164, 31, v135
	v_cndmask_b32_e32 v163, 3, v163, vcc_lo
	s_delay_alu instid0(VALU_DEP_3) | instskip(NEXT) | instid1(VALU_DEP_3)
	v_and_b32_e32 v149, 0x80, v149
	v_lshlrev_b32_e32 v164, 2, v164
	s_delay_alu instid0(VALU_DEP_3) | instskip(SKIP_1) | instid1(VALU_DEP_2)
	v_and_b32_e32 v165, 3, v163
	v_or_b32_e32 v135, v135, v163
	v_or3_b32 v149, v164, v149, v165
	s_delay_alu instid0(VALU_DEP_2) | instskip(NEXT) | instid1(VALU_DEP_2)
	v_cmp_ne_u32_e32 vcc_lo, 0, v135
	v_cndmask_b32_e32 v135, 0, v149, vcc_lo
.LBB4_9256:                             ;   in Loop: Header=BB4_8848 Depth=3
	s_or_b32 exec_lo, exec_lo, s34
.LBB4_9257:                             ;   in Loop: Header=BB4_8848 Depth=3
	s_delay_alu instid0(SALU_CYCLE_1) | instskip(SKIP_3) | instid1(VALU_DEP_1)
	s_or_b32 exec_lo, exec_lo, s31
	v_lshrrev_b16 v163, 8, v144
	s_mov_b32 s14, 0
	s_mov_b32 s34, exec_lo
                                        ; implicit-def: $sgpr31
	v_cmpx_lt_i16_e64 0x7f, v163
	s_xor_b32 s34, exec_lo, s34
	s_cbranch_execnz .LBB4_9471
; %bb.9258:                             ;   in Loop: Header=BB4_8848 Depth=3
	s_or_saveexec_b32 s34, s34
	v_mov_b32_e32 v149, s31
	s_xor_b32 exec_lo, exec_lo, s34
	s_cbranch_execnz .LBB4_9474
.LBB4_9259:                             ;   in Loop: Header=BB4_8848 Depth=3
	s_or_b32 exec_lo, exec_lo, s34
	s_and_saveexec_b32 s31, s14
	s_cbranch_execz .LBB4_9261
.LBB4_9260:                             ;   in Loop: Header=BB4_8848 Depth=3
	v_and_b32_e32 v149, 0xffff, v163
	v_lshlrev_b32_e32 v163, 24, v163
	s_delay_alu instid0(VALU_DEP_2) | instskip(NEXT) | instid1(VALU_DEP_2)
	v_and_b32_e32 v164, 3, v149
	v_and_b32_e32 v163, 0x80000000, v163
	s_delay_alu instid0(VALU_DEP_2) | instskip(NEXT) | instid1(VALU_DEP_1)
	v_clz_i32_u32_e32 v165, v164
	v_min_u32_e32 v165, 32, v165
	s_delay_alu instid0(VALU_DEP_1) | instskip(SKIP_1) | instid1(VALU_DEP_2)
	v_subrev_nc_u32_e32 v166, 29, v165
	v_sub_nc_u32_e32 v165, 30, v165
	v_lshlrev_b32_e32 v166, v166, v149
	v_bfe_u32 v149, v149, 2, 5
	s_delay_alu instid0(VALU_DEP_1) | instskip(NEXT) | instid1(VALU_DEP_3)
	v_cmp_eq_u32_e32 vcc_lo, 0, v149
	v_dual_cndmask_b32 v149, v149, v165 :: v_dual_and_b32 v166, 3, v166
	s_delay_alu instid0(VALU_DEP_1) | instskip(NEXT) | instid1(VALU_DEP_2)
	v_cndmask_b32_e32 v164, v164, v166, vcc_lo
	v_lshl_add_u32 v149, v149, 23, 0x37800000
	s_delay_alu instid0(VALU_DEP_2) | instskip(NEXT) | instid1(VALU_DEP_1)
	v_lshlrev_b32_e32 v164, 21, v164
	v_or3_b32 v149, v163, v149, v164
.LBB4_9261:                             ;   in Loop: Header=BB4_8848 Depth=3
	s_or_b32 exec_lo, exec_lo, s31
	v_lshrrev_b16 v163, 8, v11
	s_mov_b32 s14, 0
	s_mov_b32 s34, exec_lo
                                        ; implicit-def: $sgpr31
	s_delay_alu instid0(VALU_DEP_1)
	v_cmpx_lt_i16_e64 0x7f, v163
	s_xor_b32 s34, exec_lo, s34
	s_cbranch_execnz .LBB4_9475
; %bb.9262:                             ;   in Loop: Header=BB4_8848 Depth=3
	s_or_saveexec_b32 s34, s34
	v_mov_b32_e32 v164, s31
	s_xor_b32 exec_lo, exec_lo, s34
	s_cbranch_execnz .LBB4_9478
.LBB4_9263:                             ;   in Loop: Header=BB4_8848 Depth=3
	s_or_b32 exec_lo, exec_lo, s34
	s_and_saveexec_b32 s31, s14
	s_cbranch_execz .LBB4_9265
.LBB4_9264:                             ;   in Loop: Header=BB4_8848 Depth=3
	v_and_b32_e32 v164, 0xffff, v163
	v_lshlrev_b32_e32 v163, 24, v163
	s_delay_alu instid0(VALU_DEP_2) | instskip(NEXT) | instid1(VALU_DEP_2)
	v_and_b32_e32 v165, 3, v164
	v_and_b32_e32 v163, 0x80000000, v163
	s_delay_alu instid0(VALU_DEP_2) | instskip(NEXT) | instid1(VALU_DEP_1)
	v_clz_i32_u32_e32 v166, v165
	v_min_u32_e32 v166, 32, v166
	s_delay_alu instid0(VALU_DEP_1) | instskip(SKIP_1) | instid1(VALU_DEP_2)
	v_subrev_nc_u32_e32 v167, 29, v166
	v_sub_nc_u32_e32 v166, 30, v166
	v_lshlrev_b32_e32 v167, v167, v164
	v_bfe_u32 v164, v164, 2, 5
	s_delay_alu instid0(VALU_DEP_2) | instskip(NEXT) | instid1(VALU_DEP_2)
	v_and_b32_e32 v167, 3, v167
	v_cmp_eq_u32_e32 vcc_lo, 0, v164
	s_delay_alu instid0(VALU_DEP_2) | instskip(NEXT) | instid1(VALU_DEP_1)
	v_dual_cndmask_b32 v164, v164, v166 :: v_dual_cndmask_b32 v165, v165, v167
	v_lshl_add_u32 v164, v164, 23, 0x37800000
	s_delay_alu instid0(VALU_DEP_2) | instskip(NEXT) | instid1(VALU_DEP_1)
	v_lshlrev_b32_e32 v165, 21, v165
	v_or3_b32 v164, v163, v164, v165
.LBB4_9265:                             ;   in Loop: Header=BB4_8848 Depth=3
	s_or_b32 exec_lo, exec_lo, s31
	s_delay_alu instid0(VALU_DEP_1) | instskip(NEXT) | instid1(VALU_DEP_1)
	v_add_f32_e32 v163, v149, v164
	v_and_b32_e32 v149, 0x7f800000, v163
	s_delay_alu instid0(VALU_DEP_1)
	v_cmp_ne_u32_e32 vcc_lo, 0x7f800000, v149
	v_mov_b32_e32 v149, 0x8000
	s_and_saveexec_b32 s31, vcc_lo
	s_cbranch_execz .LBB4_9273
; %bb.9266:                             ;   in Loop: Header=BB4_8848 Depth=3
	v_mov_b32_e32 v149, 0
	s_mov_b32 s34, exec_lo
	v_cmpx_ne_u32_e32 0, v163
	s_cbranch_execz .LBB4_9272
; %bb.9267:                             ;   in Loop: Header=BB4_8848 Depth=3
	v_bfe_u32 v149, v163, 23, 8
	s_delay_alu instid0(VALU_DEP_1) | instskip(SKIP_1) | instid1(VALU_DEP_2)
	v_sub_nc_u32_e32 v165, 0x70, v149
	v_cmp_gt_u32_e32 vcc_lo, 0x71, v149
	v_dual_cndmask_b32 v165, 0, v165 :: v_dual_and_b32 v164, 0x7fffff, v163
	s_delay_alu instid0(VALU_DEP_1) | instskip(SKIP_2) | instid1(VALU_DEP_4)
	v_or_b32_e32 v166, 0x800000, v164
	v_cmp_eq_u32_e32 vcc_lo, 0, v149
	v_add_nc_u32_e32 v149, 0xffffff91, v149
	v_cndmask_b32_e64 v165, v165, 0x6f, vcc_lo
	s_delay_alu instid0(VALU_DEP_4) | instskip(NEXT) | instid1(VALU_DEP_3)
	v_cndmask_b32_e32 v164, v166, v164, vcc_lo
	v_cndmask_b32_e64 v149, v149, 0xffffff92, vcc_lo
	s_delay_alu instid0(VALU_DEP_3) | instskip(NEXT) | instid1(VALU_DEP_3)
	v_lshl_add_u32 v166, 0x200000, v165, -1
	v_lshrrev_b32_e32 v167, v165, v164
	v_lshlrev_b32_e64 v177, v165, 0x100000
	s_delay_alu instid0(VALU_DEP_4) | instskip(NEXT) | instid1(VALU_DEP_4)
	v_add_nc_u32_e32 v165, v165, v149
	v_and_b32_e32 v164, v166, v164
	s_delay_alu instid0(VALU_DEP_4) | instskip(NEXT) | instid1(VALU_DEP_2)
	v_bfe_u32 v176, v167, 21, 1
	v_cmp_eq_u32_e64 s14, v164, v177
	s_delay_alu instid0(VALU_DEP_2) | instskip(NEXT) | instid1(VALU_DEP_1)
	v_add_nc_u32_e32 v166, -1, v176
	v_cndmask_b32_e64 v164, 0, v166, s14
	v_lshrrev_b32_e32 v166, 23, v167
	s_mov_b32 s14, exec_lo
	s_delay_alu instid0(VALU_DEP_2) | instskip(NEXT) | instid1(VALU_DEP_2)
	v_add_nc_u32_e32 v164, v164, v167
	v_xor_b32_e32 v166, 1, v166
	s_delay_alu instid0(VALU_DEP_2) | instskip(NEXT) | instid1(VALU_DEP_1)
	v_and_b32_e32 v149, 0x1fffff, v164
	v_add_nc_u32_e32 v164, v149, v167
                                        ; implicit-def: $vgpr149
	s_delay_alu instid0(VALU_DEP_3)
	v_cmpx_ne_u32_e64 v165, v166
	s_xor_b32 s14, exec_lo, s14
; %bb.9268:                             ;   in Loop: Header=BB4_8848 Depth=3
	s_delay_alu instid0(VALU_DEP_2) | instskip(SKIP_2) | instid1(VALU_DEP_2)
	v_cmp_lt_u32_e32 vcc_lo, 0xffffff, v164
	v_sub_nc_u32_e32 v149, v165, v166
	v_cndmask_b32_e64 v165, 0, 1, vcc_lo
	v_add_co_ci_u32_e32 v149, vcc_lo, 0, v149, vcc_lo
	s_delay_alu instid0(VALU_DEP_2)
	v_lshrrev_b32_e32 v164, v165, v164
; %bb.9269:                             ;   in Loop: Header=BB4_8848 Depth=3
	s_and_not1_saveexec_b32 s14, s14
; %bb.9270:                             ;   in Loop: Header=BB4_8848 Depth=3
	s_delay_alu instid0(VALU_DEP_1)
	v_bfe_u32 v149, v164, 23, 1
; %bb.9271:                             ;   in Loop: Header=BB4_8848 Depth=3
	s_or_b32 exec_lo, exec_lo, s14
	v_lshrrev_b32_e32 v164, 21, v164
	s_delay_alu instid0(VALU_DEP_2) | instskip(SKIP_2) | instid1(VALU_DEP_2)
	v_cmp_gt_i32_e32 vcc_lo, 32, v149
	v_min_i32_e32 v165, 31, v149
	v_lshrrev_b32_e32 v163, 24, v163
	v_dual_cndmask_b32 v164, 3, v164 :: v_dual_lshlrev_b32 v165, 2, v165
	s_delay_alu instid0(VALU_DEP_2) | instskip(NEXT) | instid1(VALU_DEP_2)
	v_and_b32_e32 v163, 0x80, v163
	v_or_b32_e32 v149, v149, v164
	s_delay_alu instid0(VALU_DEP_3) | instskip(NEXT) | instid1(VALU_DEP_2)
	v_and_b32_e32 v165, 0xfc, v165
	v_cmp_ne_u32_e32 vcc_lo, 0, v149
	v_and_b32_e32 v166, 3, v164
	s_delay_alu instid0(VALU_DEP_1) | instskip(NEXT) | instid1(VALU_DEP_1)
	v_or3_b32 v163, v163, v165, v166
	v_lshlrev_b32_e32 v163, 8, v163
	s_delay_alu instid0(VALU_DEP_1)
	v_cndmask_b32_e32 v149, 0, v163, vcc_lo
.LBB4_9272:                             ;   in Loop: Header=BB4_8848 Depth=3
	s_or_b32 exec_lo, exec_lo, s34
.LBB4_9273:                             ;   in Loop: Header=BB4_8848 Depth=3
	s_delay_alu instid0(SALU_CYCLE_1) | instskip(SKIP_3) | instid1(VALU_DEP_1)
	s_or_b32 exec_lo, exec_lo, s31
	v_or_b32_e32 v146, v146, v134
	s_mov_b32 s14, 0
	s_mov_b32 s34, exec_lo
                                        ; implicit-def: $sgpr31
	v_and_b32_e32 v163, 0xff, v146
	s_delay_alu instid0(VALU_DEP_1)
	v_cmpx_lt_i16_e64 0x7f, v163
	s_xor_b32 s34, exec_lo, s34
	s_cbranch_execnz .LBB4_9479
; %bb.9274:                             ;   in Loop: Header=BB4_8848 Depth=3
	s_or_saveexec_b32 s34, s34
	v_mov_b32_e32 v134, s31
	s_xor_b32 exec_lo, exec_lo, s34
	s_cbranch_execnz .LBB4_9482
.LBB4_9275:                             ;   in Loop: Header=BB4_8848 Depth=3
	s_or_b32 exec_lo, exec_lo, s34
	v_lshl_or_b32 v144, v146, 16, v144
	s_and_saveexec_b32 s31, s14
	s_cbranch_execz .LBB4_9277
.LBB4_9276:                             ;   in Loop: Header=BB4_8848 Depth=3
	s_delay_alu instid0(VALU_DEP_1) | instskip(SKIP_1) | instid1(VALU_DEP_2)
	v_bfe_u32 v134, v144, 16, 2
	v_lshrrev_b32_e32 v163, 16, v144
	v_clz_i32_u32_e32 v146, v134
	s_delay_alu instid0(VALU_DEP_1) | instskip(NEXT) | instid1(VALU_DEP_1)
	v_min_u32_e32 v146, 32, v146
	v_subrev_nc_u32_e32 v164, 29, v146
	v_sub_nc_u32_e32 v146, 30, v146
	s_delay_alu instid0(VALU_DEP_2) | instskip(SKIP_1) | instid1(VALU_DEP_1)
	v_lshlrev_b32_e32 v163, v164, v163
	v_bfe_u32 v164, v144, 18, 5
	v_cmp_eq_u32_e32 vcc_lo, 0, v164
	s_delay_alu instid0(VALU_DEP_3) | instskip(NEXT) | instid1(VALU_DEP_1)
	v_dual_cndmask_b32 v146, v164, v146 :: v_dual_and_b32 v163, 3, v163
	v_dual_cndmask_b32 v134, v134, v163 :: v_dual_lshlrev_b32 v165, 8, v144
	s_delay_alu instid0(VALU_DEP_2) | instskip(NEXT) | instid1(VALU_DEP_2)
	v_lshl_add_u32 v146, v146, 23, 0x37800000
	v_and_b32_e32 v163, 0x80000000, v165
	s_delay_alu instid0(VALU_DEP_3) | instskip(NEXT) | instid1(VALU_DEP_1)
	v_lshlrev_b32_e32 v134, 21, v134
	v_or3_b32 v134, v163, v146, v134
.LBB4_9277:                             ;   in Loop: Header=BB4_8848 Depth=3
	s_or_b32 exec_lo, exec_lo, s31
	v_lshrrev_b32_e32 v146, 16, v11
	s_mov_b32 s14, 0
	s_mov_b32 s34, exec_lo
                                        ; implicit-def: $sgpr31
	s_delay_alu instid0(VALU_DEP_1) | instskip(NEXT) | instid1(VALU_DEP_1)
	v_and_b32_e32 v164, 0xff, v146
	v_cmpx_lt_i16_e64 0x7f, v164
	s_xor_b32 s34, exec_lo, s34
	s_cbranch_execnz .LBB4_9483
; %bb.9278:                             ;   in Loop: Header=BB4_8848 Depth=3
	s_or_saveexec_b32 s34, s34
	v_mov_b32_e32 v163, s31
	s_xor_b32 exec_lo, exec_lo, s34
	s_cbranch_execnz .LBB4_9486
.LBB4_9279:                             ;   in Loop: Header=BB4_8848 Depth=3
	s_or_b32 exec_lo, exec_lo, s34
	s_and_saveexec_b32 s31, s14
	s_cbranch_execz .LBB4_9281
.LBB4_9280:                             ;   in Loop: Header=BB4_8848 Depth=3
	v_bfe_u32 v163, v11, 16, 2
	v_lshlrev_b32_e32 v166, 8, v11
	s_delay_alu instid0(VALU_DEP_2) | instskip(NEXT) | instid1(VALU_DEP_1)
	v_clz_i32_u32_e32 v164, v163
	v_min_u32_e32 v164, 32, v164
	s_delay_alu instid0(VALU_DEP_1) | instskip(SKIP_1) | instid1(VALU_DEP_2)
	v_subrev_nc_u32_e32 v165, 29, v164
	v_sub_nc_u32_e32 v164, 30, v164
	v_lshlrev_b32_e32 v146, v165, v146
	v_bfe_u32 v165, v11, 18, 5
	s_delay_alu instid0(VALU_DEP_2) | instskip(NEXT) | instid1(VALU_DEP_2)
	v_and_b32_e32 v146, 3, v146
	v_cmp_eq_u32_e32 vcc_lo, 0, v165
	v_cndmask_b32_e32 v164, v165, v164, vcc_lo
	s_delay_alu instid0(VALU_DEP_3) | instskip(SKIP_1) | instid1(VALU_DEP_3)
	v_cndmask_b32_e32 v146, v163, v146, vcc_lo
	v_and_b32_e32 v163, 0x80000000, v166
	v_lshl_add_u32 v164, v164, 23, 0x37800000
	s_delay_alu instid0(VALU_DEP_3) | instskip(NEXT) | instid1(VALU_DEP_1)
	v_lshlrev_b32_e32 v146, 21, v146
	v_or3_b32 v163, v163, v164, v146
.LBB4_9281:                             ;   in Loop: Header=BB4_8848 Depth=3
	s_or_b32 exec_lo, exec_lo, s31
	s_delay_alu instid0(VALU_DEP_1) | instskip(NEXT) | instid1(VALU_DEP_1)
	v_add_f32_e32 v146, v134, v163
	v_and_b32_e32 v134, 0x7f800000, v146
	s_delay_alu instid0(VALU_DEP_1)
	v_cmp_ne_u32_e32 vcc_lo, 0x7f800000, v134
	v_mov_b32_e32 v134, 0x80
	s_and_saveexec_b32 s31, vcc_lo
	s_cbranch_execz .LBB4_9289
; %bb.9282:                             ;   in Loop: Header=BB4_8848 Depth=3
	v_mov_b32_e32 v134, 0
	s_mov_b32 s34, exec_lo
	v_cmpx_ne_u32_e32 0, v146
	s_cbranch_execz .LBB4_9288
; %bb.9283:                             ;   in Loop: Header=BB4_8848 Depth=3
	v_bfe_u32 v134, v146, 23, 8
	s_delay_alu instid0(VALU_DEP_1) | instskip(SKIP_1) | instid1(VALU_DEP_2)
	v_sub_nc_u32_e32 v164, 0x70, v134
	v_cmp_gt_u32_e32 vcc_lo, 0x71, v134
	v_dual_cndmask_b32 v164, 0, v164 :: v_dual_and_b32 v163, 0x7fffff, v146
	s_delay_alu instid0(VALU_DEP_1) | instskip(SKIP_2) | instid1(VALU_DEP_4)
	v_or_b32_e32 v165, 0x800000, v163
	v_cmp_eq_u32_e32 vcc_lo, 0, v134
	v_add_nc_u32_e32 v134, 0xffffff91, v134
	v_cndmask_b32_e64 v164, v164, 0x6f, vcc_lo
	s_delay_alu instid0(VALU_DEP_4) | instskip(NEXT) | instid1(VALU_DEP_3)
	v_cndmask_b32_e32 v163, v165, v163, vcc_lo
	v_cndmask_b32_e64 v134, v134, 0xffffff92, vcc_lo
	s_delay_alu instid0(VALU_DEP_3) | instskip(NEXT) | instid1(VALU_DEP_3)
	v_lshl_add_u32 v165, 0x200000, v164, -1
	v_lshrrev_b32_e32 v166, v164, v163
	v_lshlrev_b32_e64 v176, v164, 0x100000
	s_delay_alu instid0(VALU_DEP_4) | instskip(NEXT) | instid1(VALU_DEP_4)
	v_add_nc_u32_e32 v164, v164, v134
	v_and_b32_e32 v163, v165, v163
	s_delay_alu instid0(VALU_DEP_4) | instskip(NEXT) | instid1(VALU_DEP_2)
	v_bfe_u32 v167, v166, 21, 1
	v_cmp_eq_u32_e64 s14, v163, v176
	s_delay_alu instid0(VALU_DEP_2) | instskip(NEXT) | instid1(VALU_DEP_1)
	v_add_nc_u32_e32 v165, -1, v167
	v_cndmask_b32_e64 v163, 0, v165, s14
	v_lshrrev_b32_e32 v165, 23, v166
	s_mov_b32 s14, exec_lo
	s_delay_alu instid0(VALU_DEP_2) | instskip(NEXT) | instid1(VALU_DEP_2)
	v_add_nc_u32_e32 v163, v163, v166
	v_xor_b32_e32 v165, 1, v165
	s_delay_alu instid0(VALU_DEP_2) | instskip(NEXT) | instid1(VALU_DEP_1)
	v_and_b32_e32 v134, 0x1fffff, v163
	v_add_nc_u32_e32 v163, v134, v166
                                        ; implicit-def: $vgpr134
	s_delay_alu instid0(VALU_DEP_3)
	v_cmpx_ne_u32_e64 v164, v165
	s_xor_b32 s14, exec_lo, s14
; %bb.9284:                             ;   in Loop: Header=BB4_8848 Depth=3
	s_delay_alu instid0(VALU_DEP_2) | instskip(SKIP_2) | instid1(VALU_DEP_2)
	v_cmp_lt_u32_e32 vcc_lo, 0xffffff, v163
	v_sub_nc_u32_e32 v134, v164, v165
	v_cndmask_b32_e64 v164, 0, 1, vcc_lo
	v_add_co_ci_u32_e32 v134, vcc_lo, 0, v134, vcc_lo
	s_delay_alu instid0(VALU_DEP_2)
	v_lshrrev_b32_e32 v163, v164, v163
; %bb.9285:                             ;   in Loop: Header=BB4_8848 Depth=3
	s_and_not1_saveexec_b32 s14, s14
; %bb.9286:                             ;   in Loop: Header=BB4_8848 Depth=3
	s_delay_alu instid0(VALU_DEP_1)
	v_bfe_u32 v134, v163, 23, 1
; %bb.9287:                             ;   in Loop: Header=BB4_8848 Depth=3
	s_or_b32 exec_lo, exec_lo, s14
	v_lshrrev_b32_e32 v163, 21, v163
	s_delay_alu instid0(VALU_DEP_2) | instskip(SKIP_2) | instid1(VALU_DEP_2)
	v_cmp_gt_i32_e32 vcc_lo, 32, v134
	v_min_i32_e32 v164, 31, v134
	v_lshrrev_b32_e32 v146, 24, v146
	v_dual_cndmask_b32 v163, 3, v163 :: v_dual_lshlrev_b32 v164, 2, v164
	s_delay_alu instid0(VALU_DEP_2) | instskip(NEXT) | instid1(VALU_DEP_2)
	v_and_b32_e32 v146, 0x80, v146
	v_or_b32_e32 v134, v134, v163
	s_delay_alu instid0(VALU_DEP_3) | instskip(NEXT) | instid1(VALU_DEP_2)
	v_and_b32_e32 v164, 0xfc, v164
	v_cmp_ne_u32_e32 vcc_lo, 0, v134
	v_and_b32_e32 v165, 3, v163
	s_delay_alu instid0(VALU_DEP_1) | instskip(NEXT) | instid1(VALU_DEP_1)
	v_or3_b32 v146, v164, v146, v165
	v_cndmask_b32_e32 v134, 0, v146, vcc_lo
.LBB4_9288:                             ;   in Loop: Header=BB4_8848 Depth=3
	s_or_b32 exec_lo, exec_lo, s34
.LBB4_9289:                             ;   in Loop: Header=BB4_8848 Depth=3
	s_delay_alu instid0(SALU_CYCLE_1) | instskip(SKIP_3) | instid1(VALU_DEP_1)
	s_or_b32 exec_lo, exec_lo, s31
	v_lshrrev_b32_e32 v163, 24, v144
	s_mov_b32 s14, 0
	s_mov_b32 s34, exec_lo
                                        ; implicit-def: $sgpr31
	v_cmpx_lt_i16_e64 0x7f, v163
	s_xor_b32 s34, exec_lo, s34
	s_cbranch_execnz .LBB4_9487
; %bb.9290:                             ;   in Loop: Header=BB4_8848 Depth=3
	s_or_saveexec_b32 s34, s34
	v_mov_b32_e32 v146, s31
	s_xor_b32 exec_lo, exec_lo, s34
	s_cbranch_execnz .LBB4_9490
.LBB4_9291:                             ;   in Loop: Header=BB4_8848 Depth=3
	s_or_b32 exec_lo, exec_lo, s34
	s_and_saveexec_b32 s31, s14
	s_cbranch_execz .LBB4_9293
.LBB4_9292:                             ;   in Loop: Header=BB4_8848 Depth=3
	v_bfe_u32 v146, v144, 24, 2
	s_delay_alu instid0(VALU_DEP_1) | instskip(NEXT) | instid1(VALU_DEP_1)
	v_clz_i32_u32_e32 v164, v146
	v_min_u32_e32 v164, 32, v164
	s_delay_alu instid0(VALU_DEP_1) | instskip(SKIP_1) | instid1(VALU_DEP_2)
	v_subrev_nc_u32_e32 v165, 29, v164
	v_sub_nc_u32_e32 v164, 30, v164
	v_lshlrev_b32_e32 v163, v165, v163
	v_bfe_u32 v165, v144, 26, 5
	v_and_b32_e32 v144, 0x80000000, v144
	s_delay_alu instid0(VALU_DEP_2) | instskip(NEXT) | instid1(VALU_DEP_4)
	v_cmp_eq_u32_e32 vcc_lo, 0, v165
	v_dual_cndmask_b32 v164, v165, v164 :: v_dual_and_b32 v163, 3, v163
	s_delay_alu instid0(VALU_DEP_1) | instskip(NEXT) | instid1(VALU_DEP_2)
	v_cndmask_b32_e32 v146, v146, v163, vcc_lo
	v_lshl_add_u32 v163, v164, 23, 0x37800000
	s_delay_alu instid0(VALU_DEP_2) | instskip(NEXT) | instid1(VALU_DEP_1)
	v_lshlrev_b32_e32 v146, 21, v146
	v_or3_b32 v146, v144, v163, v146
.LBB4_9293:                             ;   in Loop: Header=BB4_8848 Depth=3
	s_or_b32 exec_lo, exec_lo, s31
	v_lshrrev_b32_e32 v144, 24, v11
	s_mov_b32 s14, 0
	s_mov_b32 s34, exec_lo
                                        ; implicit-def: $sgpr31
	s_delay_alu instid0(VALU_DEP_1)
	v_cmpx_lt_i16_e64 0x7f, v144
	s_xor_b32 s34, exec_lo, s34
	s_cbranch_execnz .LBB4_9491
; %bb.9294:                             ;   in Loop: Header=BB4_8848 Depth=3
	s_or_saveexec_b32 s34, s34
	v_mov_b32_e32 v163, s31
	s_xor_b32 exec_lo, exec_lo, s34
	s_cbranch_execnz .LBB4_9494
.LBB4_9295:                             ;   in Loop: Header=BB4_8848 Depth=3
	s_or_b32 exec_lo, exec_lo, s34
	s_and_saveexec_b32 s31, s14
	s_cbranch_execz .LBB4_9297
.LBB4_9296:                             ;   in Loop: Header=BB4_8848 Depth=3
	v_bfe_u32 v163, v11, 24, 2
	s_delay_alu instid0(VALU_DEP_1) | instskip(NEXT) | instid1(VALU_DEP_1)
	v_clz_i32_u32_e32 v164, v163
	v_min_u32_e32 v164, 32, v164
	s_delay_alu instid0(VALU_DEP_1) | instskip(SKIP_1) | instid1(VALU_DEP_2)
	v_subrev_nc_u32_e32 v165, 29, v164
	v_sub_nc_u32_e32 v164, 30, v164
	v_lshlrev_b32_e32 v144, v165, v144
	v_bfe_u32 v165, v11, 26, 5
	v_and_b32_e32 v11, 0x80000000, v11
	s_delay_alu instid0(VALU_DEP_3) | instskip(NEXT) | instid1(VALU_DEP_3)
	v_and_b32_e32 v144, 3, v144
	v_cmp_eq_u32_e32 vcc_lo, 0, v165
	v_cndmask_b32_e32 v164, v165, v164, vcc_lo
	s_delay_alu instid0(VALU_DEP_3) | instskip(NEXT) | instid1(VALU_DEP_2)
	v_cndmask_b32_e32 v144, v163, v144, vcc_lo
	v_lshl_add_u32 v163, v164, 23, 0x37800000
	s_delay_alu instid0(VALU_DEP_2) | instskip(NEXT) | instid1(VALU_DEP_1)
	v_lshlrev_b32_e32 v144, 21, v144
	v_or3_b32 v163, v11, v163, v144
.LBB4_9297:                             ;   in Loop: Header=BB4_8848 Depth=3
	s_or_b32 exec_lo, exec_lo, s31
	s_delay_alu instid0(VALU_DEP_1) | instskip(NEXT) | instid1(VALU_DEP_1)
	v_add_f32_e32 v11, v146, v163
	v_and_b32_e32 v144, 0x7f800000, v11
	s_delay_alu instid0(VALU_DEP_1)
	v_cmp_ne_u32_e32 vcc_lo, 0x7f800000, v144
	v_mov_b32_e32 v144, 0x8000
	s_and_saveexec_b32 s31, vcc_lo
	s_cbranch_execz .LBB4_8847
; %bb.9298:                             ;   in Loop: Header=BB4_8848 Depth=3
	v_mov_b32_e32 v144, 0
	s_mov_b32 s34, exec_lo
	v_cmpx_ne_u32_e32 0, v11
	s_cbranch_execz .LBB4_8846
; %bb.9299:                             ;   in Loop: Header=BB4_8848 Depth=3
	v_bfe_u32 v144, v11, 23, 8
	v_and_b32_e32 v146, 0x7fffff, v11
	s_delay_alu instid0(VALU_DEP_2) | instskip(SKIP_1) | instid1(VALU_DEP_3)
	v_sub_nc_u32_e32 v163, 0x70, v144
	v_cmp_gt_u32_e32 vcc_lo, 0x71, v144
	v_or_b32_e32 v164, 0x800000, v146
	s_delay_alu instid0(VALU_DEP_3) | instskip(SKIP_2) | instid1(VALU_DEP_4)
	v_cndmask_b32_e32 v163, 0, v163, vcc_lo
	v_cmp_eq_u32_e32 vcc_lo, 0, v144
	v_add_nc_u32_e32 v144, 0xffffff91, v144
	v_cndmask_b32_e32 v146, v164, v146, vcc_lo
	s_delay_alu instid0(VALU_DEP_4) | instskip(NEXT) | instid1(VALU_DEP_3)
	v_cndmask_b32_e64 v163, v163, 0x6f, vcc_lo
	v_cndmask_b32_e64 v144, v144, 0xffffff92, vcc_lo
	s_delay_alu instid0(VALU_DEP_2) | instskip(SKIP_2) | instid1(VALU_DEP_4)
	v_lshrrev_b32_e32 v165, v163, v146
	v_lshl_add_u32 v164, 0x200000, v163, -1
	v_lshlrev_b32_e64 v167, v163, 0x100000
	v_add_nc_u32_e32 v163, v163, v144
	s_delay_alu instid0(VALU_DEP_4) | instskip(NEXT) | instid1(VALU_DEP_4)
	v_bfe_u32 v166, v165, 21, 1
	v_and_b32_e32 v146, v164, v146
	s_delay_alu instid0(VALU_DEP_2) | instskip(NEXT) | instid1(VALU_DEP_2)
	v_add_nc_u32_e32 v164, -1, v166
	v_cmp_eq_u32_e64 s14, v146, v167
	s_delay_alu instid0(VALU_DEP_1) | instskip(SKIP_2) | instid1(VALU_DEP_2)
	v_cndmask_b32_e64 v146, 0, v164, s14
	v_lshrrev_b32_e32 v164, 23, v165
	s_mov_b32 s14, exec_lo
	v_add_nc_u32_e32 v146, v146, v165
	s_delay_alu instid0(VALU_DEP_2) | instskip(NEXT) | instid1(VALU_DEP_2)
	v_xor_b32_e32 v164, 1, v164
	v_and_b32_e32 v144, 0x1fffff, v146
	s_delay_alu instid0(VALU_DEP_1) | instskip(NEXT) | instid1(VALU_DEP_3)
	v_add_nc_u32_e32 v146, v144, v165
                                        ; implicit-def: $vgpr144
	v_cmpx_ne_u32_e64 v163, v164
	s_xor_b32 s14, exec_lo, s14
; %bb.9300:                             ;   in Loop: Header=BB4_8848 Depth=3
	s_delay_alu instid0(VALU_DEP_2) | instskip(SKIP_2) | instid1(VALU_DEP_2)
	v_cmp_lt_u32_e32 vcc_lo, 0xffffff, v146
	v_sub_nc_u32_e32 v144, v163, v164
	v_cndmask_b32_e64 v163, 0, 1, vcc_lo
	v_add_co_ci_u32_e32 v144, vcc_lo, 0, v144, vcc_lo
	s_delay_alu instid0(VALU_DEP_2)
	v_lshrrev_b32_e32 v146, v163, v146
; %bb.9301:                             ;   in Loop: Header=BB4_8848 Depth=3
	s_and_not1_saveexec_b32 s14, s14
	s_cbranch_execz .LBB4_8845
; %bb.9302:                             ;   in Loop: Header=BB4_8848 Depth=3
	s_delay_alu instid0(VALU_DEP_1)
	v_bfe_u32 v144, v146, 23, 1
	s_branch .LBB4_8845
.LBB4_9303:                             ;   in Loop: Header=BB4_8848 Depth=3
	s_mov_b32 s14, -1
	s_mov_b32 s36, exec_lo
                                        ; implicit-def: $sgpr34
	v_cmpx_eq_u16_e64 0x80, v134
; %bb.9304:                             ;   in Loop: Header=BB4_8848 Depth=3
	s_mov_b32 s34, 0x7f800001
	s_xor_b32 s14, exec_lo, -1
; %bb.9305:                             ;   in Loop: Header=BB4_8848 Depth=3
	s_or_b32 exec_lo, exec_lo, s36
	s_delay_alu instid0(SALU_CYCLE_1)
	s_and_b32 s14, s14, exec_lo
                                        ; implicit-def: $vgpr134
	s_or_saveexec_b32 s35, s35
	v_mov_b32_e32 v133, s34
	s_xor_b32 exec_lo, exec_lo, s35
	s_cbranch_execz .LBB4_8859
.LBB4_9306:                             ;   in Loop: Header=BB4_8848 Depth=3
	v_cmp_ne_u16_e64 vcc_lo, 0, v134
	v_mov_b32_e32 v133, 0
	s_and_not1_b32 s14, s14, exec_lo
	s_delay_alu instid0(VALU_DEP_2) | instskip(NEXT) | instid1(SALU_CYCLE_1)
	s_and_b32 vcc_lo, vcc_lo, exec_lo
	s_or_b32 s14, s14, vcc_lo
	s_or_b32 exec_lo, exec_lo, s35
	s_and_saveexec_b32 s34, s14
	s_cbranch_execnz .LBB4_8860
	s_branch .LBB4_8861
.LBB4_9307:                             ;   in Loop: Header=BB4_8848 Depth=3
	s_mov_b32 s14, -1
	s_mov_b32 s36, exec_lo
                                        ; implicit-def: $sgpr34
	v_cmpx_eq_u16_e64 0x80, v134
; %bb.9308:                             ;   in Loop: Header=BB4_8848 Depth=3
	s_mov_b32 s34, 0x7f800001
	s_xor_b32 s14, exec_lo, -1
; %bb.9309:                             ;   in Loop: Header=BB4_8848 Depth=3
	s_or_b32 exec_lo, exec_lo, s36
	s_delay_alu instid0(SALU_CYCLE_1)
	s_and_b32 s14, s14, exec_lo
	s_or_saveexec_b32 s35, s35
	v_mov_b32_e32 v135, s34
	s_xor_b32 exec_lo, exec_lo, s35
	s_cbranch_execz .LBB4_8871
.LBB4_9310:                             ;   in Loop: Header=BB4_8848 Depth=3
	v_cmp_ne_u16_e64 vcc_lo, 0, v134
	v_mov_b32_e32 v135, 0
	s_and_not1_b32 s14, s14, exec_lo
	s_delay_alu instid0(VALU_DEP_2) | instskip(NEXT) | instid1(SALU_CYCLE_1)
	s_and_b32 vcc_lo, vcc_lo, exec_lo
	s_or_b32 s14, s14, vcc_lo
	s_or_b32 exec_lo, exec_lo, s35
	s_and_saveexec_b32 s34, s14
	s_cbranch_execnz .LBB4_8872
	s_branch .LBB4_8873
.LBB4_9311:                             ;   in Loop: Header=BB4_8848 Depth=3
	s_mov_b32 s14, -1
	s_mov_b32 s36, exec_lo
                                        ; implicit-def: $sgpr34
	v_cmpx_eq_u16_e64 0x80, v144
; %bb.9312:                             ;   in Loop: Header=BB4_8848 Depth=3
	s_mov_b32 s34, 0x7f800001
	s_xor_b32 s14, exec_lo, -1
; %bb.9313:                             ;   in Loop: Header=BB4_8848 Depth=3
	s_or_b32 exec_lo, exec_lo, s36
	s_delay_alu instid0(SALU_CYCLE_1)
	s_and_b32 s14, s14, exec_lo
                                        ; implicit-def: $vgpr144
	s_or_saveexec_b32 s35, s35
	v_mov_b32_e32 v135, s34
	s_xor_b32 exec_lo, exec_lo, s35
	s_cbranch_execz .LBB4_8883
.LBB4_9314:                             ;   in Loop: Header=BB4_8848 Depth=3
	v_cmp_ne_u16_e64 vcc_lo, 0, v144
	v_mov_b32_e32 v135, 0
	s_and_not1_b32 s14, s14, exec_lo
	s_delay_alu instid0(VALU_DEP_2) | instskip(NEXT) | instid1(SALU_CYCLE_1)
	s_and_b32 vcc_lo, vcc_lo, exec_lo
	s_or_b32 s14, s14, vcc_lo
	s_or_b32 exec_lo, exec_lo, s35
	s_and_saveexec_b32 s34, s14
	s_cbranch_execnz .LBB4_8884
	s_branch .LBB4_8885
.LBB4_9315:                             ;   in Loop: Header=BB4_8848 Depth=3
	s_mov_b32 s14, -1
	s_mov_b32 s36, exec_lo
                                        ; implicit-def: $sgpr34
	v_cmpx_eq_u16_e64 0x80, v134
; %bb.9316:                             ;   in Loop: Header=BB4_8848 Depth=3
	s_mov_b32 s34, 0x7f800001
	s_xor_b32 s14, exec_lo, -1
; %bb.9317:                             ;   in Loop: Header=BB4_8848 Depth=3
	s_or_b32 exec_lo, exec_lo, s36
	s_delay_alu instid0(SALU_CYCLE_1)
	s_and_b32 s14, s14, exec_lo
	s_or_saveexec_b32 s35, s35
	v_mov_b32_e32 v135, s34
	s_xor_b32 exec_lo, exec_lo, s35
	s_cbranch_execz .LBB4_8895
.LBB4_9318:                             ;   in Loop: Header=BB4_8848 Depth=3
	v_cmp_ne_u16_e64 vcc_lo, 0, v134
	v_mov_b32_e32 v135, 0
	s_and_not1_b32 s14, s14, exec_lo
	s_delay_alu instid0(VALU_DEP_2) | instskip(NEXT) | instid1(SALU_CYCLE_1)
	s_and_b32 vcc_lo, vcc_lo, exec_lo
	s_or_b32 s14, s14, vcc_lo
	s_or_b32 exec_lo, exec_lo, s35
	s_and_saveexec_b32 s34, s14
	s_cbranch_execnz .LBB4_8896
	s_branch .LBB4_8897
.LBB4_9319:                             ;   in Loop: Header=BB4_8848 Depth=3
	s_mov_b32 s14, -1
	s_mov_b32 s36, exec_lo
                                        ; implicit-def: $sgpr34
	v_cmpx_eq_u16_e64 0x80, v134
; %bb.9320:                             ;   in Loop: Header=BB4_8848 Depth=3
	s_mov_b32 s34, 0x7f800001
	s_xor_b32 s14, exec_lo, -1
; %bb.9321:                             ;   in Loop: Header=BB4_8848 Depth=3
	s_or_b32 exec_lo, exec_lo, s36
	s_delay_alu instid0(SALU_CYCLE_1)
	s_and_b32 s14, s14, exec_lo
                                        ; implicit-def: $vgpr134
	s_or_saveexec_b32 s35, s35
	v_mov_b32_e32 v8, s34
	s_xor_b32 exec_lo, exec_lo, s35
	s_cbranch_execz .LBB4_8907
.LBB4_9322:                             ;   in Loop: Header=BB4_8848 Depth=3
	v_cmp_ne_u16_e64 vcc_lo, 0, v134
	v_mov_b32_e32 v8, 0
	s_and_not1_b32 s14, s14, exec_lo
	s_delay_alu instid0(VALU_DEP_2) | instskip(NEXT) | instid1(SALU_CYCLE_1)
	s_and_b32 vcc_lo, vcc_lo, exec_lo
	s_or_b32 s14, s14, vcc_lo
	s_or_b32 exec_lo, exec_lo, s35
	s_and_saveexec_b32 s34, s14
	s_cbranch_execnz .LBB4_8908
	s_branch .LBB4_8909
.LBB4_9323:                             ;   in Loop: Header=BB4_8848 Depth=3
	s_mov_b32 s14, -1
	s_mov_b32 s36, exec_lo
                                        ; implicit-def: $sgpr34
	v_cmpx_eq_u16_e32 0x80, v8
; %bb.9324:                             ;   in Loop: Header=BB4_8848 Depth=3
	s_mov_b32 s34, 0x7f800001
	s_xor_b32 s14, exec_lo, -1
; %bb.9325:                             ;   in Loop: Header=BB4_8848 Depth=3
	s_or_b32 exec_lo, exec_lo, s36
	s_delay_alu instid0(SALU_CYCLE_1)
	s_and_b32 s14, s14, exec_lo
	s_or_saveexec_b32 s35, s35
	v_mov_b32_e32 v134, s34
	s_xor_b32 exec_lo, exec_lo, s35
	s_cbranch_execz .LBB4_8919
.LBB4_9326:                             ;   in Loop: Header=BB4_8848 Depth=3
	v_cmp_ne_u16_e32 vcc_lo, 0, v8
	v_mov_b32_e32 v134, 0
	s_and_not1_b32 s14, s14, exec_lo
	s_and_b32 vcc_lo, vcc_lo, exec_lo
	s_delay_alu instid0(SALU_CYCLE_1)
	s_or_b32 s14, s14, vcc_lo
	s_or_b32 exec_lo, exec_lo, s35
	s_and_saveexec_b32 s34, s14
	s_cbranch_execnz .LBB4_8920
	s_branch .LBB4_8921
.LBB4_9327:                             ;   in Loop: Header=BB4_8848 Depth=3
	s_mov_b32 s14, -1
	s_mov_b32 s36, exec_lo
                                        ; implicit-def: $sgpr34
	v_cmpx_eq_u16_e64 0x80, v135
; %bb.9328:                             ;   in Loop: Header=BB4_8848 Depth=3
	s_mov_b32 s34, 0x7f800001
	s_xor_b32 s14, exec_lo, -1
; %bb.9329:                             ;   in Loop: Header=BB4_8848 Depth=3
	s_or_b32 exec_lo, exec_lo, s36
	s_delay_alu instid0(SALU_CYCLE_1)
	s_and_b32 s14, s14, exec_lo
                                        ; implicit-def: $vgpr135
	s_or_saveexec_b32 s35, s35
	v_mov_b32_e32 v134, s34
	s_xor_b32 exec_lo, exec_lo, s35
	s_cbranch_execz .LBB4_8931
.LBB4_9330:                             ;   in Loop: Header=BB4_8848 Depth=3
	v_cmp_ne_u16_e64 vcc_lo, 0, v135
	v_mov_b32_e32 v134, 0
	s_and_not1_b32 s14, s14, exec_lo
	s_delay_alu instid0(VALU_DEP_2) | instskip(NEXT) | instid1(SALU_CYCLE_1)
	s_and_b32 vcc_lo, vcc_lo, exec_lo
	s_or_b32 s14, s14, vcc_lo
	s_or_b32 exec_lo, exec_lo, s35
	s_and_saveexec_b32 s34, s14
	s_cbranch_execnz .LBB4_8932
	s_branch .LBB4_8933
.LBB4_9331:                             ;   in Loop: Header=BB4_8848 Depth=3
	s_mov_b32 s14, -1
	s_mov_b32 s36, exec_lo
                                        ; implicit-def: $sgpr34
	v_cmpx_eq_u16_e32 0x80, v8
; %bb.9332:                             ;   in Loop: Header=BB4_8848 Depth=3
	s_mov_b32 s34, 0x7f800001
	s_xor_b32 s14, exec_lo, -1
; %bb.9333:                             ;   in Loop: Header=BB4_8848 Depth=3
	s_or_b32 exec_lo, exec_lo, s36
	s_delay_alu instid0(SALU_CYCLE_1)
	s_and_b32 s14, s14, exec_lo
	s_or_saveexec_b32 s35, s35
	v_mov_b32_e32 v134, s34
	s_xor_b32 exec_lo, exec_lo, s35
	s_cbranch_execz .LBB4_8943
.LBB4_9334:                             ;   in Loop: Header=BB4_8848 Depth=3
	v_cmp_ne_u16_e32 vcc_lo, 0, v8
	v_mov_b32_e32 v134, 0
	s_and_not1_b32 s14, s14, exec_lo
	s_and_b32 vcc_lo, vcc_lo, exec_lo
	s_delay_alu instid0(SALU_CYCLE_1)
	s_or_b32 s14, s14, vcc_lo
	s_or_b32 exec_lo, exec_lo, s35
	s_and_saveexec_b32 s34, s14
	s_cbranch_execnz .LBB4_8944
	s_branch .LBB4_8945
.LBB4_9335:                             ;   in Loop: Header=BB4_8848 Depth=3
	s_mov_b32 s14, -1
	s_mov_b32 s36, exec_lo
                                        ; implicit-def: $sgpr34
	v_cmpx_eq_u16_e32 0x80, v9
; %bb.9336:                             ;   in Loop: Header=BB4_8848 Depth=3
	s_mov_b32 s34, 0x7f800001
	s_xor_b32 s14, exec_lo, -1
; %bb.9337:                             ;   in Loop: Header=BB4_8848 Depth=3
	s_or_b32 exec_lo, exec_lo, s36
	s_delay_alu instid0(SALU_CYCLE_1)
	s_and_b32 s14, s14, exec_lo
                                        ; implicit-def: $vgpr9
	s_or_saveexec_b32 s35, s35
	v_mov_b32_e32 v8, s34
	s_xor_b32 exec_lo, exec_lo, s35
	s_cbranch_execz .LBB4_8955
.LBB4_9338:                             ;   in Loop: Header=BB4_8848 Depth=3
	v_cmp_ne_u16_e32 vcc_lo, 0, v9
	v_mov_b32_e32 v8, 0
	s_and_not1_b32 s14, s14, exec_lo
	s_and_b32 vcc_lo, vcc_lo, exec_lo
	s_delay_alu instid0(SALU_CYCLE_1)
	s_or_b32 s14, s14, vcc_lo
	s_or_b32 exec_lo, exec_lo, s35
	s_and_saveexec_b32 s34, s14
	s_cbranch_execnz .LBB4_8956
	s_branch .LBB4_8957
.LBB4_9339:                             ;   in Loop: Header=BB4_8848 Depth=3
	s_mov_b32 s14, -1
	s_mov_b32 s36, exec_lo
                                        ; implicit-def: $sgpr34
	v_cmpx_eq_u16_e32 0x80, v8
; %bb.9340:                             ;   in Loop: Header=BB4_8848 Depth=3
	s_mov_b32 s34, 0x7f800001
	s_xor_b32 s14, exec_lo, -1
; %bb.9341:                             ;   in Loop: Header=BB4_8848 Depth=3
	s_or_b32 exec_lo, exec_lo, s36
	s_delay_alu instid0(SALU_CYCLE_1)
	s_and_b32 s14, s14, exec_lo
	s_or_saveexec_b32 s35, s35
	v_mov_b32_e32 v9, s34
	s_xor_b32 exec_lo, exec_lo, s35
	s_cbranch_execz .LBB4_8967
.LBB4_9342:                             ;   in Loop: Header=BB4_8848 Depth=3
	v_cmp_ne_u16_e32 vcc_lo, 0, v8
	v_mov_b32_e32 v9, 0
	s_and_not1_b32 s14, s14, exec_lo
	s_and_b32 vcc_lo, vcc_lo, exec_lo
	s_delay_alu instid0(SALU_CYCLE_1)
	s_or_b32 s14, s14, vcc_lo
	s_or_b32 exec_lo, exec_lo, s35
	s_and_saveexec_b32 s34, s14
	s_cbranch_execnz .LBB4_8968
	s_branch .LBB4_8969
.LBB4_9343:                             ;   in Loop: Header=BB4_8848 Depth=3
	s_mov_b32 s14, -1
	s_mov_b32 s36, exec_lo
                                        ; implicit-def: $sgpr34
	v_cmpx_eq_u16_e64 0x80, v134
; %bb.9344:                             ;   in Loop: Header=BB4_8848 Depth=3
	s_mov_b32 s34, 0x7f800001
	s_xor_b32 s14, exec_lo, -1
; %bb.9345:                             ;   in Loop: Header=BB4_8848 Depth=3
	s_or_b32 exec_lo, exec_lo, s36
	s_delay_alu instid0(SALU_CYCLE_1)
	s_and_b32 s14, s14, exec_lo
                                        ; implicit-def: $vgpr134
	s_or_saveexec_b32 s35, s35
	v_mov_b32_e32 v9, s34
	s_xor_b32 exec_lo, exec_lo, s35
	s_cbranch_execz .LBB4_8979
.LBB4_9346:                             ;   in Loop: Header=BB4_8848 Depth=3
	v_cmp_ne_u16_e64 vcc_lo, 0, v134
	v_mov_b32_e32 v9, 0
	s_and_not1_b32 s14, s14, exec_lo
	s_delay_alu instid0(VALU_DEP_2) | instskip(NEXT) | instid1(SALU_CYCLE_1)
	s_and_b32 vcc_lo, vcc_lo, exec_lo
	s_or_b32 s14, s14, vcc_lo
	s_or_b32 exec_lo, exec_lo, s35
	s_and_saveexec_b32 s34, s14
	s_cbranch_execnz .LBB4_8980
	s_branch .LBB4_8981
.LBB4_9347:                             ;   in Loop: Header=BB4_8848 Depth=3
	s_mov_b32 s14, -1
	s_mov_b32 s36, exec_lo
                                        ; implicit-def: $sgpr34
	v_cmpx_eq_u16_e32 0x80, v8
; %bb.9348:                             ;   in Loop: Header=BB4_8848 Depth=3
	s_mov_b32 s34, 0x7f800001
	s_xor_b32 s14, exec_lo, -1
; %bb.9349:                             ;   in Loop: Header=BB4_8848 Depth=3
	s_or_b32 exec_lo, exec_lo, s36
	s_delay_alu instid0(SALU_CYCLE_1)
	s_and_b32 s14, s14, exec_lo
	s_or_saveexec_b32 s35, s35
	v_mov_b32_e32 v9, s34
	s_xor_b32 exec_lo, exec_lo, s35
	s_cbranch_execz .LBB4_8991
.LBB4_9350:                             ;   in Loop: Header=BB4_8848 Depth=3
	v_cmp_ne_u16_e32 vcc_lo, 0, v8
	v_mov_b32_e32 v9, 0
	s_and_not1_b32 s14, s14, exec_lo
	s_and_b32 vcc_lo, vcc_lo, exec_lo
	s_delay_alu instid0(SALU_CYCLE_1)
	s_or_b32 s14, s14, vcc_lo
	s_or_b32 exec_lo, exec_lo, s35
	s_and_saveexec_b32 s34, s14
	s_cbranch_execnz .LBB4_8992
	s_branch .LBB4_8993
.LBB4_9351:                             ;   in Loop: Header=BB4_8848 Depth=3
	s_mov_b32 s14, -1
	s_mov_b32 s36, exec_lo
                                        ; implicit-def: $sgpr34
	v_cmpx_eq_u16_e32 0x80, v9
; %bb.9352:                             ;   in Loop: Header=BB4_8848 Depth=3
	s_mov_b32 s34, 0x7f800001
	s_xor_b32 s14, exec_lo, -1
; %bb.9353:                             ;   in Loop: Header=BB4_8848 Depth=3
	s_or_b32 exec_lo, exec_lo, s36
	s_delay_alu instid0(SALU_CYCLE_1)
	s_and_b32 s14, s14, exec_lo
                                        ; implicit-def: $vgpr9
	s_or_saveexec_b32 s35, s35
	v_mov_b32_e32 v8, s34
	s_xor_b32 exec_lo, exec_lo, s35
	s_cbranch_execz .LBB4_9003
.LBB4_9354:                             ;   in Loop: Header=BB4_8848 Depth=3
	v_cmp_ne_u16_e32 vcc_lo, 0, v9
	v_mov_b32_e32 v8, 0
	s_and_not1_b32 s14, s14, exec_lo
	s_and_b32 vcc_lo, vcc_lo, exec_lo
	s_delay_alu instid0(SALU_CYCLE_1)
	s_or_b32 s14, s14, vcc_lo
	s_or_b32 exec_lo, exec_lo, s35
	s_and_saveexec_b32 s34, s14
	s_cbranch_execnz .LBB4_9004
	s_branch .LBB4_9005
.LBB4_9355:                             ;   in Loop: Header=BB4_8848 Depth=3
	s_mov_b32 s14, -1
	s_mov_b32 s36, exec_lo
                                        ; implicit-def: $sgpr34
	v_cmpx_eq_u16_e32 0x80, v8
; %bb.9356:                             ;   in Loop: Header=BB4_8848 Depth=3
	s_mov_b32 s34, 0x7f800001
	s_xor_b32 s14, exec_lo, -1
; %bb.9357:                             ;   in Loop: Header=BB4_8848 Depth=3
	s_or_b32 exec_lo, exec_lo, s36
	s_delay_alu instid0(SALU_CYCLE_1)
	s_and_b32 s14, s14, exec_lo
	s_or_saveexec_b32 s35, s35
	v_mov_b32_e32 v9, s34
	s_xor_b32 exec_lo, exec_lo, s35
	s_cbranch_execz .LBB4_9015
.LBB4_9358:                             ;   in Loop: Header=BB4_8848 Depth=3
	v_cmp_ne_u16_e32 vcc_lo, 0, v8
	v_mov_b32_e32 v9, 0
	s_and_not1_b32 s14, s14, exec_lo
	s_and_b32 vcc_lo, vcc_lo, exec_lo
	s_delay_alu instid0(SALU_CYCLE_1)
	s_or_b32 s14, s14, vcc_lo
	s_or_b32 exec_lo, exec_lo, s35
	s_and_saveexec_b32 s34, s14
	s_cbranch_execnz .LBB4_9016
	s_branch .LBB4_9017
.LBB4_9359:                             ;   in Loop: Header=BB4_8848 Depth=3
	s_mov_b32 s14, -1
	s_mov_b32 s36, exec_lo
                                        ; implicit-def: $sgpr34
	v_cmpx_eq_u16_e32 0x80, v10
; %bb.9360:                             ;   in Loop: Header=BB4_8848 Depth=3
	s_mov_b32 s34, 0x7f800001
	s_xor_b32 s14, exec_lo, -1
; %bb.9361:                             ;   in Loop: Header=BB4_8848 Depth=3
	s_or_b32 exec_lo, exec_lo, s36
	s_delay_alu instid0(SALU_CYCLE_1)
	s_and_b32 s14, s14, exec_lo
                                        ; implicit-def: $vgpr10
	s_or_saveexec_b32 s35, s35
	v_mov_b32_e32 v9, s34
	s_xor_b32 exec_lo, exec_lo, s35
	s_cbranch_execz .LBB4_9027
.LBB4_9362:                             ;   in Loop: Header=BB4_8848 Depth=3
	v_cmp_ne_u16_e32 vcc_lo, 0, v10
	v_mov_b32_e32 v9, 0
	s_and_not1_b32 s14, s14, exec_lo
	s_and_b32 vcc_lo, vcc_lo, exec_lo
	s_delay_alu instid0(SALU_CYCLE_1)
	s_or_b32 s14, s14, vcc_lo
	s_or_b32 exec_lo, exec_lo, s35
	s_and_saveexec_b32 s34, s14
	s_cbranch_execnz .LBB4_9028
	s_branch .LBB4_9029
.LBB4_9363:                             ;   in Loop: Header=BB4_8848 Depth=3
	s_mov_b32 s14, -1
	s_mov_b32 s36, exec_lo
                                        ; implicit-def: $sgpr34
	v_cmpx_eq_u16_e32 0x80, v8
; %bb.9364:                             ;   in Loop: Header=BB4_8848 Depth=3
	s_mov_b32 s34, 0x7f800001
	s_xor_b32 s14, exec_lo, -1
; %bb.9365:                             ;   in Loop: Header=BB4_8848 Depth=3
	s_or_b32 exec_lo, exec_lo, s36
	s_delay_alu instid0(SALU_CYCLE_1)
	s_and_b32 s14, s14, exec_lo
	s_or_saveexec_b32 s35, s35
	v_mov_b32_e32 v9, s34
	s_xor_b32 exec_lo, exec_lo, s35
	s_cbranch_execz .LBB4_9039
.LBB4_9366:                             ;   in Loop: Header=BB4_8848 Depth=3
	v_cmp_ne_u16_e32 vcc_lo, 0, v8
	v_mov_b32_e32 v9, 0
	s_and_not1_b32 s14, s14, exec_lo
	s_and_b32 vcc_lo, vcc_lo, exec_lo
	s_delay_alu instid0(SALU_CYCLE_1)
	s_or_b32 s14, s14, vcc_lo
	s_or_b32 exec_lo, exec_lo, s35
	s_and_saveexec_b32 s34, s14
	s_cbranch_execnz .LBB4_9040
	s_branch .LBB4_9041
.LBB4_9367:                             ;   in Loop: Header=BB4_8848 Depth=3
	s_mov_b32 s14, -1
	s_mov_b32 s35, exec_lo
                                        ; implicit-def: $sgpr31
	v_cmpx_eq_u16_e64 0x80, v166
; %bb.9368:                             ;   in Loop: Header=BB4_8848 Depth=3
	s_mov_b32 s31, 0x7f800001
	s_xor_b32 s14, exec_lo, -1
; %bb.9369:                             ;   in Loop: Header=BB4_8848 Depth=3
	s_or_b32 exec_lo, exec_lo, s35
	s_delay_alu instid0(SALU_CYCLE_1)
	s_and_b32 s14, s14, exec_lo
                                        ; implicit-def: $vgpr166
	s_or_saveexec_b32 s34, s34
	v_mov_b32_e32 v165, s31
	s_xor_b32 exec_lo, exec_lo, s34
	s_cbranch_execz .LBB4_9051
.LBB4_9370:                             ;   in Loop: Header=BB4_8848 Depth=3
	v_cmp_ne_u16_e64 vcc_lo, 0, v166
	v_mov_b32_e32 v165, 0
	s_and_not1_b32 s14, s14, exec_lo
	s_delay_alu instid0(VALU_DEP_2) | instskip(NEXT) | instid1(SALU_CYCLE_1)
	s_and_b32 vcc_lo, vcc_lo, exec_lo
	s_or_b32 s14, s14, vcc_lo
	s_or_b32 exec_lo, exec_lo, s34
	s_and_saveexec_b32 s31, s14
	s_cbranch_execnz .LBB4_9052
	s_branch .LBB4_9053
.LBB4_9371:                             ;   in Loop: Header=BB4_8848 Depth=3
	s_mov_b32 s14, -1
	s_mov_b32 s35, exec_lo
                                        ; implicit-def: $sgpr31
	v_cmpx_eq_u16_e64 0x80, v166
; %bb.9372:                             ;   in Loop: Header=BB4_8848 Depth=3
	s_mov_b32 s31, 0x7f800001
	s_xor_b32 s14, exec_lo, -1
; %bb.9373:                             ;   in Loop: Header=BB4_8848 Depth=3
	s_or_b32 exec_lo, exec_lo, s35
	s_delay_alu instid0(SALU_CYCLE_1)
	s_and_b32 s14, s14, exec_lo
                                        ; implicit-def: $vgpr166
	s_or_saveexec_b32 s34, s34
	v_mov_b32_e32 v133, s31
	s_xor_b32 exec_lo, exec_lo, s34
	s_cbranch_execz .LBB4_9055
.LBB4_9374:                             ;   in Loop: Header=BB4_8848 Depth=3
	v_cmp_ne_u16_e64 vcc_lo, 0, v166
	v_mov_b32_e32 v133, 0
	s_and_not1_b32 s14, s14, exec_lo
	s_delay_alu instid0(VALU_DEP_2) | instskip(NEXT) | instid1(SALU_CYCLE_1)
	s_and_b32 vcc_lo, vcc_lo, exec_lo
	s_or_b32 s14, s14, vcc_lo
	s_or_b32 exec_lo, exec_lo, s34
	s_and_saveexec_b32 s31, s14
	s_cbranch_execnz .LBB4_9056
	s_branch .LBB4_9057
.LBB4_9375:                             ;   in Loop: Header=BB4_8848 Depth=3
	s_mov_b32 s14, -1
	s_mov_b32 s35, exec_lo
                                        ; implicit-def: $sgpr31
	v_cmpx_eq_u16_e64 0x80, v166
; %bb.9376:                             ;   in Loop: Header=BB4_8848 Depth=3
	s_mov_b32 s31, 0x7f800001
	s_xor_b32 s14, exec_lo, -1
; %bb.9377:                             ;   in Loop: Header=BB4_8848 Depth=3
	s_or_b32 exec_lo, exec_lo, s35
	s_delay_alu instid0(SALU_CYCLE_1)
	s_and_b32 s14, s14, exec_lo
                                        ; implicit-def: $vgpr166
	s_or_saveexec_b32 s34, s34
	v_mov_b32_e32 v165, s31
	s_xor_b32 exec_lo, exec_lo, s34
	s_cbranch_execz .LBB4_9067
.LBB4_9378:                             ;   in Loop: Header=BB4_8848 Depth=3
	v_cmp_ne_u16_e64 vcc_lo, 0, v166
	v_mov_b32_e32 v165, 0
	s_and_not1_b32 s14, s14, exec_lo
	s_delay_alu instid0(VALU_DEP_2) | instskip(NEXT) | instid1(SALU_CYCLE_1)
	s_and_b32 vcc_lo, vcc_lo, exec_lo
	s_or_b32 s14, s14, vcc_lo
	s_or_b32 exec_lo, exec_lo, s34
	s_and_saveexec_b32 s31, s14
	s_cbranch_execnz .LBB4_9068
	s_branch .LBB4_9069
.LBB4_9379:                             ;   in Loop: Header=BB4_8848 Depth=3
	s_mov_b32 s14, -1
	s_mov_b32 s35, exec_lo
                                        ; implicit-def: $sgpr31
	v_cmpx_eq_u16_e64 0x80, v145
; %bb.9380:                             ;   in Loop: Header=BB4_8848 Depth=3
	s_mov_b32 s31, 0x7f800001
	s_xor_b32 s14, exec_lo, -1
; %bb.9381:                             ;   in Loop: Header=BB4_8848 Depth=3
	s_or_b32 exec_lo, exec_lo, s35
	s_delay_alu instid0(SALU_CYCLE_1)
	s_and_b32 s14, s14, exec_lo
	s_or_saveexec_b32 s34, s34
	v_mov_b32_e32 v166, s31
	s_xor_b32 exec_lo, exec_lo, s34
	s_cbranch_execz .LBB4_9071
.LBB4_9382:                             ;   in Loop: Header=BB4_8848 Depth=3
	v_cmp_ne_u16_e64 vcc_lo, 0, v145
	v_mov_b32_e32 v166, 0
	s_and_not1_b32 s14, s14, exec_lo
	s_delay_alu instid0(VALU_DEP_2) | instskip(NEXT) | instid1(SALU_CYCLE_1)
	s_and_b32 vcc_lo, vcc_lo, exec_lo
	s_or_b32 s14, s14, vcc_lo
	s_or_b32 exec_lo, exec_lo, s34
	s_and_saveexec_b32 s31, s14
	s_cbranch_execnz .LBB4_9072
	s_branch .LBB4_9073
.LBB4_9383:                             ;   in Loop: Header=BB4_8848 Depth=3
	s_mov_b32 s14, -1
	s_mov_b32 s35, exec_lo
                                        ; implicit-def: $sgpr31
	v_cmpx_eq_u16_e64 0x80, v166
; %bb.9384:                             ;   in Loop: Header=BB4_8848 Depth=3
	s_mov_b32 s31, 0x7f800001
	s_xor_b32 s14, exec_lo, -1
; %bb.9385:                             ;   in Loop: Header=BB4_8848 Depth=3
	s_or_b32 exec_lo, exec_lo, s35
	s_delay_alu instid0(SALU_CYCLE_1)
	s_and_b32 s14, s14, exec_lo
                                        ; implicit-def: $vgpr166
	s_or_saveexec_b32 s34, s34
	v_mov_b32_e32 v165, s31
	s_xor_b32 exec_lo, exec_lo, s34
	s_cbranch_execz .LBB4_9083
.LBB4_9386:                             ;   in Loop: Header=BB4_8848 Depth=3
	v_cmp_ne_u16_e64 vcc_lo, 0, v166
	v_mov_b32_e32 v165, 0
	s_and_not1_b32 s14, s14, exec_lo
	s_delay_alu instid0(VALU_DEP_2) | instskip(NEXT) | instid1(SALU_CYCLE_1)
	s_and_b32 vcc_lo, vcc_lo, exec_lo
	s_or_b32 s14, s14, vcc_lo
	s_or_b32 exec_lo, exec_lo, s34
	s_and_saveexec_b32 s31, s14
	s_cbranch_execnz .LBB4_9084
	s_branch .LBB4_9085
.LBB4_9387:                             ;   in Loop: Header=BB4_8848 Depth=3
	s_mov_b32 s14, -1
	s_mov_b32 s35, exec_lo
                                        ; implicit-def: $sgpr31
	v_cmpx_eq_u16_e64 0x80, v167
; %bb.9388:                             ;   in Loop: Header=BB4_8848 Depth=3
	s_mov_b32 s31, 0x7f800001
	s_xor_b32 s14, exec_lo, -1
; %bb.9389:                             ;   in Loop: Header=BB4_8848 Depth=3
	s_or_b32 exec_lo, exec_lo, s35
	s_delay_alu instid0(SALU_CYCLE_1)
	s_and_b32 s14, s14, exec_lo
                                        ; implicit-def: $vgpr167
	s_or_saveexec_b32 s34, s34
	v_mov_b32_e32 v166, s31
	s_xor_b32 exec_lo, exec_lo, s34
	s_cbranch_execz .LBB4_9087
.LBB4_9390:                             ;   in Loop: Header=BB4_8848 Depth=3
	v_cmp_ne_u16_e64 vcc_lo, 0, v167
	v_mov_b32_e32 v166, 0
	s_and_not1_b32 s14, s14, exec_lo
	s_delay_alu instid0(VALU_DEP_2) | instskip(NEXT) | instid1(SALU_CYCLE_1)
	s_and_b32 vcc_lo, vcc_lo, exec_lo
	s_or_b32 s14, s14, vcc_lo
	s_or_b32 exec_lo, exec_lo, s34
	s_and_saveexec_b32 s31, s14
	s_cbranch_execnz .LBB4_9088
	s_branch .LBB4_9089
.LBB4_9391:                             ;   in Loop: Header=BB4_8848 Depth=3
	s_mov_b32 s14, -1
	s_mov_b32 s35, exec_lo
                                        ; implicit-def: $sgpr31
	v_cmpx_eq_u16_e64 0x80, v166
; %bb.9392:                             ;   in Loop: Header=BB4_8848 Depth=3
	s_mov_b32 s31, 0x7f800001
	s_xor_b32 s14, exec_lo, -1
; %bb.9393:                             ;   in Loop: Header=BB4_8848 Depth=3
	s_or_b32 exec_lo, exec_lo, s35
	s_delay_alu instid0(SALU_CYCLE_1)
	s_and_b32 s14, s14, exec_lo
	s_or_saveexec_b32 s34, s34
	v_mov_b32_e32 v165, s31
	s_xor_b32 exec_lo, exec_lo, s34
	s_cbranch_execz .LBB4_9099
.LBB4_9394:                             ;   in Loop: Header=BB4_8848 Depth=3
	v_cmp_ne_u16_e64 vcc_lo, 0, v166
	v_mov_b32_e32 v165, 0
	s_and_not1_b32 s14, s14, exec_lo
	s_delay_alu instid0(VALU_DEP_2) | instskip(NEXT) | instid1(SALU_CYCLE_1)
	s_and_b32 vcc_lo, vcc_lo, exec_lo
	s_or_b32 s14, s14, vcc_lo
	s_or_b32 exec_lo, exec_lo, s34
	s_and_saveexec_b32 s31, s14
	s_cbranch_execnz .LBB4_9100
	s_branch .LBB4_9101
.LBB4_9395:                             ;   in Loop: Header=BB4_8848 Depth=3
	s_mov_b32 s14, -1
	s_mov_b32 s35, exec_lo
                                        ; implicit-def: $sgpr31
	v_cmpx_eq_u16_e64 0x80, v162
; %bb.9396:                             ;   in Loop: Header=BB4_8848 Depth=3
	s_mov_b32 s31, 0x7f800001
	s_xor_b32 s14, exec_lo, -1
; %bb.9397:                             ;   in Loop: Header=BB4_8848 Depth=3
	s_or_b32 exec_lo, exec_lo, s35
	s_delay_alu instid0(SALU_CYCLE_1)
	s_and_b32 s14, s14, exec_lo
	s_or_saveexec_b32 s34, s34
	v_mov_b32_e32 v166, s31
	s_xor_b32 exec_lo, exec_lo, s34
	s_cbranch_execz .LBB4_9103
.LBB4_9398:                             ;   in Loop: Header=BB4_8848 Depth=3
	v_cmp_ne_u16_e64 vcc_lo, 0, v162
	v_mov_b32_e32 v166, 0
	s_and_not1_b32 s14, s14, exec_lo
	s_delay_alu instid0(VALU_DEP_2) | instskip(NEXT) | instid1(SALU_CYCLE_1)
	s_and_b32 vcc_lo, vcc_lo, exec_lo
	s_or_b32 s14, s14, vcc_lo
	s_or_b32 exec_lo, exec_lo, s34
	s_and_saveexec_b32 s31, s14
	s_cbranch_execnz .LBB4_9104
	s_branch .LBB4_9105
.LBB4_9399:                             ;   in Loop: Header=BB4_8848 Depth=3
	s_mov_b32 s14, -1
	s_mov_b32 s35, exec_lo
                                        ; implicit-def: $sgpr31
	v_cmpx_eq_u16_e64 0x80, v162
; %bb.9400:                             ;   in Loop: Header=BB4_8848 Depth=3
	s_mov_b32 s31, 0x7f800001
	s_xor_b32 s14, exec_lo, -1
; %bb.9401:                             ;   in Loop: Header=BB4_8848 Depth=3
	s_or_b32 exec_lo, exec_lo, s35
	s_delay_alu instid0(SALU_CYCLE_1)
	s_and_b32 s14, s14, exec_lo
                                        ; implicit-def: $vgpr162
	s_or_saveexec_b32 s34, s34
	v_mov_b32_e32 v161, s31
	s_xor_b32 exec_lo, exec_lo, s34
	s_cbranch_execz .LBB4_9115
.LBB4_9402:                             ;   in Loop: Header=BB4_8848 Depth=3
	v_cmp_ne_u16_e64 vcc_lo, 0, v162
	v_mov_b32_e32 v161, 0
	s_and_not1_b32 s14, s14, exec_lo
	s_delay_alu instid0(VALU_DEP_2) | instskip(NEXT) | instid1(SALU_CYCLE_1)
	s_and_b32 vcc_lo, vcc_lo, exec_lo
	s_or_b32 s14, s14, vcc_lo
	s_or_b32 exec_lo, exec_lo, s34
	s_and_saveexec_b32 s31, s14
	s_cbranch_execnz .LBB4_9116
	s_branch .LBB4_9117
.LBB4_9403:                             ;   in Loop: Header=BB4_8848 Depth=3
	s_mov_b32 s14, -1
	s_mov_b32 s35, exec_lo
                                        ; implicit-def: $sgpr31
	v_cmpx_eq_u16_e64 0x80, v165
; %bb.9404:                             ;   in Loop: Header=BB4_8848 Depth=3
	s_mov_b32 s31, 0x7f800001
	s_xor_b32 s14, exec_lo, -1
; %bb.9405:                             ;   in Loop: Header=BB4_8848 Depth=3
	s_or_b32 exec_lo, exec_lo, s35
	s_delay_alu instid0(SALU_CYCLE_1)
	s_and_b32 s14, s14, exec_lo
                                        ; implicit-def: $vgpr165
	s_or_saveexec_b32 s34, s34
	v_mov_b32_e32 v162, s31
	s_xor_b32 exec_lo, exec_lo, s34
	s_cbranch_execz .LBB4_9119
.LBB4_9406:                             ;   in Loop: Header=BB4_8848 Depth=3
	v_cmp_ne_u16_e64 vcc_lo, 0, v165
	v_mov_b32_e32 v162, 0
	s_and_not1_b32 s14, s14, exec_lo
	s_delay_alu instid0(VALU_DEP_2) | instskip(NEXT) | instid1(SALU_CYCLE_1)
	s_and_b32 vcc_lo, vcc_lo, exec_lo
	s_or_b32 s14, s14, vcc_lo
	s_or_b32 exec_lo, exec_lo, s34
	s_and_saveexec_b32 s31, s14
	s_cbranch_execnz .LBB4_9120
	s_branch .LBB4_9121
.LBB4_9407:                             ;   in Loop: Header=BB4_8848 Depth=3
	s_mov_b32 s14, -1
	s_mov_b32 s35, exec_lo
                                        ; implicit-def: $sgpr31
	v_cmpx_eq_u16_e64 0x80, v165
; %bb.9408:                             ;   in Loop: Header=BB4_8848 Depth=3
	s_mov_b32 s31, 0x7f800001
	s_xor_b32 s14, exec_lo, -1
; %bb.9409:                             ;   in Loop: Header=BB4_8848 Depth=3
	s_or_b32 exec_lo, exec_lo, s35
	s_delay_alu instid0(SALU_CYCLE_1)
	s_and_b32 s14, s14, exec_lo
	s_or_saveexec_b32 s34, s34
	v_mov_b32_e32 v162, s31
	s_xor_b32 exec_lo, exec_lo, s34
	s_cbranch_execz .LBB4_9131
.LBB4_9410:                             ;   in Loop: Header=BB4_8848 Depth=3
	v_cmp_ne_u16_e64 vcc_lo, 0, v165
	v_mov_b32_e32 v162, 0
	s_and_not1_b32 s14, s14, exec_lo
	s_delay_alu instid0(VALU_DEP_2) | instskip(NEXT) | instid1(SALU_CYCLE_1)
	s_and_b32 vcc_lo, vcc_lo, exec_lo
	s_or_b32 s14, s14, vcc_lo
	s_or_b32 exec_lo, exec_lo, s34
	s_and_saveexec_b32 s31, s14
	s_cbranch_execnz .LBB4_9132
	s_branch .LBB4_9133
.LBB4_9411:                             ;   in Loop: Header=BB4_8848 Depth=3
	s_mov_b32 s14, -1
	s_mov_b32 s35, exec_lo
                                        ; implicit-def: $sgpr31
	v_cmpx_eq_u16_e64 0x80, v165
; %bb.9412:                             ;   in Loop: Header=BB4_8848 Depth=3
	s_mov_b32 s31, 0x7f800001
	s_xor_b32 s14, exec_lo, -1
; %bb.9413:                             ;   in Loop: Header=BB4_8848 Depth=3
	s_or_b32 exec_lo, exec_lo, s35
	s_delay_alu instid0(SALU_CYCLE_1)
	s_and_b32 s14, s14, exec_lo
	s_or_saveexec_b32 s34, s34
	v_mov_b32_e32 v166, s31
	s_xor_b32 exec_lo, exec_lo, s34
	s_cbranch_execz .LBB4_9135
.LBB4_9414:                             ;   in Loop: Header=BB4_8848 Depth=3
	v_cmp_ne_u16_e64 vcc_lo, 0, v165
	v_mov_b32_e32 v166, 0
	s_and_not1_b32 s14, s14, exec_lo
	s_delay_alu instid0(VALU_DEP_2) | instskip(NEXT) | instid1(SALU_CYCLE_1)
	s_and_b32 vcc_lo, vcc_lo, exec_lo
	s_or_b32 s14, s14, vcc_lo
	s_or_b32 exec_lo, exec_lo, s34
	s_and_saveexec_b32 s31, s14
	s_cbranch_execnz .LBB4_9136
	s_branch .LBB4_9137
.LBB4_9415:                             ;   in Loop: Header=BB4_8848 Depth=3
	s_mov_b32 s14, -1
	s_mov_b32 s35, exec_lo
                                        ; implicit-def: $sgpr31
	v_cmpx_eq_u16_e64 0x80, v165
; %bb.9416:                             ;   in Loop: Header=BB4_8848 Depth=3
	s_mov_b32 s31, 0x7f800001
	s_xor_b32 s14, exec_lo, -1
; %bb.9417:                             ;   in Loop: Header=BB4_8848 Depth=3
	s_or_b32 exec_lo, exec_lo, s35
	s_delay_alu instid0(SALU_CYCLE_1)
	s_and_b32 s14, s14, exec_lo
                                        ; implicit-def: $vgpr165
	s_or_saveexec_b32 s34, s34
	v_mov_b32_e32 v160, s31
	s_xor_b32 exec_lo, exec_lo, s34
	s_cbranch_execz .LBB4_9147
.LBB4_9418:                             ;   in Loop: Header=BB4_8848 Depth=3
	v_cmp_ne_u16_e64 vcc_lo, 0, v165
	v_mov_b32_e32 v160, 0
	s_and_not1_b32 s14, s14, exec_lo
	s_delay_alu instid0(VALU_DEP_2) | instskip(NEXT) | instid1(SALU_CYCLE_1)
	s_and_b32 vcc_lo, vcc_lo, exec_lo
	s_or_b32 s14, s14, vcc_lo
	s_or_b32 exec_lo, exec_lo, s34
	v_lshl_or_b32 v163, v163, 16, v164
	s_and_saveexec_b32 s31, s14
	s_cbranch_execnz .LBB4_9148
	s_branch .LBB4_9149
.LBB4_9419:                             ;   in Loop: Header=BB4_8848 Depth=3
	s_mov_b32 s14, -1
	s_mov_b32 s35, exec_lo
                                        ; implicit-def: $sgpr31
	v_cmpx_eq_u16_e64 0x80, v166
; %bb.9420:                             ;   in Loop: Header=BB4_8848 Depth=3
	s_mov_b32 s31, 0x7f800001
	s_xor_b32 s14, exec_lo, -1
; %bb.9421:                             ;   in Loop: Header=BB4_8848 Depth=3
	s_or_b32 exec_lo, exec_lo, s35
	s_delay_alu instid0(SALU_CYCLE_1)
	s_and_b32 s14, s14, exec_lo
                                        ; implicit-def: $vgpr166
	s_or_saveexec_b32 s34, s34
	v_mov_b32_e32 v165, s31
	s_xor_b32 exec_lo, exec_lo, s34
	s_cbranch_execz .LBB4_9151
.LBB4_9422:                             ;   in Loop: Header=BB4_8848 Depth=3
	v_cmp_ne_u16_e64 vcc_lo, 0, v166
	v_mov_b32_e32 v165, 0
	s_and_not1_b32 s14, s14, exec_lo
	s_delay_alu instid0(VALU_DEP_2) | instskip(NEXT) | instid1(SALU_CYCLE_1)
	s_and_b32 vcc_lo, vcc_lo, exec_lo
	s_or_b32 s14, s14, vcc_lo
	s_or_b32 exec_lo, exec_lo, s34
	s_and_saveexec_b32 s31, s14
	s_cbranch_execnz .LBB4_9152
	s_branch .LBB4_9153
.LBB4_9423:                             ;   in Loop: Header=BB4_8848 Depth=3
	s_mov_b32 s14, -1
	s_mov_b32 s35, exec_lo
                                        ; implicit-def: $sgpr31
	v_cmpx_eq_u16_e64 0x80, v165
; %bb.9424:                             ;   in Loop: Header=BB4_8848 Depth=3
	s_mov_b32 s31, 0x7f800001
	s_xor_b32 s14, exec_lo, -1
; %bb.9425:                             ;   in Loop: Header=BB4_8848 Depth=3
	s_or_b32 exec_lo, exec_lo, s35
	s_delay_alu instid0(SALU_CYCLE_1)
	s_and_b32 s14, s14, exec_lo
	s_or_saveexec_b32 s34, s34
	v_mov_b32_e32 v164, s31
	s_xor_b32 exec_lo, exec_lo, s34
	s_cbranch_execz .LBB4_9163
.LBB4_9426:                             ;   in Loop: Header=BB4_8848 Depth=3
	v_cmp_ne_u16_e64 vcc_lo, 0, v165
	v_mov_b32_e32 v164, 0
	s_and_not1_b32 s14, s14, exec_lo
	s_delay_alu instid0(VALU_DEP_2) | instskip(NEXT) | instid1(SALU_CYCLE_1)
	s_and_b32 vcc_lo, vcc_lo, exec_lo
	s_or_b32 s14, s14, vcc_lo
	s_or_b32 exec_lo, exec_lo, s34
	s_and_saveexec_b32 s31, s14
	s_cbranch_execnz .LBB4_9164
	s_branch .LBB4_9165
.LBB4_9427:                             ;   in Loop: Header=BB4_8848 Depth=3
	s_mov_b32 s14, -1
	s_mov_b32 s35, exec_lo
                                        ; implicit-def: $sgpr31
	v_cmpx_eq_u16_e64 0x80, v163
; %bb.9428:                             ;   in Loop: Header=BB4_8848 Depth=3
	s_mov_b32 s31, 0x7f800001
	s_xor_b32 s14, exec_lo, -1
; %bb.9429:                             ;   in Loop: Header=BB4_8848 Depth=3
	s_or_b32 exec_lo, exec_lo, s35
	s_delay_alu instid0(SALU_CYCLE_1)
	s_and_b32 s14, s14, exec_lo
	s_or_saveexec_b32 s34, s34
	v_mov_b32_e32 v165, s31
	s_xor_b32 exec_lo, exec_lo, s34
	s_cbranch_execz .LBB4_9167
.LBB4_9430:                             ;   in Loop: Header=BB4_8848 Depth=3
	v_cmp_ne_u16_e64 vcc_lo, 0, v163
	v_mov_b32_e32 v165, 0
	s_and_not1_b32 s14, s14, exec_lo
	s_delay_alu instid0(VALU_DEP_2) | instskip(NEXT) | instid1(SALU_CYCLE_1)
	s_and_b32 vcc_lo, vcc_lo, exec_lo
	s_or_b32 s14, s14, vcc_lo
	s_or_b32 exec_lo, exec_lo, s34
	s_and_saveexec_b32 s31, s14
	s_cbranch_execnz .LBB4_9168
	s_branch .LBB4_9169
.LBB4_9431:                             ;   in Loop: Header=BB4_8848 Depth=3
	s_mov_b32 s14, -1
	s_mov_b32 s35, exec_lo
                                        ; implicit-def: $sgpr31
	v_cmpx_eq_u16_e64 0x80, v164
; %bb.9432:                             ;   in Loop: Header=BB4_8848 Depth=3
	s_mov_b32 s31, 0x7f800001
	s_xor_b32 s14, exec_lo, -1
; %bb.9433:                             ;   in Loop: Header=BB4_8848 Depth=3
	s_or_b32 exec_lo, exec_lo, s35
	s_delay_alu instid0(SALU_CYCLE_1)
	s_and_b32 s14, s14, exec_lo
                                        ; implicit-def: $vgpr164
	s_or_saveexec_b32 s34, s34
	v_mov_b32_e32 v163, s31
	s_xor_b32 exec_lo, exec_lo, s34
	s_cbranch_execz .LBB4_9179
.LBB4_9434:                             ;   in Loop: Header=BB4_8848 Depth=3
	v_cmp_ne_u16_e64 vcc_lo, 0, v164
	v_mov_b32_e32 v163, 0
	s_and_not1_b32 s14, s14, exec_lo
	s_delay_alu instid0(VALU_DEP_2) | instskip(NEXT) | instid1(SALU_CYCLE_1)
	s_and_b32 vcc_lo, vcc_lo, exec_lo
	s_or_b32 s14, s14, vcc_lo
	s_or_b32 exec_lo, exec_lo, s34
	s_and_saveexec_b32 s31, s14
	s_cbranch_execnz .LBB4_9180
	s_branch .LBB4_9181
.LBB4_9435:                             ;   in Loop: Header=BB4_8848 Depth=3
	s_mov_b32 s14, -1
	s_mov_b32 s35, exec_lo
                                        ; implicit-def: $sgpr31
	v_cmpx_eq_u16_e64 0x80, v164
; %bb.9436:                             ;   in Loop: Header=BB4_8848 Depth=3
	s_mov_b32 s31, 0x7f800001
	s_xor_b32 s14, exec_lo, -1
; %bb.9437:                             ;   in Loop: Header=BB4_8848 Depth=3
	s_or_b32 exec_lo, exec_lo, s35
	s_delay_alu instid0(SALU_CYCLE_1)
	s_and_b32 s14, s14, exec_lo
                                        ; implicit-def: $vgpr164
	s_or_saveexec_b32 s34, s34
	v_mov_b32_e32 v150, s31
	s_xor_b32 exec_lo, exec_lo, s34
	s_cbranch_execz .LBB4_9183
.LBB4_9438:                             ;   in Loop: Header=BB4_8848 Depth=3
	v_cmp_ne_u16_e64 vcc_lo, 0, v164
	v_mov_b32_e32 v150, 0
	s_and_not1_b32 s14, s14, exec_lo
	s_delay_alu instid0(VALU_DEP_2) | instskip(NEXT) | instid1(SALU_CYCLE_1)
	s_and_b32 vcc_lo, vcc_lo, exec_lo
	s_or_b32 s14, s14, vcc_lo
	s_or_b32 exec_lo, exec_lo, s34
	s_and_saveexec_b32 s31, s14
	s_cbranch_execnz .LBB4_9184
	s_branch .LBB4_9185
.LBB4_9439:                             ;   in Loop: Header=BB4_8848 Depth=3
	s_mov_b32 s14, -1
	s_mov_b32 s35, exec_lo
                                        ; implicit-def: $sgpr31
	v_cmpx_eq_u16_e64 0x80, v164
; %bb.9440:                             ;   in Loop: Header=BB4_8848 Depth=3
	s_mov_b32 s31, 0x7f800001
	s_xor_b32 s14, exec_lo, -1
; %bb.9441:                             ;   in Loop: Header=BB4_8848 Depth=3
	s_or_b32 exec_lo, exec_lo, s35
	s_delay_alu instid0(SALU_CYCLE_1)
	s_and_b32 s14, s14, exec_lo
                                        ; implicit-def: $vgpr164
	s_or_saveexec_b32 s34, s34
	v_mov_b32_e32 v163, s31
	s_xor_b32 exec_lo, exec_lo, s34
	s_cbranch_execz .LBB4_9195
.LBB4_9442:                             ;   in Loop: Header=BB4_8848 Depth=3
	v_cmp_ne_u16_e64 vcc_lo, 0, v164
	v_mov_b32_e32 v163, 0
	s_and_not1_b32 s14, s14, exec_lo
	s_delay_alu instid0(VALU_DEP_2) | instskip(NEXT) | instid1(SALU_CYCLE_1)
	s_and_b32 vcc_lo, vcc_lo, exec_lo
	s_or_b32 s14, s14, vcc_lo
	s_or_b32 exec_lo, exec_lo, s34
	s_and_saveexec_b32 s31, s14
	s_cbranch_execnz .LBB4_9196
	s_branch .LBB4_9197
.LBB4_9443:                             ;   in Loop: Header=BB4_8848 Depth=3
	s_mov_b32 s14, -1
	s_mov_b32 s35, exec_lo
                                        ; implicit-def: $sgpr31
	v_cmpx_eq_u16_e64 0x80, v148
; %bb.9444:                             ;   in Loop: Header=BB4_8848 Depth=3
	s_mov_b32 s31, 0x7f800001
	s_xor_b32 s14, exec_lo, -1
; %bb.9445:                             ;   in Loop: Header=BB4_8848 Depth=3
	s_or_b32 exec_lo, exec_lo, s35
	s_delay_alu instid0(SALU_CYCLE_1)
	s_and_b32 s14, s14, exec_lo
	s_or_saveexec_b32 s34, s34
	v_mov_b32_e32 v164, s31
	s_xor_b32 exec_lo, exec_lo, s34
	s_cbranch_execz .LBB4_9199
.LBB4_9446:                             ;   in Loop: Header=BB4_8848 Depth=3
	v_cmp_ne_u16_e64 vcc_lo, 0, v148
	v_mov_b32_e32 v164, 0
	s_and_not1_b32 s14, s14, exec_lo
	s_delay_alu instid0(VALU_DEP_2) | instskip(NEXT) | instid1(SALU_CYCLE_1)
	s_and_b32 vcc_lo, vcc_lo, exec_lo
	s_or_b32 s14, s14, vcc_lo
	s_or_b32 exec_lo, exec_lo, s34
	s_and_saveexec_b32 s31, s14
	s_cbranch_execnz .LBB4_9200
	s_branch .LBB4_9201
.LBB4_9447:                             ;   in Loop: Header=BB4_8848 Depth=3
	s_mov_b32 s14, -1
	s_mov_b32 s35, exec_lo
                                        ; implicit-def: $sgpr31
	v_cmpx_eq_u16_e64 0x80, v164
; %bb.9448:                             ;   in Loop: Header=BB4_8848 Depth=3
	s_mov_b32 s31, 0x7f800001
	s_xor_b32 s14, exec_lo, -1
; %bb.9449:                             ;   in Loop: Header=BB4_8848 Depth=3
	s_or_b32 exec_lo, exec_lo, s35
	s_delay_alu instid0(SALU_CYCLE_1)
	s_and_b32 s14, s14, exec_lo
                                        ; implicit-def: $vgpr164
	s_or_saveexec_b32 s34, s34
	v_mov_b32_e32 v163, s31
	s_xor_b32 exec_lo, exec_lo, s34
	s_cbranch_execz .LBB4_9211
.LBB4_9450:                             ;   in Loop: Header=BB4_8848 Depth=3
	v_cmp_ne_u16_e64 vcc_lo, 0, v164
	v_mov_b32_e32 v163, 0
	s_and_not1_b32 s14, s14, exec_lo
	s_delay_alu instid0(VALU_DEP_2) | instskip(NEXT) | instid1(SALU_CYCLE_1)
	s_and_b32 vcc_lo, vcc_lo, exec_lo
	s_or_b32 s14, s14, vcc_lo
	s_or_b32 exec_lo, exec_lo, s34
	s_and_saveexec_b32 s31, s14
	s_cbranch_execnz .LBB4_9212
	s_branch .LBB4_9213
.LBB4_9451:                             ;   in Loop: Header=BB4_8848 Depth=3
	s_mov_b32 s14, -1
	s_mov_b32 s35, exec_lo
                                        ; implicit-def: $sgpr31
	v_cmpx_eq_u16_e64 0x80, v165
; %bb.9452:                             ;   in Loop: Header=BB4_8848 Depth=3
	s_mov_b32 s31, 0x7f800001
	s_xor_b32 s14, exec_lo, -1
; %bb.9453:                             ;   in Loop: Header=BB4_8848 Depth=3
	s_or_b32 exec_lo, exec_lo, s35
	s_delay_alu instid0(SALU_CYCLE_1)
	s_and_b32 s14, s14, exec_lo
                                        ; implicit-def: $vgpr165
	s_or_saveexec_b32 s34, s34
	v_mov_b32_e32 v164, s31
	s_xor_b32 exec_lo, exec_lo, s34
	s_cbranch_execz .LBB4_9215
.LBB4_9454:                             ;   in Loop: Header=BB4_8848 Depth=3
	v_cmp_ne_u16_e64 vcc_lo, 0, v165
	v_mov_b32_e32 v164, 0
	s_and_not1_b32 s14, s14, exec_lo
	s_delay_alu instid0(VALU_DEP_2) | instskip(NEXT) | instid1(SALU_CYCLE_1)
	s_and_b32 vcc_lo, vcc_lo, exec_lo
	s_or_b32 s14, s14, vcc_lo
	s_or_b32 exec_lo, exec_lo, s34
	s_and_saveexec_b32 s31, s14
	s_cbranch_execnz .LBB4_9216
	s_branch .LBB4_9217
.LBB4_9455:                             ;   in Loop: Header=BB4_8848 Depth=3
	s_mov_b32 s14, -1
	s_mov_b32 s35, exec_lo
                                        ; implicit-def: $sgpr31
	v_cmpx_eq_u16_e64 0x80, v164
; %bb.9456:                             ;   in Loop: Header=BB4_8848 Depth=3
	s_mov_b32 s31, 0x7f800001
	s_xor_b32 s14, exec_lo, -1
; %bb.9457:                             ;   in Loop: Header=BB4_8848 Depth=3
	s_or_b32 exec_lo, exec_lo, s35
	s_delay_alu instid0(SALU_CYCLE_1)
	s_and_b32 s14, s14, exec_lo
	s_or_saveexec_b32 s34, s34
	v_mov_b32_e32 v163, s31
	s_xor_b32 exec_lo, exec_lo, s34
	s_cbranch_execz .LBB4_9227
.LBB4_9458:                             ;   in Loop: Header=BB4_8848 Depth=3
	v_cmp_ne_u16_e64 vcc_lo, 0, v164
	v_mov_b32_e32 v163, 0
	s_and_not1_b32 s14, s14, exec_lo
	s_delay_alu instid0(VALU_DEP_2) | instskip(NEXT) | instid1(SALU_CYCLE_1)
	s_and_b32 vcc_lo, vcc_lo, exec_lo
	s_or_b32 s14, s14, vcc_lo
	s_or_b32 exec_lo, exec_lo, s34
	s_and_saveexec_b32 s31, s14
	s_cbranch_execnz .LBB4_9228
	s_branch .LBB4_9229
.LBB4_9459:                             ;   in Loop: Header=BB4_8848 Depth=3
	s_mov_b32 s14, -1
	s_mov_b32 s35, exec_lo
                                        ; implicit-def: $sgpr31
	v_cmpx_eq_u16_e64 0x80, v144
; %bb.9460:                             ;   in Loop: Header=BB4_8848 Depth=3
	s_mov_b32 s31, 0x7f800001
	s_xor_b32 s14, exec_lo, -1
; %bb.9461:                             ;   in Loop: Header=BB4_8848 Depth=3
	s_or_b32 exec_lo, exec_lo, s35
	s_delay_alu instid0(SALU_CYCLE_1)
	s_and_b32 s14, s14, exec_lo
	s_or_saveexec_b32 s34, s34
	v_mov_b32_e32 v164, s31
	s_xor_b32 exec_lo, exec_lo, s34
	s_cbranch_execz .LBB4_9231
.LBB4_9462:                             ;   in Loop: Header=BB4_8848 Depth=3
	v_cmp_ne_u16_e64 vcc_lo, 0, v144
	v_mov_b32_e32 v164, 0
	s_and_not1_b32 s14, s14, exec_lo
	s_delay_alu instid0(VALU_DEP_2) | instskip(NEXT) | instid1(SALU_CYCLE_1)
	s_and_b32 vcc_lo, vcc_lo, exec_lo
	s_or_b32 s14, s14, vcc_lo
	s_or_b32 exec_lo, exec_lo, s34
	s_and_saveexec_b32 s31, s14
	s_cbranch_execnz .LBB4_9232
	s_branch .LBB4_9233
.LBB4_9463:                             ;   in Loop: Header=BB4_8848 Depth=3
	s_mov_b32 s14, -1
	s_mov_b32 s35, exec_lo
                                        ; implicit-def: $sgpr31
	v_cmpx_eq_u16_e64 0x80, v149
; %bb.9464:                             ;   in Loop: Header=BB4_8848 Depth=3
	s_mov_b32 s31, 0x7f800001
	s_xor_b32 s14, exec_lo, -1
; %bb.9465:                             ;   in Loop: Header=BB4_8848 Depth=3
	s_or_b32 exec_lo, exec_lo, s35
	s_delay_alu instid0(SALU_CYCLE_1)
	s_and_b32 s14, s14, exec_lo
                                        ; implicit-def: $vgpr149
	s_or_saveexec_b32 s34, s34
	v_mov_b32_e32 v135, s31
	s_xor_b32 exec_lo, exec_lo, s34
	s_cbranch_execz .LBB4_9243
.LBB4_9466:                             ;   in Loop: Header=BB4_8848 Depth=3
	v_cmp_ne_u16_e64 vcc_lo, 0, v149
	v_mov_b32_e32 v135, 0
	s_and_not1_b32 s14, s14, exec_lo
	s_delay_alu instid0(VALU_DEP_2) | instskip(NEXT) | instid1(SALU_CYCLE_1)
	s_and_b32 vcc_lo, vcc_lo, exec_lo
	s_or_b32 s14, s14, vcc_lo
	s_or_b32 exec_lo, exec_lo, s34
	s_and_saveexec_b32 s31, s14
	s_cbranch_execnz .LBB4_9244
	s_branch .LBB4_9245
.LBB4_9467:                             ;   in Loop: Header=BB4_8848 Depth=3
	s_mov_b32 s14, -1
	s_mov_b32 s35, exec_lo
                                        ; implicit-def: $sgpr31
	v_cmpx_eq_u16_e64 0x80, v163
; %bb.9468:                             ;   in Loop: Header=BB4_8848 Depth=3
	s_mov_b32 s31, 0x7f800001
	s_xor_b32 s14, exec_lo, -1
; %bb.9469:                             ;   in Loop: Header=BB4_8848 Depth=3
	s_or_b32 exec_lo, exec_lo, s35
	s_delay_alu instid0(SALU_CYCLE_1)
	s_and_b32 s14, s14, exec_lo
                                        ; implicit-def: $vgpr163
	s_or_saveexec_b32 s34, s34
	v_mov_b32_e32 v149, s31
	s_xor_b32 exec_lo, exec_lo, s34
	s_cbranch_execz .LBB4_9247
.LBB4_9470:                             ;   in Loop: Header=BB4_8848 Depth=3
	v_cmp_ne_u16_e64 vcc_lo, 0, v163
	v_mov_b32_e32 v149, 0
	s_and_not1_b32 s14, s14, exec_lo
	s_delay_alu instid0(VALU_DEP_2) | instskip(NEXT) | instid1(SALU_CYCLE_1)
	s_and_b32 vcc_lo, vcc_lo, exec_lo
	s_or_b32 s14, s14, vcc_lo
	s_or_b32 exec_lo, exec_lo, s34
	s_and_saveexec_b32 s31, s14
	s_cbranch_execnz .LBB4_9248
	s_branch .LBB4_9249
.LBB4_9471:                             ;   in Loop: Header=BB4_8848 Depth=3
	s_mov_b32 s14, -1
	s_mov_b32 s35, exec_lo
                                        ; implicit-def: $sgpr31
	v_cmpx_eq_u16_e64 0x80, v163
; %bb.9472:                             ;   in Loop: Header=BB4_8848 Depth=3
	s_mov_b32 s31, 0x7f800001
	s_xor_b32 s14, exec_lo, -1
; %bb.9473:                             ;   in Loop: Header=BB4_8848 Depth=3
	s_or_b32 exec_lo, exec_lo, s35
	s_delay_alu instid0(SALU_CYCLE_1)
	s_and_b32 s14, s14, exec_lo
	s_or_saveexec_b32 s34, s34
	v_mov_b32_e32 v149, s31
	s_xor_b32 exec_lo, exec_lo, s34
	s_cbranch_execz .LBB4_9259
.LBB4_9474:                             ;   in Loop: Header=BB4_8848 Depth=3
	v_cmp_ne_u16_e64 vcc_lo, 0, v163
	v_mov_b32_e32 v149, 0
	s_and_not1_b32 s14, s14, exec_lo
	s_delay_alu instid0(VALU_DEP_2) | instskip(NEXT) | instid1(SALU_CYCLE_1)
	s_and_b32 vcc_lo, vcc_lo, exec_lo
	s_or_b32 s14, s14, vcc_lo
	s_or_b32 exec_lo, exec_lo, s34
	s_and_saveexec_b32 s31, s14
	s_cbranch_execnz .LBB4_9260
	s_branch .LBB4_9261
.LBB4_9475:                             ;   in Loop: Header=BB4_8848 Depth=3
	s_mov_b32 s14, -1
	s_mov_b32 s35, exec_lo
                                        ; implicit-def: $sgpr31
	v_cmpx_eq_u16_e64 0x80, v163
; %bb.9476:                             ;   in Loop: Header=BB4_8848 Depth=3
	s_mov_b32 s31, 0x7f800001
	s_xor_b32 s14, exec_lo, -1
; %bb.9477:                             ;   in Loop: Header=BB4_8848 Depth=3
	s_or_b32 exec_lo, exec_lo, s35
	s_delay_alu instid0(SALU_CYCLE_1)
	s_and_b32 s14, s14, exec_lo
	s_or_saveexec_b32 s34, s34
	v_mov_b32_e32 v164, s31
	s_xor_b32 exec_lo, exec_lo, s34
	s_cbranch_execz .LBB4_9263
.LBB4_9478:                             ;   in Loop: Header=BB4_8848 Depth=3
	v_cmp_ne_u16_e64 vcc_lo, 0, v163
	v_mov_b32_e32 v164, 0
	s_and_not1_b32 s14, s14, exec_lo
	s_delay_alu instid0(VALU_DEP_2) | instskip(NEXT) | instid1(SALU_CYCLE_1)
	s_and_b32 vcc_lo, vcc_lo, exec_lo
	s_or_b32 s14, s14, vcc_lo
	s_or_b32 exec_lo, exec_lo, s34
	s_and_saveexec_b32 s31, s14
	s_cbranch_execnz .LBB4_9264
	s_branch .LBB4_9265
.LBB4_9479:                             ;   in Loop: Header=BB4_8848 Depth=3
	s_mov_b32 s14, -1
	s_mov_b32 s35, exec_lo
                                        ; implicit-def: $sgpr31
	v_cmpx_eq_u16_e64 0x80, v163
; %bb.9480:                             ;   in Loop: Header=BB4_8848 Depth=3
	s_mov_b32 s31, 0x7f800001
	s_xor_b32 s14, exec_lo, -1
; %bb.9481:                             ;   in Loop: Header=BB4_8848 Depth=3
	s_or_b32 exec_lo, exec_lo, s35
	s_delay_alu instid0(SALU_CYCLE_1)
	s_and_b32 s14, s14, exec_lo
                                        ; implicit-def: $vgpr163
	s_or_saveexec_b32 s34, s34
	v_mov_b32_e32 v134, s31
	s_xor_b32 exec_lo, exec_lo, s34
	s_cbranch_execz .LBB4_9275
.LBB4_9482:                             ;   in Loop: Header=BB4_8848 Depth=3
	v_cmp_ne_u16_e64 vcc_lo, 0, v163
	v_mov_b32_e32 v134, 0
	s_and_not1_b32 s14, s14, exec_lo
	s_delay_alu instid0(VALU_DEP_2) | instskip(NEXT) | instid1(SALU_CYCLE_1)
	s_and_b32 vcc_lo, vcc_lo, exec_lo
	s_or_b32 s14, s14, vcc_lo
	s_or_b32 exec_lo, exec_lo, s34
	v_lshl_or_b32 v144, v146, 16, v144
	s_and_saveexec_b32 s31, s14
	s_cbranch_execnz .LBB4_9276
	s_branch .LBB4_9277
.LBB4_9483:                             ;   in Loop: Header=BB4_8848 Depth=3
	s_mov_b32 s14, -1
	s_mov_b32 s35, exec_lo
                                        ; implicit-def: $sgpr31
	v_cmpx_eq_u16_e64 0x80, v164
; %bb.9484:                             ;   in Loop: Header=BB4_8848 Depth=3
	s_mov_b32 s31, 0x7f800001
	s_xor_b32 s14, exec_lo, -1
; %bb.9485:                             ;   in Loop: Header=BB4_8848 Depth=3
	s_or_b32 exec_lo, exec_lo, s35
	s_delay_alu instid0(SALU_CYCLE_1)
	s_and_b32 s14, s14, exec_lo
                                        ; implicit-def: $vgpr164
	s_or_saveexec_b32 s34, s34
	v_mov_b32_e32 v163, s31
	s_xor_b32 exec_lo, exec_lo, s34
	s_cbranch_execz .LBB4_9279
.LBB4_9486:                             ;   in Loop: Header=BB4_8848 Depth=3
	v_cmp_ne_u16_e64 vcc_lo, 0, v164
	v_mov_b32_e32 v163, 0
	s_and_not1_b32 s14, s14, exec_lo
	s_delay_alu instid0(VALU_DEP_2) | instskip(NEXT) | instid1(SALU_CYCLE_1)
	s_and_b32 vcc_lo, vcc_lo, exec_lo
	s_or_b32 s14, s14, vcc_lo
	s_or_b32 exec_lo, exec_lo, s34
	s_and_saveexec_b32 s31, s14
	s_cbranch_execnz .LBB4_9280
	s_branch .LBB4_9281
.LBB4_9487:                             ;   in Loop: Header=BB4_8848 Depth=3
	s_mov_b32 s14, -1
	s_mov_b32 s35, exec_lo
                                        ; implicit-def: $sgpr31
	v_cmpx_eq_u16_e64 0x80, v163
; %bb.9488:                             ;   in Loop: Header=BB4_8848 Depth=3
	s_mov_b32 s31, 0x7f800001
	s_xor_b32 s14, exec_lo, -1
; %bb.9489:                             ;   in Loop: Header=BB4_8848 Depth=3
	s_or_b32 exec_lo, exec_lo, s35
	s_delay_alu instid0(SALU_CYCLE_1)
	s_and_b32 s14, s14, exec_lo
	s_or_saveexec_b32 s34, s34
	v_mov_b32_e32 v146, s31
	s_xor_b32 exec_lo, exec_lo, s34
	s_cbranch_execz .LBB4_9291
.LBB4_9490:                             ;   in Loop: Header=BB4_8848 Depth=3
	v_cmp_ne_u16_e64 vcc_lo, 0, v163
	v_mov_b32_e32 v146, 0
	s_and_not1_b32 s14, s14, exec_lo
	s_delay_alu instid0(VALU_DEP_2) | instskip(NEXT) | instid1(SALU_CYCLE_1)
	s_and_b32 vcc_lo, vcc_lo, exec_lo
	s_or_b32 s14, s14, vcc_lo
	s_or_b32 exec_lo, exec_lo, s34
	s_and_saveexec_b32 s31, s14
	s_cbranch_execnz .LBB4_9292
	s_branch .LBB4_9293
.LBB4_9491:                             ;   in Loop: Header=BB4_8848 Depth=3
	s_mov_b32 s14, -1
	s_mov_b32 s35, exec_lo
                                        ; implicit-def: $sgpr31
	v_cmpx_eq_u16_e64 0x80, v144
; %bb.9492:                             ;   in Loop: Header=BB4_8848 Depth=3
	s_mov_b32 s31, 0x7f800001
	s_xor_b32 s14, exec_lo, -1
; %bb.9493:                             ;   in Loop: Header=BB4_8848 Depth=3
	s_or_b32 exec_lo, exec_lo, s35
	s_delay_alu instid0(SALU_CYCLE_1)
	s_and_b32 s14, s14, exec_lo
	s_or_saveexec_b32 s34, s34
	v_mov_b32_e32 v163, s31
	s_xor_b32 exec_lo, exec_lo, s34
	s_cbranch_execz .LBB4_9295
.LBB4_9494:                             ;   in Loop: Header=BB4_8848 Depth=3
	v_cmp_ne_u16_e64 vcc_lo, 0, v144
	v_mov_b32_e32 v163, 0
	s_and_not1_b32 s14, s14, exec_lo
	s_delay_alu instid0(VALU_DEP_2) | instskip(NEXT) | instid1(SALU_CYCLE_1)
	s_and_b32 vcc_lo, vcc_lo, exec_lo
	s_or_b32 s14, s14, vcc_lo
	s_or_b32 exec_lo, exec_lo, s34
	s_and_saveexec_b32 s31, s14
	s_cbranch_execnz .LBB4_9296
	s_branch .LBB4_9297
.LBB4_9495:                             ;   in Loop: Header=BB4_4786 Depth=2
	s_or_b32 exec_lo, exec_lo, s17
.LBB4_9496:                             ;   in Loop: Header=BB4_4786 Depth=2
	s_delay_alu instid0(SALU_CYCLE_1) | instskip(SKIP_4) | instid1(VALU_DEP_2)
	s_or_b32 exec_lo, exec_lo, s16
	v_and_b32_e32 v9, 15, v132
	v_mov_b32_e32 v53, 0
	s_mov_b32 s14, 0
	s_mov_b32 s16, exec_lo
                                        ; implicit-def: $vgpr64
                                        ; implicit-def: $vgpr8
	v_cndmask_b32_e64 v54, v67, v9, s13
	s_delay_alu instid0(VALU_DEP_1)
	v_cmpx_ne_u32_e32 0, v54
	s_cbranch_execz .LBB4_9498
; %bb.9497:                             ;   in Loop: Header=BB4_4786 Depth=2
	v_cmp_lt_i32_e32 vcc_lo, 0, v68
	v_sub_nc_u32_e32 v9, v67, v9
	s_mov_b32 s14, exec_lo
	v_cndmask_b32_e32 v8, 0, v81, vcc_lo
	s_delay_alu instid0(VALU_DEP_2) | instskip(NEXT) | instid1(VALU_DEP_2)
	v_cndmask_b32_e64 v9, 0, v9, s13
	v_sub_nc_u32_e32 v8, v8, v68
	s_delay_alu instid0(VALU_DEP_2) | instskip(NEXT) | instid1(VALU_DEP_2)
	v_add3_u32 v53, v2, v65, v9
	v_lshl_add_u32 v64, v8, 5, v66
	s_delay_alu instid0(VALU_DEP_1) | instskip(NEXT) | instid1(VALU_DEP_1)
	v_ashrrev_i32_e32 v8, 31, v64
	v_lshrrev_b32_e32 v8, 27, v8
	s_delay_alu instid0(VALU_DEP_1) | instskip(NEXT) | instid1(VALU_DEP_1)
	v_add_nc_u32_e32 v8, v64, v8
	v_ashrrev_i32_e32 v8, 5, v8
.LBB4_9498:                             ;   in Loop: Header=BB4_4786 Depth=2
	s_or_b32 exec_lo, exec_lo, s16
	s_delay_alu instid0(SALU_CYCLE_1)
	s_and_b32 s13, s14, exec_lo
.LBB4_9499:                             ;   in Loop: Header=BB4_4786 Depth=2
	s_or_b32 exec_lo, exec_lo, s15
.LBB4_9500:                             ;   in Loop: Header=BB4_4786 Depth=2
	s_and_saveexec_b32 s14, s13
	s_cbranch_execz .LBB4_10212
; %bb.9501:                             ;   in Loop: Header=BB4_4786 Depth=2
	v_ashrrev_i32_e32 v2, 31, v54
	s_mov_b32 s15, exec_lo
	s_delay_alu instid0(VALU_DEP_1) | instskip(NEXT) | instid1(VALU_DEP_1)
	v_lshrrev_b32_e32 v2, 23, v2
	v_add_nc_u32_e32 v2, v54, v2
	s_delay_alu instid0(VALU_DEP_1) | instskip(NEXT) | instid1(VALU_DEP_1)
	v_ashrrev_i32_e32 v65, 9, v2
	v_sub_nc_u32_e32 v2, v65, v8
	s_delay_alu instid0(VALU_DEP_1)
	v_cmpx_lt_i32_e32 0, v2
	s_cbranch_execz .LBB4_10156
; %bb.9502:                             ;   in Loop: Header=BB4_4786 Depth=2
	s_cbranch_execnz .LBB4_11287
; %bb.9503:                             ;   in Loop: Header=BB4_4786 Depth=2
	v_ashrrev_i32_e32 v9, 31, v64
	ds_load_b64 v[13:14], v0
	v_lshlrev_b32_e32 v8, 9, v8
	s_mov_b32 s16, 0
	v_lshrrev_b32_e32 v9, 27, v9
	s_delay_alu instid0(VALU_DEP_1) | instskip(NEXT) | instid1(VALU_DEP_1)
	v_add_nc_u32_e32 v9, v64, v9
	v_and_b32_e32 v15, 0xffffffe0, v9
	ds_load_b128 v[9:12], v0
	v_sub_nc_u32_e32 v15, v64, v15
	s_waitcnt lgkmcnt(1)
	v_add_co_u32 v13, vcc_lo, 0x1e0, v13
	v_add_co_ci_u32_e32 v14, vcc_lo, 0, v14, vcc_lo
	s_delay_alu instid0(VALU_DEP_3) | instskip(NEXT) | instid1(VALU_DEP_1)
	v_add3_u32 v15, v53, v15, v8
	v_ashrrev_i32_e32 v66, 31, v15
	s_waitcnt lgkmcnt(0)
	v_add_co_u32 v8, vcc_lo, v9, v15
	s_delay_alu instid0(VALU_DEP_2)
	v_add_co_ci_u32_e32 v9, vcc_lo, v10, v66, vcc_lo
	v_add_co_u32 v10, vcc_lo, v11, v15
	v_add_co_ci_u32_e32 v11, vcc_lo, v12, v66, vcc_lo
	v_add_co_u32 v12, vcc_lo, v13, v15
	v_add_co_ci_u32_e32 v13, vcc_lo, v14, v66, vcc_lo
.LBB4_9504:                             ;   Parent Loop BB4_51 Depth=1
                                        ;     Parent Loop BB4_4786 Depth=2
                                        ; =>    This Inner Loop Header: Depth=3
	s_cbranch_execnz .LBB4_11293
; %bb.9505:                             ;   in Loop: Header=BB4_9504 Depth=3
	ds_load_b64 v[14:15], v0
	s_waitcnt lgkmcnt(0)
	v_and_b32_e32 v15, 0xff, v14
	v_readfirstlane_b32 s13, v14
	s_delay_alu instid0(VALU_DEP_2)
	v_cmp_gt_i16_e32 vcc_lo, 0x80, v15
	s_cbranch_vccnz .LBB4_9509
; %bb.9506:                             ;   in Loop: Header=BB4_9504 Depth=3
	v_cmp_eq_u16_e32 vcc_lo, 0x80, v15
	s_mov_b32 s17, -1
                                        ; implicit-def: $sgpr30
	s_cbranch_vccz .LBB4_9508
; %bb.9507:                             ;   in Loop: Header=BB4_9504 Depth=3
	s_mov_b32 s17, 0
	s_mov_b32 s30, 0x7f800001
.LBB4_9508:                             ;   in Loop: Header=BB4_9504 Depth=3
	s_mov_b32 vcc_lo, 0
	s_branch .LBB4_9510
.LBB4_9509:                             ;   in Loop: Header=BB4_9504 Depth=3
	s_mov_b32 vcc_lo, -1
	s_mov_b32 s17, 0
                                        ; implicit-def: $sgpr30
.LBB4_9510:                             ;   in Loop: Header=BB4_9504 Depth=3
	s_and_b32 vcc_lo, exec_lo, vcc_lo
	s_cbranch_vccz .LBB4_9512
; %bb.9511:                             ;   in Loop: Header=BB4_9504 Depth=3
	v_cmp_ne_u16_e64 s17, 0, v15
	s_mov_b32 s30, 0
.LBB4_9512:                             ;   in Loop: Header=BB4_9504 Depth=3
	s_delay_alu instid0(SALU_CYCLE_1) | instskip(NEXT) | instid1(VALU_DEP_2)
	v_mov_b32_e32 v15, s30
	s_and_not1_b32 vcc_lo, exec_lo, s17
	s_cbranch_vccnz .LBB4_9514
; %bb.9513:                             ;   in Loop: Header=BB4_9504 Depth=3
	s_and_b32 s17, s13, 3
	s_bfe_u32 s30, s13, 0x50002
	s_clz_i32_u32 vcc_lo, s17
	v_lshlrev_b32_e32 v14, 24, v14
	s_min_u32 vcc_lo, vcc_lo, 32
	s_delay_alu instid0(SALU_CYCLE_1)
	s_sub_i32 s31, vcc_lo, 29
	s_sub_i32 vcc_lo, 30, vcc_lo
	s_lshl_b32 s13, s13, s31
	v_and_b32_e32 v14, 0x80000000, v14
	s_and_b32 s13, s13, 3
	s_cmp_eq_u32 s30, 0
	s_cselect_b32 vcc_lo, vcc_lo, s30
	s_cselect_b32 s13, s13, s17
	s_lshl_b32 s17, vcc_lo, 23
	s_lshl_b32 s13, s13, 21
	s_add_i32 s17, s17, 0x37800000
	s_delay_alu instid0(SALU_CYCLE_1) | instskip(NEXT) | instid1(VALU_DEP_1)
	v_or_b32_e32 v14, s17, v14
	v_or_b32_e32 v15, s13, v14
.LBB4_9514:                             ;   in Loop: Header=BB4_9504 Depth=3
	flat_load_u8 v14, v[8:9] slc dlc
	s_mov_b32 s13, 0
	s_mov_b32 s30, exec_lo
                                        ; implicit-def: $sgpr17
	s_waitcnt vmcnt(0) lgkmcnt(0)
	v_cmpx_lt_i16_e32 0x7f, v14
	s_xor_b32 s30, exec_lo, s30
	s_cbranch_execnz .LBB4_9963
; %bb.9515:                             ;   in Loop: Header=BB4_9504 Depth=3
	s_or_saveexec_b32 s30, s30
	v_mov_b32_e32 v66, s17
	s_xor_b32 exec_lo, exec_lo, s30
	s_cbranch_execnz .LBB4_9966
.LBB4_9516:                             ;   in Loop: Header=BB4_9504 Depth=3
	s_or_b32 exec_lo, exec_lo, s30
	s_and_saveexec_b32 s17, s13
	s_cbranch_execz .LBB4_9518
.LBB4_9517:                             ;   in Loop: Header=BB4_9504 Depth=3
	v_and_b32_e32 v66, 0xffff, v14
	v_lshlrev_b32_e32 v14, 24, v14
	s_delay_alu instid0(VALU_DEP_2) | instskip(NEXT) | instid1(VALU_DEP_2)
	v_and_b32_e32 v67, 3, v66
	v_and_b32_e32 v14, 0x80000000, v14
	s_delay_alu instid0(VALU_DEP_2) | instskip(NEXT) | instid1(VALU_DEP_1)
	v_clz_i32_u32_e32 v68, v67
	v_min_u32_e32 v68, 32, v68
	s_delay_alu instid0(VALU_DEP_1) | instskip(SKIP_1) | instid1(VALU_DEP_2)
	v_subrev_nc_u32_e32 v69, 29, v68
	v_sub_nc_u32_e32 v68, 30, v68
	v_lshlrev_b32_e32 v69, v69, v66
	v_bfe_u32 v66, v66, 2, 5
	s_delay_alu instid0(VALU_DEP_2) | instskip(NEXT) | instid1(VALU_DEP_2)
	v_and_b32_e32 v69, 3, v69
	v_cmp_eq_u32_e32 vcc_lo, 0, v66
	s_delay_alu instid0(VALU_DEP_2) | instskip(NEXT) | instid1(VALU_DEP_1)
	v_dual_cndmask_b32 v66, v66, v68 :: v_dual_cndmask_b32 v67, v67, v69
	v_lshl_add_u32 v66, v66, 23, 0x37800000
	s_delay_alu instid0(VALU_DEP_2) | instskip(NEXT) | instid1(VALU_DEP_1)
	v_lshlrev_b32_e32 v67, 21, v67
	v_or3_b32 v66, v14, v66, v67
.LBB4_9518:                             ;   in Loop: Header=BB4_9504 Depth=3
	s_or_b32 exec_lo, exec_lo, s17
	s_delay_alu instid0(VALU_DEP_1) | instskip(NEXT) | instid1(VALU_DEP_1)
	v_mul_f32_e32 v14, v15, v66
	v_and_b32_e32 v66, 0x7f800000, v14
	s_delay_alu instid0(VALU_DEP_1)
	v_cmp_ne_u32_e32 vcc_lo, 0x7f800000, v66
	v_mov_b32_e32 v66, 0x80
	s_and_saveexec_b32 s17, vcc_lo
	s_cbranch_execz .LBB4_9526
; %bb.9519:                             ;   in Loop: Header=BB4_9504 Depth=3
	v_mov_b32_e32 v66, 0
	s_mov_b32 s30, exec_lo
	v_cmpx_ne_u32_e32 0, v14
	s_cbranch_execz .LBB4_9525
; %bb.9520:                             ;   in Loop: Header=BB4_9504 Depth=3
	v_bfe_u32 v66, v14, 23, 8
	s_delay_alu instid0(VALU_DEP_1) | instskip(SKIP_1) | instid1(VALU_DEP_2)
	v_sub_nc_u32_e32 v68, 0x70, v66
	v_cmp_gt_u32_e32 vcc_lo, 0x71, v66
	v_dual_cndmask_b32 v68, 0, v68 :: v_dual_and_b32 v67, 0x7fffff, v14
	s_delay_alu instid0(VALU_DEP_1) | instskip(SKIP_2) | instid1(VALU_DEP_4)
	v_or_b32_e32 v69, 0x800000, v67
	v_cmp_eq_u32_e32 vcc_lo, 0, v66
	v_add_nc_u32_e32 v66, 0xffffff91, v66
	v_cndmask_b32_e64 v68, v68, 0x6f, vcc_lo
	s_delay_alu instid0(VALU_DEP_4) | instskip(NEXT) | instid1(VALU_DEP_3)
	v_cndmask_b32_e32 v67, v69, v67, vcc_lo
	v_cndmask_b32_e64 v66, v66, 0xffffff92, vcc_lo
	s_delay_alu instid0(VALU_DEP_3) | instskip(NEXT) | instid1(VALU_DEP_3)
	v_lshl_add_u32 v69, 0x200000, v68, -1
	v_lshrrev_b32_e32 v133, v68, v67
	v_lshlrev_b32_e64 v135, v68, 0x100000
	s_delay_alu instid0(VALU_DEP_4) | instskip(NEXT) | instid1(VALU_DEP_4)
	v_add_nc_u32_e32 v68, v68, v66
	v_and_b32_e32 v67, v69, v67
	s_delay_alu instid0(VALU_DEP_4) | instskip(NEXT) | instid1(VALU_DEP_2)
	v_bfe_u32 v134, v133, 21, 1
	v_cmp_eq_u32_e64 s13, v67, v135
	s_delay_alu instid0(VALU_DEP_2) | instskip(NEXT) | instid1(VALU_DEP_1)
	v_add_nc_u32_e32 v69, -1, v134
	v_cndmask_b32_e64 v67, 0, v69, s13
	v_lshrrev_b32_e32 v69, 23, v133
	s_mov_b32 s13, exec_lo
	s_delay_alu instid0(VALU_DEP_2) | instskip(NEXT) | instid1(VALU_DEP_2)
	v_add_nc_u32_e32 v67, v67, v133
	v_xor_b32_e32 v69, 1, v69
	s_delay_alu instid0(VALU_DEP_2) | instskip(NEXT) | instid1(VALU_DEP_1)
	v_and_b32_e32 v66, 0x1fffff, v67
	v_add_nc_u32_e32 v67, v66, v133
                                        ; implicit-def: $vgpr66
	s_delay_alu instid0(VALU_DEP_3)
	v_cmpx_ne_u32_e64 v68, v69
	s_xor_b32 s13, exec_lo, s13
; %bb.9521:                             ;   in Loop: Header=BB4_9504 Depth=3
	s_delay_alu instid0(VALU_DEP_2) | instskip(SKIP_2) | instid1(VALU_DEP_2)
	v_cmp_lt_u32_e32 vcc_lo, 0xffffff, v67
	v_sub_nc_u32_e32 v66, v68, v69
	v_cndmask_b32_e64 v68, 0, 1, vcc_lo
	v_add_co_ci_u32_e32 v66, vcc_lo, 0, v66, vcc_lo
	s_delay_alu instid0(VALU_DEP_2)
	v_lshrrev_b32_e32 v67, v68, v67
; %bb.9522:                             ;   in Loop: Header=BB4_9504 Depth=3
	s_and_not1_saveexec_b32 s13, s13
; %bb.9523:                             ;   in Loop: Header=BB4_9504 Depth=3
	s_delay_alu instid0(VALU_DEP_1)
	v_bfe_u32 v66, v67, 23, 1
; %bb.9524:                             ;   in Loop: Header=BB4_9504 Depth=3
	s_or_b32 exec_lo, exec_lo, s13
	v_lshrrev_b32_e32 v67, 21, v67
	s_delay_alu instid0(VALU_DEP_2) | instskip(SKIP_2) | instid1(VALU_DEP_2)
	v_cmp_gt_i32_e32 vcc_lo, 32, v66
	v_lshrrev_b32_e32 v14, 24, v14
	v_min_i32_e32 v68, 31, v66
	v_dual_cndmask_b32 v67, 3, v67 :: v_dual_and_b32 v14, 0x80, v14
	s_delay_alu instid0(VALU_DEP_2) | instskip(NEXT) | instid1(VALU_DEP_2)
	v_lshlrev_b32_e32 v68, 2, v68
	v_or_b32_e32 v66, v66, v67
	s_delay_alu instid0(VALU_DEP_1) | instskip(SKIP_1) | instid1(VALU_DEP_1)
	v_cmp_ne_u32_e32 vcc_lo, 0, v66
	v_and_b32_e32 v69, 3, v67
	v_or3_b32 v14, v68, v14, v69
	s_delay_alu instid0(VALU_DEP_1)
	v_cndmask_b32_e32 v66, 0, v14, vcc_lo
.LBB4_9525:                             ;   in Loop: Header=BB4_9504 Depth=3
	s_or_b32 exec_lo, exec_lo, s30
.LBB4_9526:                             ;   in Loop: Header=BB4_9504 Depth=3
	s_delay_alu instid0(SALU_CYCLE_1)
	s_or_b32 exec_lo, exec_lo, s17
	flat_load_u8 v14, v[8:9] offset:32 slc dlc
	s_mov_b32 s13, 0
	s_mov_b32 s30, exec_lo
                                        ; implicit-def: $sgpr17
	s_waitcnt vmcnt(0) lgkmcnt(0)
	v_cmpx_lt_i16_e32 0x7f, v14
	s_xor_b32 s30, exec_lo, s30
	s_cbranch_execnz .LBB4_9967
; %bb.9527:                             ;   in Loop: Header=BB4_9504 Depth=3
	s_or_saveexec_b32 s30, s30
	v_mov_b32_e32 v67, s17
	s_xor_b32 exec_lo, exec_lo, s30
	s_cbranch_execnz .LBB4_9970
.LBB4_9528:                             ;   in Loop: Header=BB4_9504 Depth=3
	s_or_b32 exec_lo, exec_lo, s30
	s_and_saveexec_b32 s17, s13
	s_cbranch_execz .LBB4_9530
.LBB4_9529:                             ;   in Loop: Header=BB4_9504 Depth=3
	v_and_b32_e32 v67, 0xffff, v14
	v_lshlrev_b32_e32 v14, 24, v14
	s_delay_alu instid0(VALU_DEP_2) | instskip(NEXT) | instid1(VALU_DEP_2)
	v_and_b32_e32 v68, 3, v67
	v_and_b32_e32 v14, 0x80000000, v14
	s_delay_alu instid0(VALU_DEP_2) | instskip(NEXT) | instid1(VALU_DEP_1)
	v_clz_i32_u32_e32 v69, v68
	v_min_u32_e32 v69, 32, v69
	s_delay_alu instid0(VALU_DEP_1) | instskip(SKIP_1) | instid1(VALU_DEP_2)
	v_subrev_nc_u32_e32 v133, 29, v69
	v_sub_nc_u32_e32 v69, 30, v69
	v_lshlrev_b32_e32 v133, v133, v67
	v_bfe_u32 v67, v67, 2, 5
	s_delay_alu instid0(VALU_DEP_2) | instskip(NEXT) | instid1(VALU_DEP_2)
	v_and_b32_e32 v133, 3, v133
	v_cmp_eq_u32_e32 vcc_lo, 0, v67
	v_cndmask_b32_e32 v67, v67, v69, vcc_lo
	s_delay_alu instid0(VALU_DEP_3) | instskip(NEXT) | instid1(VALU_DEP_2)
	v_cndmask_b32_e32 v68, v68, v133, vcc_lo
	v_lshl_add_u32 v67, v67, 23, 0x37800000
	s_delay_alu instid0(VALU_DEP_2) | instskip(NEXT) | instid1(VALU_DEP_1)
	v_lshlrev_b32_e32 v68, 21, v68
	v_or3_b32 v67, v14, v67, v68
.LBB4_9530:                             ;   in Loop: Header=BB4_9504 Depth=3
	s_or_b32 exec_lo, exec_lo, s17
	s_delay_alu instid0(VALU_DEP_1) | instskip(SKIP_2) | instid1(VALU_DEP_2)
	v_mul_f32_e32 v14, v15, v67
	v_mov_b32_e32 v134, 0x80
	s_mov_b32 s17, exec_lo
	v_and_b32_e32 v67, 0x7f800000, v14
	s_delay_alu instid0(VALU_DEP_1)
	v_cmpx_ne_u32_e32 0x7f800000, v67
	s_cbranch_execz .LBB4_9538
; %bb.9531:                             ;   in Loop: Header=BB4_9504 Depth=3
	v_mov_b32_e32 v134, 0
	s_mov_b32 s30, exec_lo
	v_cmpx_ne_u32_e32 0, v14
	s_cbranch_execz .LBB4_9537
; %bb.9532:                             ;   in Loop: Header=BB4_9504 Depth=3
	v_bfe_u32 v67, v14, 23, 8
	s_delay_alu instid0(VALU_DEP_1) | instskip(SKIP_1) | instid1(VALU_DEP_2)
	v_sub_nc_u32_e32 v69, 0x70, v67
	v_cmp_gt_u32_e32 vcc_lo, 0x71, v67
	v_dual_cndmask_b32 v69, 0, v69 :: v_dual_and_b32 v68, 0x7fffff, v14
	s_delay_alu instid0(VALU_DEP_1) | instskip(SKIP_2) | instid1(VALU_DEP_4)
	v_or_b32_e32 v133, 0x800000, v68
	v_cmp_eq_u32_e32 vcc_lo, 0, v67
	v_add_nc_u32_e32 v67, 0xffffff91, v67
	v_cndmask_b32_e64 v69, v69, 0x6f, vcc_lo
	s_delay_alu instid0(VALU_DEP_4) | instskip(NEXT) | instid1(VALU_DEP_3)
	v_cndmask_b32_e32 v68, v133, v68, vcc_lo
	v_cndmask_b32_e64 v67, v67, 0xffffff92, vcc_lo
	s_delay_alu instid0(VALU_DEP_3) | instskip(NEXT) | instid1(VALU_DEP_3)
	v_lshl_add_u32 v133, 0x200000, v69, -1
	v_lshrrev_b32_e32 v134, v69, v68
	v_lshlrev_b32_e64 v144, v69, 0x100000
	s_delay_alu instid0(VALU_DEP_4) | instskip(NEXT) | instid1(VALU_DEP_4)
	v_add_nc_u32_e32 v69, v69, v67
	v_and_b32_e32 v68, v133, v68
	s_delay_alu instid0(VALU_DEP_4) | instskip(NEXT) | instid1(VALU_DEP_2)
	v_bfe_u32 v135, v134, 21, 1
	v_cmp_eq_u32_e64 s13, v68, v144
	s_delay_alu instid0(VALU_DEP_2) | instskip(NEXT) | instid1(VALU_DEP_1)
	v_add_nc_u32_e32 v133, -1, v135
	v_cndmask_b32_e64 v68, 0, v133, s13
	v_lshrrev_b32_e32 v133, 23, v134
	s_mov_b32 s13, exec_lo
	s_delay_alu instid0(VALU_DEP_2) | instskip(NEXT) | instid1(VALU_DEP_2)
	v_add_nc_u32_e32 v68, v68, v134
	v_xor_b32_e32 v133, 1, v133
	s_delay_alu instid0(VALU_DEP_2) | instskip(NEXT) | instid1(VALU_DEP_1)
	v_and_b32_e32 v67, 0x1fffff, v68
	v_add_nc_u32_e32 v68, v67, v134
                                        ; implicit-def: $vgpr67
	s_delay_alu instid0(VALU_DEP_3)
	v_cmpx_ne_u32_e64 v69, v133
	s_xor_b32 s13, exec_lo, s13
; %bb.9533:                             ;   in Loop: Header=BB4_9504 Depth=3
	s_delay_alu instid0(VALU_DEP_2) | instskip(SKIP_2) | instid1(VALU_DEP_2)
	v_cmp_lt_u32_e32 vcc_lo, 0xffffff, v68
	v_sub_nc_u32_e32 v67, v69, v133
	v_cndmask_b32_e64 v69, 0, 1, vcc_lo
	v_add_co_ci_u32_e32 v67, vcc_lo, 0, v67, vcc_lo
	s_delay_alu instid0(VALU_DEP_2)
	v_lshrrev_b32_e32 v68, v69, v68
; %bb.9534:                             ;   in Loop: Header=BB4_9504 Depth=3
	s_and_not1_saveexec_b32 s13, s13
; %bb.9535:                             ;   in Loop: Header=BB4_9504 Depth=3
	s_delay_alu instid0(VALU_DEP_1)
	v_bfe_u32 v67, v68, 23, 1
; %bb.9536:                             ;   in Loop: Header=BB4_9504 Depth=3
	s_or_b32 exec_lo, exec_lo, s13
	v_lshrrev_b32_e32 v68, 21, v68
	s_delay_alu instid0(VALU_DEP_2) | instskip(SKIP_2) | instid1(VALU_DEP_2)
	v_cmp_gt_i32_e32 vcc_lo, 32, v67
	v_min_i32_e32 v69, 31, v67
	v_lshrrev_b32_e32 v14, 24, v14
	v_dual_cndmask_b32 v68, 3, v68 :: v_dual_lshlrev_b32 v69, 2, v69
	s_delay_alu instid0(VALU_DEP_2) | instskip(NEXT) | instid1(VALU_DEP_2)
	v_and_b32_e32 v14, 0x80, v14
	v_or_b32_e32 v67, v67, v68
	s_delay_alu instid0(VALU_DEP_1) | instskip(SKIP_1) | instid1(VALU_DEP_1)
	v_cmp_ne_u32_e32 vcc_lo, 0, v67
	v_and_b32_e32 v133, 3, v68
	v_or3_b32 v14, v69, v14, v133
	s_delay_alu instid0(VALU_DEP_1)
	v_cndmask_b32_e32 v134, 0, v14, vcc_lo
.LBB4_9537:                             ;   in Loop: Header=BB4_9504 Depth=3
	s_or_b32 exec_lo, exec_lo, s30
.LBB4_9538:                             ;   in Loop: Header=BB4_9504 Depth=3
	s_delay_alu instid0(SALU_CYCLE_1)
	s_or_b32 exec_lo, exec_lo, s17
	flat_load_u8 v14, v[8:9] offset:64 slc dlc
	s_mov_b32 s13, 0
	s_mov_b32 s30, exec_lo
                                        ; implicit-def: $sgpr17
	s_waitcnt vmcnt(0) lgkmcnt(0)
	v_cmpx_lt_i16_e32 0x7f, v14
	s_xor_b32 s30, exec_lo, s30
	s_cbranch_execnz .LBB4_9971
; %bb.9539:                             ;   in Loop: Header=BB4_9504 Depth=3
	s_or_saveexec_b32 s30, s30
	v_mov_b32_e32 v67, s17
	s_xor_b32 exec_lo, exec_lo, s30
	s_cbranch_execnz .LBB4_9974
.LBB4_9540:                             ;   in Loop: Header=BB4_9504 Depth=3
	s_or_b32 exec_lo, exec_lo, s30
	s_and_saveexec_b32 s17, s13
	s_cbranch_execz .LBB4_9542
.LBB4_9541:                             ;   in Loop: Header=BB4_9504 Depth=3
	v_and_b32_e32 v67, 0xffff, v14
	v_lshlrev_b32_e32 v14, 24, v14
	s_delay_alu instid0(VALU_DEP_2) | instskip(NEXT) | instid1(VALU_DEP_2)
	v_and_b32_e32 v68, 3, v67
	v_and_b32_e32 v14, 0x80000000, v14
	s_delay_alu instid0(VALU_DEP_2) | instskip(NEXT) | instid1(VALU_DEP_1)
	v_clz_i32_u32_e32 v69, v68
	v_min_u32_e32 v69, 32, v69
	s_delay_alu instid0(VALU_DEP_1) | instskip(SKIP_1) | instid1(VALU_DEP_2)
	v_subrev_nc_u32_e32 v133, 29, v69
	v_sub_nc_u32_e32 v69, 30, v69
	v_lshlrev_b32_e32 v133, v133, v67
	v_bfe_u32 v67, v67, 2, 5
	s_delay_alu instid0(VALU_DEP_2) | instskip(NEXT) | instid1(VALU_DEP_2)
	v_and_b32_e32 v133, 3, v133
	v_cmp_eq_u32_e32 vcc_lo, 0, v67
	v_cndmask_b32_e32 v67, v67, v69, vcc_lo
	s_delay_alu instid0(VALU_DEP_3) | instskip(NEXT) | instid1(VALU_DEP_2)
	v_cndmask_b32_e32 v68, v68, v133, vcc_lo
	v_lshl_add_u32 v67, v67, 23, 0x37800000
	s_delay_alu instid0(VALU_DEP_2) | instskip(NEXT) | instid1(VALU_DEP_1)
	v_lshlrev_b32_e32 v68, 21, v68
	v_or3_b32 v67, v14, v67, v68
.LBB4_9542:                             ;   in Loop: Header=BB4_9504 Depth=3
	s_or_b32 exec_lo, exec_lo, s17
	s_delay_alu instid0(VALU_DEP_1) | instskip(SKIP_2) | instid1(VALU_DEP_2)
	v_mul_f32_e32 v14, v15, v67
	v_mov_b32_e32 v148, 0x80
	s_mov_b32 s17, exec_lo
	v_and_b32_e32 v67, 0x7f800000, v14
	s_delay_alu instid0(VALU_DEP_1)
	v_cmpx_ne_u32_e32 0x7f800000, v67
	s_cbranch_execz .LBB4_9550
; %bb.9543:                             ;   in Loop: Header=BB4_9504 Depth=3
	v_mov_b32_e32 v148, 0
	s_mov_b32 s30, exec_lo
	v_cmpx_ne_u32_e32 0, v14
	s_cbranch_execz .LBB4_9549
; %bb.9544:                             ;   in Loop: Header=BB4_9504 Depth=3
	v_bfe_u32 v67, v14, 23, 8
	s_delay_alu instid0(VALU_DEP_1) | instskip(SKIP_1) | instid1(VALU_DEP_2)
	v_sub_nc_u32_e32 v69, 0x70, v67
	v_cmp_gt_u32_e32 vcc_lo, 0x71, v67
	v_dual_cndmask_b32 v69, 0, v69 :: v_dual_and_b32 v68, 0x7fffff, v14
	s_delay_alu instid0(VALU_DEP_1) | instskip(SKIP_2) | instid1(VALU_DEP_4)
	v_or_b32_e32 v133, 0x800000, v68
	v_cmp_eq_u32_e32 vcc_lo, 0, v67
	v_add_nc_u32_e32 v67, 0xffffff91, v67
	v_cndmask_b32_e64 v69, v69, 0x6f, vcc_lo
	s_delay_alu instid0(VALU_DEP_4) | instskip(NEXT) | instid1(VALU_DEP_3)
	v_cndmask_b32_e32 v68, v133, v68, vcc_lo
	v_cndmask_b32_e64 v67, v67, 0xffffff92, vcc_lo
	s_delay_alu instid0(VALU_DEP_3) | instskip(NEXT) | instid1(VALU_DEP_3)
	v_lshl_add_u32 v133, 0x200000, v69, -1
	v_lshrrev_b32_e32 v135, v69, v68
	v_lshlrev_b32_e64 v145, v69, 0x100000
	s_delay_alu instid0(VALU_DEP_4) | instskip(NEXT) | instid1(VALU_DEP_4)
	v_add_nc_u32_e32 v69, v69, v67
	v_and_b32_e32 v68, v133, v68
	s_delay_alu instid0(VALU_DEP_4) | instskip(NEXT) | instid1(VALU_DEP_2)
	v_bfe_u32 v144, v135, 21, 1
	v_cmp_eq_u32_e64 s13, v68, v145
	s_delay_alu instid0(VALU_DEP_2) | instskip(NEXT) | instid1(VALU_DEP_1)
	v_add_nc_u32_e32 v133, -1, v144
	v_cndmask_b32_e64 v68, 0, v133, s13
	v_lshrrev_b32_e32 v133, 23, v135
	s_mov_b32 s13, exec_lo
	s_delay_alu instid0(VALU_DEP_2) | instskip(NEXT) | instid1(VALU_DEP_2)
	v_add_nc_u32_e32 v68, v68, v135
	v_xor_b32_e32 v133, 1, v133
	s_delay_alu instid0(VALU_DEP_2) | instskip(NEXT) | instid1(VALU_DEP_1)
	v_and_b32_e32 v67, 0x1fffff, v68
	v_add_nc_u32_e32 v68, v67, v135
                                        ; implicit-def: $vgpr67
	s_delay_alu instid0(VALU_DEP_3)
	v_cmpx_ne_u32_e64 v69, v133
	s_xor_b32 s13, exec_lo, s13
; %bb.9545:                             ;   in Loop: Header=BB4_9504 Depth=3
	s_delay_alu instid0(VALU_DEP_2) | instskip(SKIP_2) | instid1(VALU_DEP_2)
	v_cmp_lt_u32_e32 vcc_lo, 0xffffff, v68
	v_sub_nc_u32_e32 v67, v69, v133
	v_cndmask_b32_e64 v69, 0, 1, vcc_lo
	v_add_co_ci_u32_e32 v67, vcc_lo, 0, v67, vcc_lo
	s_delay_alu instid0(VALU_DEP_2)
	v_lshrrev_b32_e32 v68, v69, v68
; %bb.9546:                             ;   in Loop: Header=BB4_9504 Depth=3
	s_and_not1_saveexec_b32 s13, s13
; %bb.9547:                             ;   in Loop: Header=BB4_9504 Depth=3
	s_delay_alu instid0(VALU_DEP_1)
	v_bfe_u32 v67, v68, 23, 1
; %bb.9548:                             ;   in Loop: Header=BB4_9504 Depth=3
	s_or_b32 exec_lo, exec_lo, s13
	v_lshrrev_b32_e32 v68, 21, v68
	s_delay_alu instid0(VALU_DEP_2) | instskip(SKIP_2) | instid1(VALU_DEP_2)
	v_cmp_gt_i32_e32 vcc_lo, 32, v67
	v_min_i32_e32 v69, 31, v67
	v_lshrrev_b32_e32 v14, 24, v14
	v_dual_cndmask_b32 v68, 3, v68 :: v_dual_lshlrev_b32 v69, 2, v69
	s_delay_alu instid0(VALU_DEP_2) | instskip(NEXT) | instid1(VALU_DEP_2)
	v_and_b32_e32 v14, 0x80, v14
	v_or_b32_e32 v67, v67, v68
	s_delay_alu instid0(VALU_DEP_1) | instskip(SKIP_1) | instid1(VALU_DEP_1)
	v_cmp_ne_u32_e32 vcc_lo, 0, v67
	v_and_b32_e32 v133, 3, v68
	v_or3_b32 v14, v69, v14, v133
	s_delay_alu instid0(VALU_DEP_1)
	v_cndmask_b32_e32 v148, 0, v14, vcc_lo
.LBB4_9549:                             ;   in Loop: Header=BB4_9504 Depth=3
	s_or_b32 exec_lo, exec_lo, s30
.LBB4_9550:                             ;   in Loop: Header=BB4_9504 Depth=3
	s_delay_alu instid0(SALU_CYCLE_1)
	s_or_b32 exec_lo, exec_lo, s17
	flat_load_u8 v14, v[8:9] offset:96 slc dlc
	s_mov_b32 s13, 0
	s_mov_b32 s30, exec_lo
                                        ; implicit-def: $sgpr17
	s_waitcnt vmcnt(0) lgkmcnt(0)
	v_cmpx_lt_i16_e32 0x7f, v14
	s_xor_b32 s30, exec_lo, s30
	s_cbranch_execnz .LBB4_9975
; %bb.9551:                             ;   in Loop: Header=BB4_9504 Depth=3
	s_or_saveexec_b32 s30, s30
	v_mov_b32_e32 v67, s17
	s_xor_b32 exec_lo, exec_lo, s30
	s_cbranch_execnz .LBB4_9978
.LBB4_9552:                             ;   in Loop: Header=BB4_9504 Depth=3
	s_or_b32 exec_lo, exec_lo, s30
	s_and_saveexec_b32 s17, s13
	s_cbranch_execz .LBB4_9554
.LBB4_9553:                             ;   in Loop: Header=BB4_9504 Depth=3
	v_and_b32_e32 v67, 0xffff, v14
	v_lshlrev_b32_e32 v14, 24, v14
	s_delay_alu instid0(VALU_DEP_2) | instskip(NEXT) | instid1(VALU_DEP_2)
	v_and_b32_e32 v68, 3, v67
	v_and_b32_e32 v14, 0x80000000, v14
	s_delay_alu instid0(VALU_DEP_2) | instskip(NEXT) | instid1(VALU_DEP_1)
	v_clz_i32_u32_e32 v69, v68
	v_min_u32_e32 v69, 32, v69
	s_delay_alu instid0(VALU_DEP_1) | instskip(SKIP_1) | instid1(VALU_DEP_2)
	v_subrev_nc_u32_e32 v133, 29, v69
	v_sub_nc_u32_e32 v69, 30, v69
	v_lshlrev_b32_e32 v133, v133, v67
	v_bfe_u32 v67, v67, 2, 5
	s_delay_alu instid0(VALU_DEP_2) | instskip(NEXT) | instid1(VALU_DEP_2)
	v_and_b32_e32 v133, 3, v133
	v_cmp_eq_u32_e32 vcc_lo, 0, v67
	v_cndmask_b32_e32 v67, v67, v69, vcc_lo
	s_delay_alu instid0(VALU_DEP_3) | instskip(NEXT) | instid1(VALU_DEP_2)
	v_cndmask_b32_e32 v68, v68, v133, vcc_lo
	v_lshl_add_u32 v67, v67, 23, 0x37800000
	s_delay_alu instid0(VALU_DEP_2) | instskip(NEXT) | instid1(VALU_DEP_1)
	v_lshlrev_b32_e32 v68, 21, v68
	v_or3_b32 v67, v14, v67, v68
.LBB4_9554:                             ;   in Loop: Header=BB4_9504 Depth=3
	s_or_b32 exec_lo, exec_lo, s17
	s_delay_alu instid0(VALU_DEP_1) | instskip(SKIP_1) | instid1(VALU_DEP_1)
	v_dual_mul_f32 v14, v15, v67 :: v_dual_mov_b32 v161, 0x80
	s_mov_b32 s17, exec_lo
	v_and_b32_e32 v67, 0x7f800000, v14
	s_delay_alu instid0(VALU_DEP_1)
	v_cmpx_ne_u32_e32 0x7f800000, v67
	s_cbranch_execz .LBB4_9562
; %bb.9555:                             ;   in Loop: Header=BB4_9504 Depth=3
	v_mov_b32_e32 v161, 0
	s_mov_b32 s30, exec_lo
	v_cmpx_ne_u32_e32 0, v14
	s_cbranch_execz .LBB4_9561
; %bb.9556:                             ;   in Loop: Header=BB4_9504 Depth=3
	v_bfe_u32 v67, v14, 23, 8
	s_delay_alu instid0(VALU_DEP_1) | instskip(SKIP_1) | instid1(VALU_DEP_2)
	v_sub_nc_u32_e32 v69, 0x70, v67
	v_cmp_gt_u32_e32 vcc_lo, 0x71, v67
	v_dual_cndmask_b32 v69, 0, v69 :: v_dual_and_b32 v68, 0x7fffff, v14
	s_delay_alu instid0(VALU_DEP_1) | instskip(SKIP_2) | instid1(VALU_DEP_4)
	v_or_b32_e32 v133, 0x800000, v68
	v_cmp_eq_u32_e32 vcc_lo, 0, v67
	v_add_nc_u32_e32 v67, 0xffffff91, v67
	v_cndmask_b32_e64 v69, v69, 0x6f, vcc_lo
	s_delay_alu instid0(VALU_DEP_4) | instskip(NEXT) | instid1(VALU_DEP_3)
	v_cndmask_b32_e32 v68, v133, v68, vcc_lo
	v_cndmask_b32_e64 v67, v67, 0xffffff92, vcc_lo
	s_delay_alu instid0(VALU_DEP_3) | instskip(NEXT) | instid1(VALU_DEP_3)
	v_lshl_add_u32 v133, 0x200000, v69, -1
	v_lshrrev_b32_e32 v135, v69, v68
	v_lshlrev_b32_e64 v145, v69, 0x100000
	s_delay_alu instid0(VALU_DEP_4) | instskip(NEXT) | instid1(VALU_DEP_4)
	v_add_nc_u32_e32 v69, v69, v67
	v_and_b32_e32 v68, v133, v68
	s_delay_alu instid0(VALU_DEP_4) | instskip(NEXT) | instid1(VALU_DEP_2)
	v_bfe_u32 v144, v135, 21, 1
	v_cmp_eq_u32_e64 s13, v68, v145
	s_delay_alu instid0(VALU_DEP_2) | instskip(NEXT) | instid1(VALU_DEP_1)
	v_add_nc_u32_e32 v133, -1, v144
	v_cndmask_b32_e64 v68, 0, v133, s13
	v_lshrrev_b32_e32 v133, 23, v135
	s_mov_b32 s13, exec_lo
	s_delay_alu instid0(VALU_DEP_2) | instskip(NEXT) | instid1(VALU_DEP_2)
	v_add_nc_u32_e32 v68, v68, v135
	v_xor_b32_e32 v133, 1, v133
	s_delay_alu instid0(VALU_DEP_2) | instskip(NEXT) | instid1(VALU_DEP_1)
	v_and_b32_e32 v67, 0x1fffff, v68
	v_add_nc_u32_e32 v68, v67, v135
                                        ; implicit-def: $vgpr67
	s_delay_alu instid0(VALU_DEP_3)
	v_cmpx_ne_u32_e64 v69, v133
	s_xor_b32 s13, exec_lo, s13
; %bb.9557:                             ;   in Loop: Header=BB4_9504 Depth=3
	s_delay_alu instid0(VALU_DEP_2) | instskip(SKIP_2) | instid1(VALU_DEP_2)
	v_cmp_lt_u32_e32 vcc_lo, 0xffffff, v68
	v_sub_nc_u32_e32 v67, v69, v133
	v_cndmask_b32_e64 v69, 0, 1, vcc_lo
	v_add_co_ci_u32_e32 v67, vcc_lo, 0, v67, vcc_lo
	s_delay_alu instid0(VALU_DEP_2)
	v_lshrrev_b32_e32 v68, v69, v68
; %bb.9558:                             ;   in Loop: Header=BB4_9504 Depth=3
	s_and_not1_saveexec_b32 s13, s13
; %bb.9559:                             ;   in Loop: Header=BB4_9504 Depth=3
	s_delay_alu instid0(VALU_DEP_1)
	v_bfe_u32 v67, v68, 23, 1
; %bb.9560:                             ;   in Loop: Header=BB4_9504 Depth=3
	s_or_b32 exec_lo, exec_lo, s13
	v_lshrrev_b32_e32 v68, 21, v68
	s_delay_alu instid0(VALU_DEP_2) | instskip(SKIP_2) | instid1(VALU_DEP_4)
	v_cmp_gt_i32_e32 vcc_lo, 32, v67
	v_lshrrev_b32_e32 v14, 24, v14
	v_min_i32_e32 v69, 31, v67
	v_cndmask_b32_e32 v68, 3, v68, vcc_lo
	s_delay_alu instid0(VALU_DEP_3) | instskip(NEXT) | instid1(VALU_DEP_3)
	v_and_b32_e32 v14, 0x80, v14
	v_lshlrev_b32_e32 v69, 2, v69
	s_delay_alu instid0(VALU_DEP_3) | instskip(SKIP_1) | instid1(VALU_DEP_2)
	v_and_b32_e32 v133, 3, v68
	v_or_b32_e32 v67, v67, v68
	v_or3_b32 v14, v69, v14, v133
	s_delay_alu instid0(VALU_DEP_2) | instskip(NEXT) | instid1(VALU_DEP_2)
	v_cmp_ne_u32_e32 vcc_lo, 0, v67
	v_cndmask_b32_e32 v161, 0, v14, vcc_lo
.LBB4_9561:                             ;   in Loop: Header=BB4_9504 Depth=3
	s_or_b32 exec_lo, exec_lo, s30
.LBB4_9562:                             ;   in Loop: Header=BB4_9504 Depth=3
	s_delay_alu instid0(SALU_CYCLE_1)
	s_or_b32 exec_lo, exec_lo, s17
	flat_load_u8 v14, v[8:9] offset:128 slc dlc
	s_mov_b32 s13, 0
	s_mov_b32 s30, exec_lo
                                        ; implicit-def: $sgpr17
	s_waitcnt vmcnt(0) lgkmcnt(0)
	v_cmpx_lt_i16_e32 0x7f, v14
	s_xor_b32 s30, exec_lo, s30
	s_cbranch_execnz .LBB4_9979
; %bb.9563:                             ;   in Loop: Header=BB4_9504 Depth=3
	s_or_saveexec_b32 s30, s30
	v_mov_b32_e32 v67, s17
	s_xor_b32 exec_lo, exec_lo, s30
	s_cbranch_execnz .LBB4_9982
.LBB4_9564:                             ;   in Loop: Header=BB4_9504 Depth=3
	s_or_b32 exec_lo, exec_lo, s30
	s_and_saveexec_b32 s17, s13
	s_cbranch_execz .LBB4_9566
.LBB4_9565:                             ;   in Loop: Header=BB4_9504 Depth=3
	v_and_b32_e32 v67, 0xffff, v14
	v_lshlrev_b32_e32 v14, 24, v14
	s_delay_alu instid0(VALU_DEP_2) | instskip(NEXT) | instid1(VALU_DEP_2)
	v_and_b32_e32 v68, 3, v67
	v_and_b32_e32 v14, 0x80000000, v14
	s_delay_alu instid0(VALU_DEP_2) | instskip(NEXT) | instid1(VALU_DEP_1)
	v_clz_i32_u32_e32 v69, v68
	v_min_u32_e32 v69, 32, v69
	s_delay_alu instid0(VALU_DEP_1) | instskip(SKIP_1) | instid1(VALU_DEP_2)
	v_subrev_nc_u32_e32 v133, 29, v69
	v_sub_nc_u32_e32 v69, 30, v69
	v_lshlrev_b32_e32 v133, v133, v67
	v_bfe_u32 v67, v67, 2, 5
	s_delay_alu instid0(VALU_DEP_2) | instskip(NEXT) | instid1(VALU_DEP_2)
	v_and_b32_e32 v133, 3, v133
	v_cmp_eq_u32_e32 vcc_lo, 0, v67
	v_cndmask_b32_e32 v67, v67, v69, vcc_lo
	s_delay_alu instid0(VALU_DEP_3) | instskip(NEXT) | instid1(VALU_DEP_2)
	v_cndmask_b32_e32 v68, v68, v133, vcc_lo
	v_lshl_add_u32 v67, v67, 23, 0x37800000
	s_delay_alu instid0(VALU_DEP_2) | instskip(NEXT) | instid1(VALU_DEP_1)
	v_lshlrev_b32_e32 v68, 21, v68
	v_or3_b32 v67, v14, v67, v68
.LBB4_9566:                             ;   in Loop: Header=BB4_9504 Depth=3
	s_or_b32 exec_lo, exec_lo, s17
	s_delay_alu instid0(VALU_DEP_1) | instskip(SKIP_2) | instid1(VALU_DEP_2)
	v_mul_f32_e32 v14, v15, v67
	v_mov_b32_e32 v162, 0x80
	s_mov_b32 s17, exec_lo
	v_and_b32_e32 v67, 0x7f800000, v14
	s_delay_alu instid0(VALU_DEP_1)
	v_cmpx_ne_u32_e32 0x7f800000, v67
	s_cbranch_execz .LBB4_9574
; %bb.9567:                             ;   in Loop: Header=BB4_9504 Depth=3
	v_mov_b32_e32 v162, 0
	s_mov_b32 s30, exec_lo
	v_cmpx_ne_u32_e32 0, v14
	s_cbranch_execz .LBB4_9573
; %bb.9568:                             ;   in Loop: Header=BB4_9504 Depth=3
	v_bfe_u32 v67, v14, 23, 8
	s_delay_alu instid0(VALU_DEP_1) | instskip(SKIP_1) | instid1(VALU_DEP_2)
	v_sub_nc_u32_e32 v69, 0x70, v67
	v_cmp_gt_u32_e32 vcc_lo, 0x71, v67
	v_dual_cndmask_b32 v69, 0, v69 :: v_dual_and_b32 v68, 0x7fffff, v14
	s_delay_alu instid0(VALU_DEP_1) | instskip(SKIP_2) | instid1(VALU_DEP_4)
	v_or_b32_e32 v133, 0x800000, v68
	v_cmp_eq_u32_e32 vcc_lo, 0, v67
	v_add_nc_u32_e32 v67, 0xffffff91, v67
	v_cndmask_b32_e64 v69, v69, 0x6f, vcc_lo
	s_delay_alu instid0(VALU_DEP_4) | instskip(NEXT) | instid1(VALU_DEP_3)
	v_cndmask_b32_e32 v68, v133, v68, vcc_lo
	v_cndmask_b32_e64 v67, v67, 0xffffff92, vcc_lo
	s_delay_alu instid0(VALU_DEP_3) | instskip(NEXT) | instid1(VALU_DEP_3)
	v_lshl_add_u32 v133, 0x200000, v69, -1
	v_lshrrev_b32_e32 v135, v69, v68
	v_lshlrev_b32_e64 v145, v69, 0x100000
	s_delay_alu instid0(VALU_DEP_4) | instskip(NEXT) | instid1(VALU_DEP_4)
	v_add_nc_u32_e32 v69, v69, v67
	v_and_b32_e32 v68, v133, v68
	s_delay_alu instid0(VALU_DEP_4) | instskip(NEXT) | instid1(VALU_DEP_2)
	v_bfe_u32 v144, v135, 21, 1
	v_cmp_eq_u32_e64 s13, v68, v145
	s_delay_alu instid0(VALU_DEP_2) | instskip(NEXT) | instid1(VALU_DEP_1)
	v_add_nc_u32_e32 v133, -1, v144
	v_cndmask_b32_e64 v68, 0, v133, s13
	v_lshrrev_b32_e32 v133, 23, v135
	s_mov_b32 s13, exec_lo
	s_delay_alu instid0(VALU_DEP_2) | instskip(NEXT) | instid1(VALU_DEP_2)
	v_add_nc_u32_e32 v68, v68, v135
	v_xor_b32_e32 v133, 1, v133
	s_delay_alu instid0(VALU_DEP_2) | instskip(NEXT) | instid1(VALU_DEP_1)
	v_and_b32_e32 v67, 0x1fffff, v68
	v_add_nc_u32_e32 v68, v67, v135
                                        ; implicit-def: $vgpr67
	s_delay_alu instid0(VALU_DEP_3)
	v_cmpx_ne_u32_e64 v69, v133
	s_xor_b32 s13, exec_lo, s13
; %bb.9569:                             ;   in Loop: Header=BB4_9504 Depth=3
	s_delay_alu instid0(VALU_DEP_2) | instskip(SKIP_2) | instid1(VALU_DEP_2)
	v_cmp_lt_u32_e32 vcc_lo, 0xffffff, v68
	v_sub_nc_u32_e32 v67, v69, v133
	v_cndmask_b32_e64 v69, 0, 1, vcc_lo
	v_add_co_ci_u32_e32 v67, vcc_lo, 0, v67, vcc_lo
	s_delay_alu instid0(VALU_DEP_2)
	v_lshrrev_b32_e32 v68, v69, v68
; %bb.9570:                             ;   in Loop: Header=BB4_9504 Depth=3
	s_and_not1_saveexec_b32 s13, s13
; %bb.9571:                             ;   in Loop: Header=BB4_9504 Depth=3
	s_delay_alu instid0(VALU_DEP_1)
	v_bfe_u32 v67, v68, 23, 1
; %bb.9572:                             ;   in Loop: Header=BB4_9504 Depth=3
	s_or_b32 exec_lo, exec_lo, s13
	v_lshrrev_b32_e32 v68, 21, v68
	s_delay_alu instid0(VALU_DEP_2) | instskip(SKIP_2) | instid1(VALU_DEP_2)
	v_cmp_gt_i32_e32 vcc_lo, 32, v67
	v_min_i32_e32 v69, 31, v67
	v_lshrrev_b32_e32 v14, 24, v14
	v_dual_cndmask_b32 v68, 3, v68 :: v_dual_lshlrev_b32 v69, 2, v69
	s_delay_alu instid0(VALU_DEP_2) | instskip(NEXT) | instid1(VALU_DEP_2)
	v_and_b32_e32 v14, 0x80, v14
	v_or_b32_e32 v67, v67, v68
	s_delay_alu instid0(VALU_DEP_1) | instskip(SKIP_1) | instid1(VALU_DEP_1)
	v_cmp_ne_u32_e32 vcc_lo, 0, v67
	v_and_b32_e32 v133, 3, v68
	v_or3_b32 v14, v69, v14, v133
	s_delay_alu instid0(VALU_DEP_1)
	v_cndmask_b32_e32 v162, 0, v14, vcc_lo
.LBB4_9573:                             ;   in Loop: Header=BB4_9504 Depth=3
	s_or_b32 exec_lo, exec_lo, s30
.LBB4_9574:                             ;   in Loop: Header=BB4_9504 Depth=3
	s_delay_alu instid0(SALU_CYCLE_1)
	s_or_b32 exec_lo, exec_lo, s17
	flat_load_u8 v14, v[8:9] offset:160 slc dlc
	s_mov_b32 s13, 0
	s_mov_b32 s30, exec_lo
                                        ; implicit-def: $sgpr17
	s_waitcnt vmcnt(0) lgkmcnt(0)
	v_cmpx_lt_i16_e32 0x7f, v14
	s_xor_b32 s30, exec_lo, s30
	s_cbranch_execnz .LBB4_9983
; %bb.9575:                             ;   in Loop: Header=BB4_9504 Depth=3
	s_or_saveexec_b32 s30, s30
	v_mov_b32_e32 v67, s17
	s_xor_b32 exec_lo, exec_lo, s30
	s_cbranch_execnz .LBB4_9986
.LBB4_9576:                             ;   in Loop: Header=BB4_9504 Depth=3
	s_or_b32 exec_lo, exec_lo, s30
	s_and_saveexec_b32 s17, s13
	s_cbranch_execz .LBB4_9578
.LBB4_9577:                             ;   in Loop: Header=BB4_9504 Depth=3
	v_and_b32_e32 v67, 0xffff, v14
	v_lshlrev_b32_e32 v14, 24, v14
	s_delay_alu instid0(VALU_DEP_2) | instskip(NEXT) | instid1(VALU_DEP_2)
	v_and_b32_e32 v68, 3, v67
	v_and_b32_e32 v14, 0x80000000, v14
	s_delay_alu instid0(VALU_DEP_2) | instskip(NEXT) | instid1(VALU_DEP_1)
	v_clz_i32_u32_e32 v69, v68
	v_min_u32_e32 v69, 32, v69
	s_delay_alu instid0(VALU_DEP_1) | instskip(SKIP_1) | instid1(VALU_DEP_2)
	v_subrev_nc_u32_e32 v133, 29, v69
	v_sub_nc_u32_e32 v69, 30, v69
	v_lshlrev_b32_e32 v133, v133, v67
	v_bfe_u32 v67, v67, 2, 5
	s_delay_alu instid0(VALU_DEP_2) | instskip(NEXT) | instid1(VALU_DEP_2)
	v_and_b32_e32 v133, 3, v133
	v_cmp_eq_u32_e32 vcc_lo, 0, v67
	v_cndmask_b32_e32 v67, v67, v69, vcc_lo
	s_delay_alu instid0(VALU_DEP_3) | instskip(NEXT) | instid1(VALU_DEP_2)
	v_cndmask_b32_e32 v68, v68, v133, vcc_lo
	v_lshl_add_u32 v67, v67, 23, 0x37800000
	s_delay_alu instid0(VALU_DEP_2) | instskip(NEXT) | instid1(VALU_DEP_1)
	v_lshlrev_b32_e32 v68, 21, v68
	v_or3_b32 v67, v14, v67, v68
.LBB4_9578:                             ;   in Loop: Header=BB4_9504 Depth=3
	s_or_b32 exec_lo, exec_lo, s17
	s_delay_alu instid0(VALU_DEP_1) | instskip(SKIP_2) | instid1(VALU_DEP_2)
	v_mul_f32_e32 v14, v15, v67
	v_mov_b32_e32 v160, 0x80
	s_mov_b32 s17, exec_lo
	v_and_b32_e32 v67, 0x7f800000, v14
	s_delay_alu instid0(VALU_DEP_1)
	v_cmpx_ne_u32_e32 0x7f800000, v67
	s_cbranch_execz .LBB4_9586
; %bb.9579:                             ;   in Loop: Header=BB4_9504 Depth=3
	v_mov_b32_e32 v160, 0
	s_mov_b32 s30, exec_lo
	v_cmpx_ne_u32_e32 0, v14
	s_cbranch_execz .LBB4_9585
; %bb.9580:                             ;   in Loop: Header=BB4_9504 Depth=3
	v_bfe_u32 v67, v14, 23, 8
	s_delay_alu instid0(VALU_DEP_1) | instskip(SKIP_1) | instid1(VALU_DEP_2)
	v_sub_nc_u32_e32 v69, 0x70, v67
	v_cmp_gt_u32_e32 vcc_lo, 0x71, v67
	v_dual_cndmask_b32 v69, 0, v69 :: v_dual_and_b32 v68, 0x7fffff, v14
	s_delay_alu instid0(VALU_DEP_1) | instskip(SKIP_2) | instid1(VALU_DEP_4)
	v_or_b32_e32 v133, 0x800000, v68
	v_cmp_eq_u32_e32 vcc_lo, 0, v67
	v_add_nc_u32_e32 v67, 0xffffff91, v67
	v_cndmask_b32_e64 v69, v69, 0x6f, vcc_lo
	s_delay_alu instid0(VALU_DEP_4) | instskip(NEXT) | instid1(VALU_DEP_3)
	v_cndmask_b32_e32 v68, v133, v68, vcc_lo
	v_cndmask_b32_e64 v67, v67, 0xffffff92, vcc_lo
	s_delay_alu instid0(VALU_DEP_3) | instskip(NEXT) | instid1(VALU_DEP_3)
	v_lshl_add_u32 v133, 0x200000, v69, -1
	v_lshrrev_b32_e32 v135, v69, v68
	v_lshlrev_b32_e64 v145, v69, 0x100000
	s_delay_alu instid0(VALU_DEP_4) | instskip(NEXT) | instid1(VALU_DEP_4)
	v_add_nc_u32_e32 v69, v69, v67
	v_and_b32_e32 v68, v133, v68
	s_delay_alu instid0(VALU_DEP_4) | instskip(NEXT) | instid1(VALU_DEP_2)
	v_bfe_u32 v144, v135, 21, 1
	v_cmp_eq_u32_e64 s13, v68, v145
	s_delay_alu instid0(VALU_DEP_2) | instskip(NEXT) | instid1(VALU_DEP_1)
	v_add_nc_u32_e32 v133, -1, v144
	v_cndmask_b32_e64 v68, 0, v133, s13
	v_lshrrev_b32_e32 v133, 23, v135
	s_mov_b32 s13, exec_lo
	s_delay_alu instid0(VALU_DEP_2) | instskip(NEXT) | instid1(VALU_DEP_2)
	v_add_nc_u32_e32 v68, v68, v135
	v_xor_b32_e32 v133, 1, v133
	s_delay_alu instid0(VALU_DEP_2) | instskip(NEXT) | instid1(VALU_DEP_1)
	v_and_b32_e32 v67, 0x1fffff, v68
	v_add_nc_u32_e32 v68, v67, v135
                                        ; implicit-def: $vgpr67
	s_delay_alu instid0(VALU_DEP_3)
	v_cmpx_ne_u32_e64 v69, v133
	s_xor_b32 s13, exec_lo, s13
; %bb.9581:                             ;   in Loop: Header=BB4_9504 Depth=3
	s_delay_alu instid0(VALU_DEP_2) | instskip(SKIP_2) | instid1(VALU_DEP_2)
	v_cmp_lt_u32_e32 vcc_lo, 0xffffff, v68
	v_sub_nc_u32_e32 v67, v69, v133
	v_cndmask_b32_e64 v69, 0, 1, vcc_lo
	v_add_co_ci_u32_e32 v67, vcc_lo, 0, v67, vcc_lo
	s_delay_alu instid0(VALU_DEP_2)
	v_lshrrev_b32_e32 v68, v69, v68
; %bb.9582:                             ;   in Loop: Header=BB4_9504 Depth=3
	s_and_not1_saveexec_b32 s13, s13
; %bb.9583:                             ;   in Loop: Header=BB4_9504 Depth=3
	s_delay_alu instid0(VALU_DEP_1)
	v_bfe_u32 v67, v68, 23, 1
; %bb.9584:                             ;   in Loop: Header=BB4_9504 Depth=3
	s_or_b32 exec_lo, exec_lo, s13
	v_lshrrev_b32_e32 v68, 21, v68
	s_delay_alu instid0(VALU_DEP_2) | instskip(SKIP_2) | instid1(VALU_DEP_2)
	v_cmp_gt_i32_e32 vcc_lo, 32, v67
	v_min_i32_e32 v69, 31, v67
	v_lshrrev_b32_e32 v14, 24, v14
	v_dual_cndmask_b32 v68, 3, v68 :: v_dual_lshlrev_b32 v69, 2, v69
	s_delay_alu instid0(VALU_DEP_2) | instskip(NEXT) | instid1(VALU_DEP_2)
	v_and_b32_e32 v14, 0x80, v14
	v_or_b32_e32 v67, v67, v68
	s_delay_alu instid0(VALU_DEP_1) | instskip(SKIP_1) | instid1(VALU_DEP_1)
	v_cmp_ne_u32_e32 vcc_lo, 0, v67
	v_and_b32_e32 v133, 3, v68
	v_or3_b32 v14, v69, v14, v133
	s_delay_alu instid0(VALU_DEP_1)
	v_cndmask_b32_e32 v160, 0, v14, vcc_lo
.LBB4_9585:                             ;   in Loop: Header=BB4_9504 Depth=3
	s_or_b32 exec_lo, exec_lo, s30
.LBB4_9586:                             ;   in Loop: Header=BB4_9504 Depth=3
	s_delay_alu instid0(SALU_CYCLE_1)
	s_or_b32 exec_lo, exec_lo, s17
	flat_load_u8 v14, v[8:9] offset:192 slc dlc
	s_mov_b32 s13, 0
	s_mov_b32 s30, exec_lo
                                        ; implicit-def: $sgpr17
	s_waitcnt vmcnt(0) lgkmcnt(0)
	v_cmpx_lt_i16_e32 0x7f, v14
	s_xor_b32 s30, exec_lo, s30
	s_cbranch_execnz .LBB4_9987
; %bb.9587:                             ;   in Loop: Header=BB4_9504 Depth=3
	s_or_saveexec_b32 s30, s30
	v_mov_b32_e32 v67, s17
	s_xor_b32 exec_lo, exec_lo, s30
	s_cbranch_execnz .LBB4_9990
.LBB4_9588:                             ;   in Loop: Header=BB4_9504 Depth=3
	s_or_b32 exec_lo, exec_lo, s30
	s_and_saveexec_b32 s17, s13
	s_cbranch_execz .LBB4_9590
.LBB4_9589:                             ;   in Loop: Header=BB4_9504 Depth=3
	v_and_b32_e32 v67, 0xffff, v14
	v_lshlrev_b32_e32 v14, 24, v14
	s_delay_alu instid0(VALU_DEP_2) | instskip(NEXT) | instid1(VALU_DEP_2)
	v_and_b32_e32 v68, 3, v67
	v_and_b32_e32 v14, 0x80000000, v14
	s_delay_alu instid0(VALU_DEP_2) | instskip(NEXT) | instid1(VALU_DEP_1)
	v_clz_i32_u32_e32 v69, v68
	v_min_u32_e32 v69, 32, v69
	s_delay_alu instid0(VALU_DEP_1) | instskip(SKIP_1) | instid1(VALU_DEP_2)
	v_subrev_nc_u32_e32 v133, 29, v69
	v_sub_nc_u32_e32 v69, 30, v69
	v_lshlrev_b32_e32 v133, v133, v67
	v_bfe_u32 v67, v67, 2, 5
	s_delay_alu instid0(VALU_DEP_2) | instskip(NEXT) | instid1(VALU_DEP_2)
	v_and_b32_e32 v133, 3, v133
	v_cmp_eq_u32_e32 vcc_lo, 0, v67
	v_cndmask_b32_e32 v67, v67, v69, vcc_lo
	s_delay_alu instid0(VALU_DEP_3) | instskip(NEXT) | instid1(VALU_DEP_2)
	v_cndmask_b32_e32 v68, v68, v133, vcc_lo
	v_lshl_add_u32 v67, v67, 23, 0x37800000
	s_delay_alu instid0(VALU_DEP_2) | instskip(NEXT) | instid1(VALU_DEP_1)
	v_lshlrev_b32_e32 v68, 21, v68
	v_or3_b32 v67, v14, v67, v68
.LBB4_9590:                             ;   in Loop: Header=BB4_9504 Depth=3
	s_or_b32 exec_lo, exec_lo, s17
	s_delay_alu instid0(VALU_DEP_1) | instskip(SKIP_1) | instid1(VALU_DEP_1)
	v_dual_mul_f32 v14, v15, v67 :: v_dual_mov_b32 v151, 0x80
	s_mov_b32 s17, exec_lo
	v_and_b32_e32 v67, 0x7f800000, v14
	s_delay_alu instid0(VALU_DEP_1)
	v_cmpx_ne_u32_e32 0x7f800000, v67
	s_cbranch_execz .LBB4_9598
; %bb.9591:                             ;   in Loop: Header=BB4_9504 Depth=3
	v_mov_b32_e32 v151, 0
	s_mov_b32 s30, exec_lo
	v_cmpx_ne_u32_e32 0, v14
	s_cbranch_execz .LBB4_9597
; %bb.9592:                             ;   in Loop: Header=BB4_9504 Depth=3
	v_bfe_u32 v67, v14, 23, 8
	s_delay_alu instid0(VALU_DEP_1) | instskip(SKIP_1) | instid1(VALU_DEP_2)
	v_sub_nc_u32_e32 v69, 0x70, v67
	v_cmp_gt_u32_e32 vcc_lo, 0x71, v67
	v_dual_cndmask_b32 v69, 0, v69 :: v_dual_and_b32 v68, 0x7fffff, v14
	s_delay_alu instid0(VALU_DEP_1) | instskip(SKIP_2) | instid1(VALU_DEP_4)
	v_or_b32_e32 v133, 0x800000, v68
	v_cmp_eq_u32_e32 vcc_lo, 0, v67
	v_add_nc_u32_e32 v67, 0xffffff91, v67
	v_cndmask_b32_e64 v69, v69, 0x6f, vcc_lo
	s_delay_alu instid0(VALU_DEP_4) | instskip(NEXT) | instid1(VALU_DEP_3)
	v_cndmask_b32_e32 v68, v133, v68, vcc_lo
	v_cndmask_b32_e64 v67, v67, 0xffffff92, vcc_lo
	s_delay_alu instid0(VALU_DEP_3) | instskip(NEXT) | instid1(VALU_DEP_3)
	v_lshl_add_u32 v133, 0x200000, v69, -1
	v_lshrrev_b32_e32 v135, v69, v68
	v_lshlrev_b32_e64 v145, v69, 0x100000
	s_delay_alu instid0(VALU_DEP_4) | instskip(NEXT) | instid1(VALU_DEP_4)
	v_add_nc_u32_e32 v69, v69, v67
	v_and_b32_e32 v68, v133, v68
	s_delay_alu instid0(VALU_DEP_4) | instskip(NEXT) | instid1(VALU_DEP_2)
	v_bfe_u32 v144, v135, 21, 1
	v_cmp_eq_u32_e64 s13, v68, v145
	s_delay_alu instid0(VALU_DEP_2) | instskip(NEXT) | instid1(VALU_DEP_1)
	v_add_nc_u32_e32 v133, -1, v144
	v_cndmask_b32_e64 v68, 0, v133, s13
	v_lshrrev_b32_e32 v133, 23, v135
	s_mov_b32 s13, exec_lo
	s_delay_alu instid0(VALU_DEP_2) | instskip(NEXT) | instid1(VALU_DEP_2)
	v_add_nc_u32_e32 v68, v68, v135
	v_xor_b32_e32 v133, 1, v133
	s_delay_alu instid0(VALU_DEP_2) | instskip(NEXT) | instid1(VALU_DEP_1)
	v_and_b32_e32 v67, 0x1fffff, v68
	v_add_nc_u32_e32 v68, v67, v135
                                        ; implicit-def: $vgpr67
	s_delay_alu instid0(VALU_DEP_3)
	v_cmpx_ne_u32_e64 v69, v133
	s_xor_b32 s13, exec_lo, s13
; %bb.9593:                             ;   in Loop: Header=BB4_9504 Depth=3
	s_delay_alu instid0(VALU_DEP_2) | instskip(SKIP_2) | instid1(VALU_DEP_2)
	v_cmp_lt_u32_e32 vcc_lo, 0xffffff, v68
	v_sub_nc_u32_e32 v67, v69, v133
	v_cndmask_b32_e64 v69, 0, 1, vcc_lo
	v_add_co_ci_u32_e32 v67, vcc_lo, 0, v67, vcc_lo
	s_delay_alu instid0(VALU_DEP_2)
	v_lshrrev_b32_e32 v68, v69, v68
; %bb.9594:                             ;   in Loop: Header=BB4_9504 Depth=3
	s_and_not1_saveexec_b32 s13, s13
; %bb.9595:                             ;   in Loop: Header=BB4_9504 Depth=3
	s_delay_alu instid0(VALU_DEP_1)
	v_bfe_u32 v67, v68, 23, 1
; %bb.9596:                             ;   in Loop: Header=BB4_9504 Depth=3
	s_or_b32 exec_lo, exec_lo, s13
	v_lshrrev_b32_e32 v68, 21, v68
	s_delay_alu instid0(VALU_DEP_2) | instskip(SKIP_2) | instid1(VALU_DEP_4)
	v_cmp_gt_i32_e32 vcc_lo, 32, v67
	v_lshrrev_b32_e32 v14, 24, v14
	v_min_i32_e32 v69, 31, v67
	v_cndmask_b32_e32 v68, 3, v68, vcc_lo
	s_delay_alu instid0(VALU_DEP_3) | instskip(NEXT) | instid1(VALU_DEP_3)
	v_and_b32_e32 v14, 0x80, v14
	v_lshlrev_b32_e32 v69, 2, v69
	s_delay_alu instid0(VALU_DEP_3) | instskip(SKIP_1) | instid1(VALU_DEP_2)
	v_and_b32_e32 v133, 3, v68
	v_or_b32_e32 v67, v67, v68
	v_or3_b32 v14, v69, v14, v133
	s_delay_alu instid0(VALU_DEP_2) | instskip(NEXT) | instid1(VALU_DEP_2)
	v_cmp_ne_u32_e32 vcc_lo, 0, v67
	v_cndmask_b32_e32 v151, 0, v14, vcc_lo
.LBB4_9597:                             ;   in Loop: Header=BB4_9504 Depth=3
	s_or_b32 exec_lo, exec_lo, s30
.LBB4_9598:                             ;   in Loop: Header=BB4_9504 Depth=3
	s_delay_alu instid0(SALU_CYCLE_1)
	s_or_b32 exec_lo, exec_lo, s17
	flat_load_u8 v14, v[8:9] offset:224 slc dlc
	s_mov_b32 s13, 0
	s_mov_b32 s30, exec_lo
                                        ; implicit-def: $sgpr17
	s_waitcnt vmcnt(0) lgkmcnt(0)
	v_cmpx_lt_i16_e32 0x7f, v14
	s_xor_b32 s30, exec_lo, s30
	s_cbranch_execnz .LBB4_9991
; %bb.9599:                             ;   in Loop: Header=BB4_9504 Depth=3
	s_or_saveexec_b32 s30, s30
	v_mov_b32_e32 v67, s17
	s_xor_b32 exec_lo, exec_lo, s30
	s_cbranch_execnz .LBB4_9994
.LBB4_9600:                             ;   in Loop: Header=BB4_9504 Depth=3
	s_or_b32 exec_lo, exec_lo, s30
	s_and_saveexec_b32 s17, s13
	s_cbranch_execz .LBB4_9602
.LBB4_9601:                             ;   in Loop: Header=BB4_9504 Depth=3
	v_and_b32_e32 v67, 0xffff, v14
	v_lshlrev_b32_e32 v14, 24, v14
	s_delay_alu instid0(VALU_DEP_2) | instskip(NEXT) | instid1(VALU_DEP_2)
	v_and_b32_e32 v68, 3, v67
	v_and_b32_e32 v14, 0x80000000, v14
	s_delay_alu instid0(VALU_DEP_2) | instskip(NEXT) | instid1(VALU_DEP_1)
	v_clz_i32_u32_e32 v69, v68
	v_min_u32_e32 v69, 32, v69
	s_delay_alu instid0(VALU_DEP_1) | instskip(SKIP_1) | instid1(VALU_DEP_2)
	v_subrev_nc_u32_e32 v133, 29, v69
	v_sub_nc_u32_e32 v69, 30, v69
	v_lshlrev_b32_e32 v133, v133, v67
	v_bfe_u32 v67, v67, 2, 5
	s_delay_alu instid0(VALU_DEP_2) | instskip(NEXT) | instid1(VALU_DEP_2)
	v_and_b32_e32 v133, 3, v133
	v_cmp_eq_u32_e32 vcc_lo, 0, v67
	v_cndmask_b32_e32 v67, v67, v69, vcc_lo
	s_delay_alu instid0(VALU_DEP_3) | instskip(NEXT) | instid1(VALU_DEP_2)
	v_cndmask_b32_e32 v68, v68, v133, vcc_lo
	v_lshl_add_u32 v67, v67, 23, 0x37800000
	s_delay_alu instid0(VALU_DEP_2) | instskip(NEXT) | instid1(VALU_DEP_1)
	v_lshlrev_b32_e32 v68, 21, v68
	v_or3_b32 v67, v14, v67, v68
.LBB4_9602:                             ;   in Loop: Header=BB4_9504 Depth=3
	s_or_b32 exec_lo, exec_lo, s17
	s_delay_alu instid0(VALU_DEP_1) | instskip(SKIP_1) | instid1(VALU_DEP_1)
	v_dual_mul_f32 v14, v15, v67 :: v_dual_mov_b32 v149, 0x80
	s_mov_b32 s17, exec_lo
	v_and_b32_e32 v67, 0x7f800000, v14
	s_delay_alu instid0(VALU_DEP_1)
	v_cmpx_ne_u32_e32 0x7f800000, v67
	s_cbranch_execz .LBB4_9610
; %bb.9603:                             ;   in Loop: Header=BB4_9504 Depth=3
	v_mov_b32_e32 v149, 0
	s_mov_b32 s30, exec_lo
	v_cmpx_ne_u32_e32 0, v14
	s_cbranch_execz .LBB4_9609
; %bb.9604:                             ;   in Loop: Header=BB4_9504 Depth=3
	v_bfe_u32 v67, v14, 23, 8
	s_delay_alu instid0(VALU_DEP_1) | instskip(SKIP_1) | instid1(VALU_DEP_2)
	v_sub_nc_u32_e32 v69, 0x70, v67
	v_cmp_gt_u32_e32 vcc_lo, 0x71, v67
	v_dual_cndmask_b32 v69, 0, v69 :: v_dual_and_b32 v68, 0x7fffff, v14
	s_delay_alu instid0(VALU_DEP_1) | instskip(SKIP_2) | instid1(VALU_DEP_4)
	v_or_b32_e32 v133, 0x800000, v68
	v_cmp_eq_u32_e32 vcc_lo, 0, v67
	v_add_nc_u32_e32 v67, 0xffffff91, v67
	v_cndmask_b32_e64 v69, v69, 0x6f, vcc_lo
	s_delay_alu instid0(VALU_DEP_4) | instskip(NEXT) | instid1(VALU_DEP_3)
	v_cndmask_b32_e32 v68, v133, v68, vcc_lo
	v_cndmask_b32_e64 v67, v67, 0xffffff92, vcc_lo
	s_delay_alu instid0(VALU_DEP_3) | instskip(NEXT) | instid1(VALU_DEP_3)
	v_lshl_add_u32 v133, 0x200000, v69, -1
	v_lshrrev_b32_e32 v135, v69, v68
	v_lshlrev_b32_e64 v145, v69, 0x100000
	s_delay_alu instid0(VALU_DEP_4) | instskip(NEXT) | instid1(VALU_DEP_4)
	v_add_nc_u32_e32 v69, v69, v67
	v_and_b32_e32 v68, v133, v68
	s_delay_alu instid0(VALU_DEP_4) | instskip(NEXT) | instid1(VALU_DEP_2)
	v_bfe_u32 v144, v135, 21, 1
	v_cmp_eq_u32_e64 s13, v68, v145
	s_delay_alu instid0(VALU_DEP_2) | instskip(NEXT) | instid1(VALU_DEP_1)
	v_add_nc_u32_e32 v133, -1, v144
	v_cndmask_b32_e64 v68, 0, v133, s13
	v_lshrrev_b32_e32 v133, 23, v135
	s_mov_b32 s13, exec_lo
	s_delay_alu instid0(VALU_DEP_2) | instskip(NEXT) | instid1(VALU_DEP_2)
	v_add_nc_u32_e32 v68, v68, v135
	v_xor_b32_e32 v133, 1, v133
	s_delay_alu instid0(VALU_DEP_2) | instskip(NEXT) | instid1(VALU_DEP_1)
	v_and_b32_e32 v67, 0x1fffff, v68
	v_add_nc_u32_e32 v68, v67, v135
                                        ; implicit-def: $vgpr67
	s_delay_alu instid0(VALU_DEP_3)
	v_cmpx_ne_u32_e64 v69, v133
	s_xor_b32 s13, exec_lo, s13
; %bb.9605:                             ;   in Loop: Header=BB4_9504 Depth=3
	s_delay_alu instid0(VALU_DEP_2) | instskip(SKIP_2) | instid1(VALU_DEP_2)
	v_cmp_lt_u32_e32 vcc_lo, 0xffffff, v68
	v_sub_nc_u32_e32 v67, v69, v133
	v_cndmask_b32_e64 v69, 0, 1, vcc_lo
	v_add_co_ci_u32_e32 v67, vcc_lo, 0, v67, vcc_lo
	s_delay_alu instid0(VALU_DEP_2)
	v_lshrrev_b32_e32 v68, v69, v68
; %bb.9606:                             ;   in Loop: Header=BB4_9504 Depth=3
	s_and_not1_saveexec_b32 s13, s13
; %bb.9607:                             ;   in Loop: Header=BB4_9504 Depth=3
	s_delay_alu instid0(VALU_DEP_1)
	v_bfe_u32 v67, v68, 23, 1
; %bb.9608:                             ;   in Loop: Header=BB4_9504 Depth=3
	s_or_b32 exec_lo, exec_lo, s13
	v_lshrrev_b32_e32 v68, 21, v68
	s_delay_alu instid0(VALU_DEP_2) | instskip(SKIP_2) | instid1(VALU_DEP_4)
	v_cmp_gt_i32_e32 vcc_lo, 32, v67
	v_lshrrev_b32_e32 v14, 24, v14
	v_min_i32_e32 v69, 31, v67
	v_cndmask_b32_e32 v68, 3, v68, vcc_lo
	s_delay_alu instid0(VALU_DEP_3) | instskip(NEXT) | instid1(VALU_DEP_3)
	v_and_b32_e32 v14, 0x80, v14
	v_lshlrev_b32_e32 v69, 2, v69
	s_delay_alu instid0(VALU_DEP_3) | instskip(SKIP_1) | instid1(VALU_DEP_2)
	v_and_b32_e32 v133, 3, v68
	v_or_b32_e32 v67, v67, v68
	v_or3_b32 v14, v69, v14, v133
	s_delay_alu instid0(VALU_DEP_2) | instskip(NEXT) | instid1(VALU_DEP_2)
	v_cmp_ne_u32_e32 vcc_lo, 0, v67
	v_cndmask_b32_e32 v149, 0, v14, vcc_lo
.LBB4_9609:                             ;   in Loop: Header=BB4_9504 Depth=3
	s_or_b32 exec_lo, exec_lo, s30
.LBB4_9610:                             ;   in Loop: Header=BB4_9504 Depth=3
	s_delay_alu instid0(SALU_CYCLE_1)
	s_or_b32 exec_lo, exec_lo, s17
	flat_load_u8 v14, v[8:9] offset:256 slc dlc
	s_mov_b32 s13, 0
	s_mov_b32 s30, exec_lo
                                        ; implicit-def: $sgpr17
	s_waitcnt vmcnt(0) lgkmcnt(0)
	v_cmpx_lt_i16_e32 0x7f, v14
	s_xor_b32 s30, exec_lo, s30
	s_cbranch_execnz .LBB4_9995
; %bb.9611:                             ;   in Loop: Header=BB4_9504 Depth=3
	s_or_saveexec_b32 s30, s30
	v_mov_b32_e32 v67, s17
	s_xor_b32 exec_lo, exec_lo, s30
	s_cbranch_execnz .LBB4_9998
.LBB4_9612:                             ;   in Loop: Header=BB4_9504 Depth=3
	s_or_b32 exec_lo, exec_lo, s30
	s_and_saveexec_b32 s17, s13
	s_cbranch_execz .LBB4_9614
.LBB4_9613:                             ;   in Loop: Header=BB4_9504 Depth=3
	v_and_b32_e32 v67, 0xffff, v14
	v_lshlrev_b32_e32 v14, 24, v14
	s_delay_alu instid0(VALU_DEP_2) | instskip(NEXT) | instid1(VALU_DEP_2)
	v_and_b32_e32 v68, 3, v67
	v_and_b32_e32 v14, 0x80000000, v14
	s_delay_alu instid0(VALU_DEP_2) | instskip(NEXT) | instid1(VALU_DEP_1)
	v_clz_i32_u32_e32 v69, v68
	v_min_u32_e32 v69, 32, v69
	s_delay_alu instid0(VALU_DEP_1) | instskip(SKIP_1) | instid1(VALU_DEP_2)
	v_subrev_nc_u32_e32 v133, 29, v69
	v_sub_nc_u32_e32 v69, 30, v69
	v_lshlrev_b32_e32 v133, v133, v67
	v_bfe_u32 v67, v67, 2, 5
	s_delay_alu instid0(VALU_DEP_2) | instskip(NEXT) | instid1(VALU_DEP_2)
	v_and_b32_e32 v133, 3, v133
	v_cmp_eq_u32_e32 vcc_lo, 0, v67
	v_cndmask_b32_e32 v67, v67, v69, vcc_lo
	s_delay_alu instid0(VALU_DEP_3) | instskip(NEXT) | instid1(VALU_DEP_2)
	v_cndmask_b32_e32 v68, v68, v133, vcc_lo
	v_lshl_add_u32 v67, v67, 23, 0x37800000
	s_delay_alu instid0(VALU_DEP_2) | instskip(NEXT) | instid1(VALU_DEP_1)
	v_lshlrev_b32_e32 v68, 21, v68
	v_or3_b32 v67, v14, v67, v68
.LBB4_9614:                             ;   in Loop: Header=BB4_9504 Depth=3
	s_or_b32 exec_lo, exec_lo, s17
	s_delay_alu instid0(VALU_DEP_1) | instskip(SKIP_1) | instid1(VALU_DEP_1)
	v_dual_mul_f32 v14, v15, v67 :: v_dual_mov_b32 v147, 0x80
	s_mov_b32 s17, exec_lo
	v_and_b32_e32 v67, 0x7f800000, v14
	s_delay_alu instid0(VALU_DEP_1)
	v_cmpx_ne_u32_e32 0x7f800000, v67
	s_cbranch_execz .LBB4_9622
; %bb.9615:                             ;   in Loop: Header=BB4_9504 Depth=3
	v_mov_b32_e32 v147, 0
	s_mov_b32 s30, exec_lo
	v_cmpx_ne_u32_e32 0, v14
	s_cbranch_execz .LBB4_9621
; %bb.9616:                             ;   in Loop: Header=BB4_9504 Depth=3
	v_bfe_u32 v67, v14, 23, 8
	s_delay_alu instid0(VALU_DEP_1) | instskip(SKIP_1) | instid1(VALU_DEP_2)
	v_sub_nc_u32_e32 v69, 0x70, v67
	v_cmp_gt_u32_e32 vcc_lo, 0x71, v67
	v_dual_cndmask_b32 v69, 0, v69 :: v_dual_and_b32 v68, 0x7fffff, v14
	s_delay_alu instid0(VALU_DEP_1) | instskip(SKIP_2) | instid1(VALU_DEP_4)
	v_or_b32_e32 v133, 0x800000, v68
	v_cmp_eq_u32_e32 vcc_lo, 0, v67
	v_add_nc_u32_e32 v67, 0xffffff91, v67
	v_cndmask_b32_e64 v69, v69, 0x6f, vcc_lo
	s_delay_alu instid0(VALU_DEP_4) | instskip(NEXT) | instid1(VALU_DEP_3)
	v_cndmask_b32_e32 v68, v133, v68, vcc_lo
	v_cndmask_b32_e64 v67, v67, 0xffffff92, vcc_lo
	s_delay_alu instid0(VALU_DEP_3) | instskip(NEXT) | instid1(VALU_DEP_3)
	v_lshl_add_u32 v133, 0x200000, v69, -1
	v_lshrrev_b32_e32 v135, v69, v68
	v_lshlrev_b32_e64 v145, v69, 0x100000
	s_delay_alu instid0(VALU_DEP_4) | instskip(NEXT) | instid1(VALU_DEP_4)
	v_add_nc_u32_e32 v69, v69, v67
	v_and_b32_e32 v68, v133, v68
	s_delay_alu instid0(VALU_DEP_4) | instskip(NEXT) | instid1(VALU_DEP_2)
	v_bfe_u32 v144, v135, 21, 1
	v_cmp_eq_u32_e64 s13, v68, v145
	s_delay_alu instid0(VALU_DEP_2) | instskip(NEXT) | instid1(VALU_DEP_1)
	v_add_nc_u32_e32 v133, -1, v144
	v_cndmask_b32_e64 v68, 0, v133, s13
	v_lshrrev_b32_e32 v133, 23, v135
	s_mov_b32 s13, exec_lo
	s_delay_alu instid0(VALU_DEP_2) | instskip(NEXT) | instid1(VALU_DEP_2)
	v_add_nc_u32_e32 v68, v68, v135
	v_xor_b32_e32 v133, 1, v133
	s_delay_alu instid0(VALU_DEP_2) | instskip(NEXT) | instid1(VALU_DEP_1)
	v_and_b32_e32 v67, 0x1fffff, v68
	v_add_nc_u32_e32 v68, v67, v135
                                        ; implicit-def: $vgpr67
	s_delay_alu instid0(VALU_DEP_3)
	v_cmpx_ne_u32_e64 v69, v133
	s_xor_b32 s13, exec_lo, s13
; %bb.9617:                             ;   in Loop: Header=BB4_9504 Depth=3
	s_delay_alu instid0(VALU_DEP_2) | instskip(SKIP_2) | instid1(VALU_DEP_2)
	v_cmp_lt_u32_e32 vcc_lo, 0xffffff, v68
	v_sub_nc_u32_e32 v67, v69, v133
	v_cndmask_b32_e64 v69, 0, 1, vcc_lo
	v_add_co_ci_u32_e32 v67, vcc_lo, 0, v67, vcc_lo
	s_delay_alu instid0(VALU_DEP_2)
	v_lshrrev_b32_e32 v68, v69, v68
; %bb.9618:                             ;   in Loop: Header=BB4_9504 Depth=3
	s_and_not1_saveexec_b32 s13, s13
; %bb.9619:                             ;   in Loop: Header=BB4_9504 Depth=3
	s_delay_alu instid0(VALU_DEP_1)
	v_bfe_u32 v67, v68, 23, 1
; %bb.9620:                             ;   in Loop: Header=BB4_9504 Depth=3
	s_or_b32 exec_lo, exec_lo, s13
	v_lshrrev_b32_e32 v68, 21, v68
	s_delay_alu instid0(VALU_DEP_2) | instskip(SKIP_2) | instid1(VALU_DEP_4)
	v_cmp_gt_i32_e32 vcc_lo, 32, v67
	v_lshrrev_b32_e32 v14, 24, v14
	v_min_i32_e32 v69, 31, v67
	v_cndmask_b32_e32 v68, 3, v68, vcc_lo
	s_delay_alu instid0(VALU_DEP_3) | instskip(NEXT) | instid1(VALU_DEP_3)
	v_and_b32_e32 v14, 0x80, v14
	v_lshlrev_b32_e32 v69, 2, v69
	s_delay_alu instid0(VALU_DEP_3) | instskip(SKIP_1) | instid1(VALU_DEP_2)
	v_and_b32_e32 v133, 3, v68
	v_or_b32_e32 v67, v67, v68
	v_or3_b32 v14, v69, v14, v133
	s_delay_alu instid0(VALU_DEP_2) | instskip(NEXT) | instid1(VALU_DEP_2)
	v_cmp_ne_u32_e32 vcc_lo, 0, v67
	v_cndmask_b32_e32 v147, 0, v14, vcc_lo
.LBB4_9621:                             ;   in Loop: Header=BB4_9504 Depth=3
	s_or_b32 exec_lo, exec_lo, s30
.LBB4_9622:                             ;   in Loop: Header=BB4_9504 Depth=3
	s_delay_alu instid0(SALU_CYCLE_1)
	s_or_b32 exec_lo, exec_lo, s17
	flat_load_u8 v14, v[8:9] offset:288 slc dlc
	s_mov_b32 s13, 0
	s_mov_b32 s30, exec_lo
                                        ; implicit-def: $sgpr17
	s_waitcnt vmcnt(0) lgkmcnt(0)
	v_cmpx_lt_i16_e32 0x7f, v14
	s_xor_b32 s30, exec_lo, s30
	s_cbranch_execnz .LBB4_9999
; %bb.9623:                             ;   in Loop: Header=BB4_9504 Depth=3
	s_or_saveexec_b32 s30, s30
	v_mov_b32_e32 v67, s17
	s_xor_b32 exec_lo, exec_lo, s30
	s_cbranch_execnz .LBB4_10002
.LBB4_9624:                             ;   in Loop: Header=BB4_9504 Depth=3
	s_or_b32 exec_lo, exec_lo, s30
	s_and_saveexec_b32 s17, s13
	s_cbranch_execz .LBB4_9626
.LBB4_9625:                             ;   in Loop: Header=BB4_9504 Depth=3
	v_and_b32_e32 v67, 0xffff, v14
	v_lshlrev_b32_e32 v14, 24, v14
	s_delay_alu instid0(VALU_DEP_2) | instskip(NEXT) | instid1(VALU_DEP_2)
	v_and_b32_e32 v68, 3, v67
	v_and_b32_e32 v14, 0x80000000, v14
	s_delay_alu instid0(VALU_DEP_2) | instskip(NEXT) | instid1(VALU_DEP_1)
	v_clz_i32_u32_e32 v69, v68
	v_min_u32_e32 v69, 32, v69
	s_delay_alu instid0(VALU_DEP_1) | instskip(SKIP_1) | instid1(VALU_DEP_2)
	v_subrev_nc_u32_e32 v133, 29, v69
	v_sub_nc_u32_e32 v69, 30, v69
	v_lshlrev_b32_e32 v133, v133, v67
	v_bfe_u32 v67, v67, 2, 5
	s_delay_alu instid0(VALU_DEP_2) | instskip(NEXT) | instid1(VALU_DEP_2)
	v_and_b32_e32 v133, 3, v133
	v_cmp_eq_u32_e32 vcc_lo, 0, v67
	v_cndmask_b32_e32 v67, v67, v69, vcc_lo
	s_delay_alu instid0(VALU_DEP_3) | instskip(NEXT) | instid1(VALU_DEP_2)
	v_cndmask_b32_e32 v68, v68, v133, vcc_lo
	v_lshl_add_u32 v67, v67, 23, 0x37800000
	s_delay_alu instid0(VALU_DEP_2) | instskip(NEXT) | instid1(VALU_DEP_1)
	v_lshlrev_b32_e32 v68, 21, v68
	v_or3_b32 v67, v14, v67, v68
.LBB4_9626:                             ;   in Loop: Header=BB4_9504 Depth=3
	s_or_b32 exec_lo, exec_lo, s17
	s_delay_alu instid0(VALU_DEP_1) | instskip(SKIP_2) | instid1(VALU_DEP_2)
	v_mul_f32_e32 v14, v15, v67
	v_mov_b32_e32 v146, 0x80
	s_mov_b32 s17, exec_lo
	v_and_b32_e32 v67, 0x7f800000, v14
	s_delay_alu instid0(VALU_DEP_1)
	v_cmpx_ne_u32_e32 0x7f800000, v67
	s_cbranch_execz .LBB4_9634
; %bb.9627:                             ;   in Loop: Header=BB4_9504 Depth=3
	v_mov_b32_e32 v146, 0
	s_mov_b32 s30, exec_lo
	v_cmpx_ne_u32_e32 0, v14
	s_cbranch_execz .LBB4_9633
; %bb.9628:                             ;   in Loop: Header=BB4_9504 Depth=3
	v_bfe_u32 v67, v14, 23, 8
	s_delay_alu instid0(VALU_DEP_1) | instskip(SKIP_1) | instid1(VALU_DEP_2)
	v_sub_nc_u32_e32 v69, 0x70, v67
	v_cmp_gt_u32_e32 vcc_lo, 0x71, v67
	v_dual_cndmask_b32 v69, 0, v69 :: v_dual_and_b32 v68, 0x7fffff, v14
	s_delay_alu instid0(VALU_DEP_1) | instskip(SKIP_2) | instid1(VALU_DEP_4)
	v_or_b32_e32 v133, 0x800000, v68
	v_cmp_eq_u32_e32 vcc_lo, 0, v67
	v_add_nc_u32_e32 v67, 0xffffff91, v67
	v_cndmask_b32_e64 v69, v69, 0x6f, vcc_lo
	s_delay_alu instid0(VALU_DEP_4) | instskip(NEXT) | instid1(VALU_DEP_3)
	v_cndmask_b32_e32 v68, v133, v68, vcc_lo
	v_cndmask_b32_e64 v67, v67, 0xffffff92, vcc_lo
	s_delay_alu instid0(VALU_DEP_3) | instskip(NEXT) | instid1(VALU_DEP_3)
	v_lshl_add_u32 v133, 0x200000, v69, -1
	v_lshrrev_b32_e32 v135, v69, v68
	v_lshlrev_b32_e64 v145, v69, 0x100000
	s_delay_alu instid0(VALU_DEP_4) | instskip(NEXT) | instid1(VALU_DEP_4)
	v_add_nc_u32_e32 v69, v69, v67
	v_and_b32_e32 v68, v133, v68
	s_delay_alu instid0(VALU_DEP_4) | instskip(NEXT) | instid1(VALU_DEP_2)
	v_bfe_u32 v144, v135, 21, 1
	v_cmp_eq_u32_e64 s13, v68, v145
	s_delay_alu instid0(VALU_DEP_2) | instskip(NEXT) | instid1(VALU_DEP_1)
	v_add_nc_u32_e32 v133, -1, v144
	v_cndmask_b32_e64 v68, 0, v133, s13
	v_lshrrev_b32_e32 v133, 23, v135
	s_mov_b32 s13, exec_lo
	s_delay_alu instid0(VALU_DEP_2) | instskip(NEXT) | instid1(VALU_DEP_2)
	v_add_nc_u32_e32 v68, v68, v135
	v_xor_b32_e32 v133, 1, v133
	s_delay_alu instid0(VALU_DEP_2) | instskip(NEXT) | instid1(VALU_DEP_1)
	v_and_b32_e32 v67, 0x1fffff, v68
	v_add_nc_u32_e32 v68, v67, v135
                                        ; implicit-def: $vgpr67
	s_delay_alu instid0(VALU_DEP_3)
	v_cmpx_ne_u32_e64 v69, v133
	s_xor_b32 s13, exec_lo, s13
; %bb.9629:                             ;   in Loop: Header=BB4_9504 Depth=3
	s_delay_alu instid0(VALU_DEP_2) | instskip(SKIP_2) | instid1(VALU_DEP_2)
	v_cmp_lt_u32_e32 vcc_lo, 0xffffff, v68
	v_sub_nc_u32_e32 v67, v69, v133
	v_cndmask_b32_e64 v69, 0, 1, vcc_lo
	v_add_co_ci_u32_e32 v67, vcc_lo, 0, v67, vcc_lo
	s_delay_alu instid0(VALU_DEP_2)
	v_lshrrev_b32_e32 v68, v69, v68
; %bb.9630:                             ;   in Loop: Header=BB4_9504 Depth=3
	s_and_not1_saveexec_b32 s13, s13
; %bb.9631:                             ;   in Loop: Header=BB4_9504 Depth=3
	s_delay_alu instid0(VALU_DEP_1)
	v_bfe_u32 v67, v68, 23, 1
; %bb.9632:                             ;   in Loop: Header=BB4_9504 Depth=3
	s_or_b32 exec_lo, exec_lo, s13
	v_lshrrev_b32_e32 v68, 21, v68
	s_delay_alu instid0(VALU_DEP_2) | instskip(SKIP_2) | instid1(VALU_DEP_2)
	v_cmp_gt_i32_e32 vcc_lo, 32, v67
	v_min_i32_e32 v69, 31, v67
	v_lshrrev_b32_e32 v14, 24, v14
	v_dual_cndmask_b32 v68, 3, v68 :: v_dual_lshlrev_b32 v69, 2, v69
	s_delay_alu instid0(VALU_DEP_2) | instskip(NEXT) | instid1(VALU_DEP_2)
	v_and_b32_e32 v14, 0x80, v14
	v_or_b32_e32 v67, v67, v68
	s_delay_alu instid0(VALU_DEP_1) | instskip(SKIP_1) | instid1(VALU_DEP_1)
	v_cmp_ne_u32_e32 vcc_lo, 0, v67
	v_and_b32_e32 v133, 3, v68
	v_or3_b32 v14, v69, v14, v133
	s_delay_alu instid0(VALU_DEP_1)
	v_cndmask_b32_e32 v146, 0, v14, vcc_lo
.LBB4_9633:                             ;   in Loop: Header=BB4_9504 Depth=3
	s_or_b32 exec_lo, exec_lo, s30
.LBB4_9634:                             ;   in Loop: Header=BB4_9504 Depth=3
	s_delay_alu instid0(SALU_CYCLE_1)
	s_or_b32 exec_lo, exec_lo, s17
	flat_load_u8 v14, v[8:9] offset:320 slc dlc
	s_mov_b32 s13, 0
	s_mov_b32 s30, exec_lo
                                        ; implicit-def: $sgpr17
	s_waitcnt vmcnt(0) lgkmcnt(0)
	v_cmpx_lt_i16_e32 0x7f, v14
	s_xor_b32 s30, exec_lo, s30
	s_cbranch_execnz .LBB4_10003
; %bb.9635:                             ;   in Loop: Header=BB4_9504 Depth=3
	s_or_saveexec_b32 s30, s30
	v_mov_b32_e32 v67, s17
	s_xor_b32 exec_lo, exec_lo, s30
	s_cbranch_execnz .LBB4_10006
.LBB4_9636:                             ;   in Loop: Header=BB4_9504 Depth=3
	s_or_b32 exec_lo, exec_lo, s30
	s_and_saveexec_b32 s17, s13
	s_cbranch_execz .LBB4_9638
.LBB4_9637:                             ;   in Loop: Header=BB4_9504 Depth=3
	v_and_b32_e32 v67, 0xffff, v14
	v_lshlrev_b32_e32 v14, 24, v14
	s_delay_alu instid0(VALU_DEP_2) | instskip(NEXT) | instid1(VALU_DEP_2)
	v_and_b32_e32 v68, 3, v67
	v_and_b32_e32 v14, 0x80000000, v14
	s_delay_alu instid0(VALU_DEP_2) | instskip(NEXT) | instid1(VALU_DEP_1)
	v_clz_i32_u32_e32 v69, v68
	v_min_u32_e32 v69, 32, v69
	s_delay_alu instid0(VALU_DEP_1) | instskip(SKIP_1) | instid1(VALU_DEP_2)
	v_subrev_nc_u32_e32 v133, 29, v69
	v_sub_nc_u32_e32 v69, 30, v69
	v_lshlrev_b32_e32 v133, v133, v67
	v_bfe_u32 v67, v67, 2, 5
	s_delay_alu instid0(VALU_DEP_2) | instskip(NEXT) | instid1(VALU_DEP_2)
	v_and_b32_e32 v133, 3, v133
	v_cmp_eq_u32_e32 vcc_lo, 0, v67
	v_cndmask_b32_e32 v67, v67, v69, vcc_lo
	s_delay_alu instid0(VALU_DEP_3) | instskip(NEXT) | instid1(VALU_DEP_2)
	v_cndmask_b32_e32 v68, v68, v133, vcc_lo
	v_lshl_add_u32 v67, v67, 23, 0x37800000
	s_delay_alu instid0(VALU_DEP_2) | instskip(NEXT) | instid1(VALU_DEP_1)
	v_lshlrev_b32_e32 v68, 21, v68
	v_or3_b32 v67, v14, v67, v68
.LBB4_9638:                             ;   in Loop: Header=BB4_9504 Depth=3
	s_or_b32 exec_lo, exec_lo, s17
	s_delay_alu instid0(VALU_DEP_1) | instskip(SKIP_2) | instid1(VALU_DEP_2)
	v_mul_f32_e32 v14, v15, v67
	v_mov_b32_e32 v144, 0x80
	s_mov_b32 s17, exec_lo
	v_and_b32_e32 v67, 0x7f800000, v14
	s_delay_alu instid0(VALU_DEP_1)
	v_cmpx_ne_u32_e32 0x7f800000, v67
	s_cbranch_execz .LBB4_9646
; %bb.9639:                             ;   in Loop: Header=BB4_9504 Depth=3
	v_mov_b32_e32 v144, 0
	s_mov_b32 s30, exec_lo
	v_cmpx_ne_u32_e32 0, v14
	s_cbranch_execz .LBB4_9645
; %bb.9640:                             ;   in Loop: Header=BB4_9504 Depth=3
	v_bfe_u32 v67, v14, 23, 8
	s_delay_alu instid0(VALU_DEP_1) | instskip(SKIP_1) | instid1(VALU_DEP_2)
	v_sub_nc_u32_e32 v69, 0x70, v67
	v_cmp_gt_u32_e32 vcc_lo, 0x71, v67
	v_dual_cndmask_b32 v69, 0, v69 :: v_dual_and_b32 v68, 0x7fffff, v14
	s_delay_alu instid0(VALU_DEP_1) | instskip(SKIP_2) | instid1(VALU_DEP_4)
	v_or_b32_e32 v133, 0x800000, v68
	v_cmp_eq_u32_e32 vcc_lo, 0, v67
	v_add_nc_u32_e32 v67, 0xffffff91, v67
	v_cndmask_b32_e64 v69, v69, 0x6f, vcc_lo
	s_delay_alu instid0(VALU_DEP_4) | instskip(NEXT) | instid1(VALU_DEP_3)
	v_cndmask_b32_e32 v68, v133, v68, vcc_lo
	v_cndmask_b32_e64 v67, v67, 0xffffff92, vcc_lo
	s_delay_alu instid0(VALU_DEP_3) | instskip(NEXT) | instid1(VALU_DEP_3)
	v_lshl_add_u32 v133, 0x200000, v69, -1
	v_lshrrev_b32_e32 v135, v69, v68
	v_lshlrev_b32_e64 v145, v69, 0x100000
	s_delay_alu instid0(VALU_DEP_4) | instskip(NEXT) | instid1(VALU_DEP_4)
	v_add_nc_u32_e32 v69, v69, v67
	v_and_b32_e32 v68, v133, v68
	s_delay_alu instid0(VALU_DEP_4) | instskip(NEXT) | instid1(VALU_DEP_2)
	v_bfe_u32 v144, v135, 21, 1
	v_cmp_eq_u32_e64 s13, v68, v145
	s_delay_alu instid0(VALU_DEP_2) | instskip(NEXT) | instid1(VALU_DEP_1)
	v_add_nc_u32_e32 v133, -1, v144
	v_cndmask_b32_e64 v68, 0, v133, s13
	v_lshrrev_b32_e32 v133, 23, v135
	s_mov_b32 s13, exec_lo
	s_delay_alu instid0(VALU_DEP_2) | instskip(NEXT) | instid1(VALU_DEP_2)
	v_add_nc_u32_e32 v68, v68, v135
	v_xor_b32_e32 v133, 1, v133
	s_delay_alu instid0(VALU_DEP_2) | instskip(NEXT) | instid1(VALU_DEP_1)
	v_and_b32_e32 v67, 0x1fffff, v68
	v_add_nc_u32_e32 v68, v67, v135
                                        ; implicit-def: $vgpr67
	s_delay_alu instid0(VALU_DEP_3)
	v_cmpx_ne_u32_e64 v69, v133
	s_xor_b32 s13, exec_lo, s13
; %bb.9641:                             ;   in Loop: Header=BB4_9504 Depth=3
	s_delay_alu instid0(VALU_DEP_2) | instskip(SKIP_2) | instid1(VALU_DEP_2)
	v_cmp_lt_u32_e32 vcc_lo, 0xffffff, v68
	v_sub_nc_u32_e32 v67, v69, v133
	v_cndmask_b32_e64 v69, 0, 1, vcc_lo
	v_add_co_ci_u32_e32 v67, vcc_lo, 0, v67, vcc_lo
	s_delay_alu instid0(VALU_DEP_2)
	v_lshrrev_b32_e32 v68, v69, v68
; %bb.9642:                             ;   in Loop: Header=BB4_9504 Depth=3
	s_and_not1_saveexec_b32 s13, s13
; %bb.9643:                             ;   in Loop: Header=BB4_9504 Depth=3
	s_delay_alu instid0(VALU_DEP_1)
	v_bfe_u32 v67, v68, 23, 1
; %bb.9644:                             ;   in Loop: Header=BB4_9504 Depth=3
	s_or_b32 exec_lo, exec_lo, s13
	v_lshrrev_b32_e32 v68, 21, v68
	s_delay_alu instid0(VALU_DEP_2) | instskip(SKIP_2) | instid1(VALU_DEP_2)
	v_cmp_gt_i32_e32 vcc_lo, 32, v67
	v_min_i32_e32 v69, 31, v67
	v_lshrrev_b32_e32 v14, 24, v14
	v_dual_cndmask_b32 v68, 3, v68 :: v_dual_lshlrev_b32 v69, 2, v69
	s_delay_alu instid0(VALU_DEP_2) | instskip(NEXT) | instid1(VALU_DEP_2)
	v_and_b32_e32 v14, 0x80, v14
	v_or_b32_e32 v67, v67, v68
	s_delay_alu instid0(VALU_DEP_1) | instskip(SKIP_1) | instid1(VALU_DEP_1)
	v_cmp_ne_u32_e32 vcc_lo, 0, v67
	v_and_b32_e32 v133, 3, v68
	v_or3_b32 v14, v69, v14, v133
	s_delay_alu instid0(VALU_DEP_1)
	v_cndmask_b32_e32 v144, 0, v14, vcc_lo
.LBB4_9645:                             ;   in Loop: Header=BB4_9504 Depth=3
	s_or_b32 exec_lo, exec_lo, s30
.LBB4_9646:                             ;   in Loop: Header=BB4_9504 Depth=3
	s_delay_alu instid0(SALU_CYCLE_1)
	s_or_b32 exec_lo, exec_lo, s17
	flat_load_u8 v14, v[8:9] offset:352 slc dlc
	s_mov_b32 s13, 0
	s_mov_b32 s30, exec_lo
                                        ; implicit-def: $sgpr17
	s_waitcnt vmcnt(0) lgkmcnt(0)
	v_cmpx_lt_i16_e32 0x7f, v14
	s_xor_b32 s30, exec_lo, s30
	s_cbranch_execnz .LBB4_10007
; %bb.9647:                             ;   in Loop: Header=BB4_9504 Depth=3
	s_or_saveexec_b32 s30, s30
	v_mov_b32_e32 v67, s17
	s_xor_b32 exec_lo, exec_lo, s30
	s_cbranch_execnz .LBB4_10010
.LBB4_9648:                             ;   in Loop: Header=BB4_9504 Depth=3
	s_or_b32 exec_lo, exec_lo, s30
	s_and_saveexec_b32 s17, s13
	s_cbranch_execz .LBB4_9650
.LBB4_9649:                             ;   in Loop: Header=BB4_9504 Depth=3
	v_and_b32_e32 v67, 0xffff, v14
	v_lshlrev_b32_e32 v14, 24, v14
	s_delay_alu instid0(VALU_DEP_2) | instskip(NEXT) | instid1(VALU_DEP_2)
	v_and_b32_e32 v68, 3, v67
	v_and_b32_e32 v14, 0x80000000, v14
	s_delay_alu instid0(VALU_DEP_2) | instskip(NEXT) | instid1(VALU_DEP_1)
	v_clz_i32_u32_e32 v69, v68
	v_min_u32_e32 v69, 32, v69
	s_delay_alu instid0(VALU_DEP_1) | instskip(SKIP_1) | instid1(VALU_DEP_2)
	v_subrev_nc_u32_e32 v133, 29, v69
	v_sub_nc_u32_e32 v69, 30, v69
	v_lshlrev_b32_e32 v133, v133, v67
	v_bfe_u32 v67, v67, 2, 5
	s_delay_alu instid0(VALU_DEP_2) | instskip(NEXT) | instid1(VALU_DEP_2)
	v_and_b32_e32 v133, 3, v133
	v_cmp_eq_u32_e32 vcc_lo, 0, v67
	v_cndmask_b32_e32 v67, v67, v69, vcc_lo
	s_delay_alu instid0(VALU_DEP_3) | instskip(NEXT) | instid1(VALU_DEP_2)
	v_cndmask_b32_e32 v68, v68, v133, vcc_lo
	v_lshl_add_u32 v67, v67, 23, 0x37800000
	s_delay_alu instid0(VALU_DEP_2) | instskip(NEXT) | instid1(VALU_DEP_1)
	v_lshlrev_b32_e32 v68, 21, v68
	v_or3_b32 v67, v14, v67, v68
.LBB4_9650:                             ;   in Loop: Header=BB4_9504 Depth=3
	s_or_b32 exec_lo, exec_lo, s17
	s_delay_alu instid0(VALU_DEP_1) | instskip(SKIP_1) | instid1(VALU_DEP_1)
	v_dual_mul_f32 v14, v15, v67 :: v_dual_mov_b32 v135, 0x80
	s_mov_b32 s17, exec_lo
	v_and_b32_e32 v67, 0x7f800000, v14
	s_delay_alu instid0(VALU_DEP_1)
	v_cmpx_ne_u32_e32 0x7f800000, v67
	s_cbranch_execz .LBB4_9658
; %bb.9651:                             ;   in Loop: Header=BB4_9504 Depth=3
	v_mov_b32_e32 v135, 0
	s_mov_b32 s30, exec_lo
	v_cmpx_ne_u32_e32 0, v14
	s_cbranch_execz .LBB4_9657
; %bb.9652:                             ;   in Loop: Header=BB4_9504 Depth=3
	v_bfe_u32 v67, v14, 23, 8
	s_delay_alu instid0(VALU_DEP_1) | instskip(SKIP_1) | instid1(VALU_DEP_2)
	v_sub_nc_u32_e32 v69, 0x70, v67
	v_cmp_gt_u32_e32 vcc_lo, 0x71, v67
	v_dual_cndmask_b32 v69, 0, v69 :: v_dual_and_b32 v68, 0x7fffff, v14
	s_delay_alu instid0(VALU_DEP_1) | instskip(SKIP_2) | instid1(VALU_DEP_4)
	v_or_b32_e32 v133, 0x800000, v68
	v_cmp_eq_u32_e32 vcc_lo, 0, v67
	v_add_nc_u32_e32 v67, 0xffffff91, v67
	v_cndmask_b32_e64 v69, v69, 0x6f, vcc_lo
	s_delay_alu instid0(VALU_DEP_4) | instskip(NEXT) | instid1(VALU_DEP_3)
	v_cndmask_b32_e32 v68, v133, v68, vcc_lo
	v_cndmask_b32_e64 v67, v67, 0xffffff92, vcc_lo
	s_delay_alu instid0(VALU_DEP_3) | instskip(NEXT) | instid1(VALU_DEP_3)
	v_lshl_add_u32 v133, 0x200000, v69, -1
	v_lshrrev_b32_e32 v135, v69, v68
	v_lshlrev_b32_e64 v150, v69, 0x100000
	s_delay_alu instid0(VALU_DEP_4) | instskip(NEXT) | instid1(VALU_DEP_4)
	v_add_nc_u32_e32 v69, v69, v67
	v_and_b32_e32 v68, v133, v68
	s_delay_alu instid0(VALU_DEP_4) | instskip(NEXT) | instid1(VALU_DEP_2)
	v_bfe_u32 v145, v135, 21, 1
	v_cmp_eq_u32_e64 s13, v68, v150
	s_delay_alu instid0(VALU_DEP_2) | instskip(NEXT) | instid1(VALU_DEP_1)
	v_add_nc_u32_e32 v133, -1, v145
	v_cndmask_b32_e64 v68, 0, v133, s13
	v_lshrrev_b32_e32 v133, 23, v135
	s_mov_b32 s13, exec_lo
	s_delay_alu instid0(VALU_DEP_2) | instskip(NEXT) | instid1(VALU_DEP_2)
	v_add_nc_u32_e32 v68, v68, v135
	v_xor_b32_e32 v133, 1, v133
	s_delay_alu instid0(VALU_DEP_2) | instskip(NEXT) | instid1(VALU_DEP_1)
	v_and_b32_e32 v67, 0x1fffff, v68
	v_add_nc_u32_e32 v68, v67, v135
                                        ; implicit-def: $vgpr67
	s_delay_alu instid0(VALU_DEP_3)
	v_cmpx_ne_u32_e64 v69, v133
	s_xor_b32 s13, exec_lo, s13
; %bb.9653:                             ;   in Loop: Header=BB4_9504 Depth=3
	s_delay_alu instid0(VALU_DEP_2) | instskip(SKIP_2) | instid1(VALU_DEP_2)
	v_cmp_lt_u32_e32 vcc_lo, 0xffffff, v68
	v_sub_nc_u32_e32 v67, v69, v133
	v_cndmask_b32_e64 v69, 0, 1, vcc_lo
	v_add_co_ci_u32_e32 v67, vcc_lo, 0, v67, vcc_lo
	s_delay_alu instid0(VALU_DEP_2)
	v_lshrrev_b32_e32 v68, v69, v68
; %bb.9654:                             ;   in Loop: Header=BB4_9504 Depth=3
	s_and_not1_saveexec_b32 s13, s13
; %bb.9655:                             ;   in Loop: Header=BB4_9504 Depth=3
	s_delay_alu instid0(VALU_DEP_1)
	v_bfe_u32 v67, v68, 23, 1
; %bb.9656:                             ;   in Loop: Header=BB4_9504 Depth=3
	s_or_b32 exec_lo, exec_lo, s13
	v_lshrrev_b32_e32 v68, 21, v68
	s_delay_alu instid0(VALU_DEP_2) | instskip(SKIP_2) | instid1(VALU_DEP_4)
	v_cmp_gt_i32_e32 vcc_lo, 32, v67
	v_lshrrev_b32_e32 v14, 24, v14
	v_min_i32_e32 v69, 31, v67
	v_cndmask_b32_e32 v68, 3, v68, vcc_lo
	s_delay_alu instid0(VALU_DEP_3) | instskip(NEXT) | instid1(VALU_DEP_3)
	v_and_b32_e32 v14, 0x80, v14
	v_lshlrev_b32_e32 v69, 2, v69
	s_delay_alu instid0(VALU_DEP_3) | instskip(SKIP_1) | instid1(VALU_DEP_2)
	v_and_b32_e32 v133, 3, v68
	v_or_b32_e32 v67, v67, v68
	v_or3_b32 v14, v69, v14, v133
	s_delay_alu instid0(VALU_DEP_2) | instskip(NEXT) | instid1(VALU_DEP_2)
	v_cmp_ne_u32_e32 vcc_lo, 0, v67
	v_cndmask_b32_e32 v135, 0, v14, vcc_lo
.LBB4_9657:                             ;   in Loop: Header=BB4_9504 Depth=3
	s_or_b32 exec_lo, exec_lo, s30
.LBB4_9658:                             ;   in Loop: Header=BB4_9504 Depth=3
	s_delay_alu instid0(SALU_CYCLE_1)
	s_or_b32 exec_lo, exec_lo, s17
	flat_load_u8 v14, v[8:9] offset:384 slc dlc
	s_mov_b32 s13, 0
	s_mov_b32 s30, exec_lo
                                        ; implicit-def: $sgpr17
	s_waitcnt vmcnt(0) lgkmcnt(0)
	v_cmpx_lt_i16_e32 0x7f, v14
	s_xor_b32 s30, exec_lo, s30
	s_cbranch_execnz .LBB4_10011
; %bb.9659:                             ;   in Loop: Header=BB4_9504 Depth=3
	s_or_saveexec_b32 s30, s30
	v_mov_b32_e32 v67, s17
	s_xor_b32 exec_lo, exec_lo, s30
	s_cbranch_execnz .LBB4_10014
.LBB4_9660:                             ;   in Loop: Header=BB4_9504 Depth=3
	s_or_b32 exec_lo, exec_lo, s30
	s_and_saveexec_b32 s17, s13
	s_cbranch_execz .LBB4_9662
.LBB4_9661:                             ;   in Loop: Header=BB4_9504 Depth=3
	v_and_b32_e32 v67, 0xffff, v14
	v_lshlrev_b32_e32 v14, 24, v14
	s_delay_alu instid0(VALU_DEP_2) | instskip(NEXT) | instid1(VALU_DEP_2)
	v_and_b32_e32 v68, 3, v67
	v_and_b32_e32 v14, 0x80000000, v14
	s_delay_alu instid0(VALU_DEP_2) | instskip(NEXT) | instid1(VALU_DEP_1)
	v_clz_i32_u32_e32 v69, v68
	v_min_u32_e32 v69, 32, v69
	s_delay_alu instid0(VALU_DEP_1) | instskip(SKIP_1) | instid1(VALU_DEP_2)
	v_subrev_nc_u32_e32 v133, 29, v69
	v_sub_nc_u32_e32 v69, 30, v69
	v_lshlrev_b32_e32 v133, v133, v67
	v_bfe_u32 v67, v67, 2, 5
	s_delay_alu instid0(VALU_DEP_2) | instskip(NEXT) | instid1(VALU_DEP_2)
	v_and_b32_e32 v133, 3, v133
	v_cmp_eq_u32_e32 vcc_lo, 0, v67
	v_cndmask_b32_e32 v67, v67, v69, vcc_lo
	s_delay_alu instid0(VALU_DEP_3) | instskip(NEXT) | instid1(VALU_DEP_2)
	v_cndmask_b32_e32 v68, v68, v133, vcc_lo
	v_lshl_add_u32 v67, v67, 23, 0x37800000
	s_delay_alu instid0(VALU_DEP_2) | instskip(NEXT) | instid1(VALU_DEP_1)
	v_lshlrev_b32_e32 v68, 21, v68
	v_or3_b32 v67, v14, v67, v68
.LBB4_9662:                             ;   in Loop: Header=BB4_9504 Depth=3
	s_or_b32 exec_lo, exec_lo, s17
	s_delay_alu instid0(VALU_DEP_1) | instskip(SKIP_1) | instid1(VALU_DEP_1)
	v_dual_mul_f32 v14, v15, v67 :: v_dual_mov_b32 v133, 0x80
	s_mov_b32 s17, exec_lo
	v_and_b32_e32 v67, 0x7f800000, v14
	s_delay_alu instid0(VALU_DEP_1)
	v_cmpx_ne_u32_e32 0x7f800000, v67
	s_cbranch_execz .LBB4_9670
; %bb.9663:                             ;   in Loop: Header=BB4_9504 Depth=3
	v_mov_b32_e32 v133, 0
	s_mov_b32 s30, exec_lo
	v_cmpx_ne_u32_e32 0, v14
	s_cbranch_execz .LBB4_9669
; %bb.9664:                             ;   in Loop: Header=BB4_9504 Depth=3
	v_bfe_u32 v67, v14, 23, 8
	s_delay_alu instid0(VALU_DEP_1) | instskip(SKIP_1) | instid1(VALU_DEP_2)
	v_sub_nc_u32_e32 v69, 0x70, v67
	v_cmp_gt_u32_e32 vcc_lo, 0x71, v67
	v_dual_cndmask_b32 v69, 0, v69 :: v_dual_and_b32 v68, 0x7fffff, v14
	s_delay_alu instid0(VALU_DEP_1) | instskip(SKIP_2) | instid1(VALU_DEP_4)
	v_or_b32_e32 v133, 0x800000, v68
	v_cmp_eq_u32_e32 vcc_lo, 0, v67
	v_add_nc_u32_e32 v67, 0xffffff91, v67
	v_cndmask_b32_e64 v69, v69, 0x6f, vcc_lo
	s_delay_alu instid0(VALU_DEP_4) | instskip(NEXT) | instid1(VALU_DEP_3)
	v_cndmask_b32_e32 v68, v133, v68, vcc_lo
	v_cndmask_b32_e64 v67, v67, 0xffffff92, vcc_lo
	s_delay_alu instid0(VALU_DEP_3) | instskip(NEXT) | instid1(VALU_DEP_3)
	v_lshl_add_u32 v133, 0x200000, v69, -1
	v_lshrrev_b32_e32 v145, v69, v68
	v_lshlrev_b32_e64 v163, v69, 0x100000
	s_delay_alu instid0(VALU_DEP_4) | instskip(NEXT) | instid1(VALU_DEP_4)
	v_add_nc_u32_e32 v69, v69, v67
	v_and_b32_e32 v68, v133, v68
	s_delay_alu instid0(VALU_DEP_4) | instskip(NEXT) | instid1(VALU_DEP_2)
	v_bfe_u32 v150, v145, 21, 1
	v_cmp_eq_u32_e64 s13, v68, v163
	s_delay_alu instid0(VALU_DEP_2) | instskip(NEXT) | instid1(VALU_DEP_1)
	v_add_nc_u32_e32 v133, -1, v150
	v_cndmask_b32_e64 v68, 0, v133, s13
	v_lshrrev_b32_e32 v133, 23, v145
	s_mov_b32 s13, exec_lo
	s_delay_alu instid0(VALU_DEP_2) | instskip(NEXT) | instid1(VALU_DEP_2)
	v_add_nc_u32_e32 v68, v68, v145
	v_xor_b32_e32 v133, 1, v133
	s_delay_alu instid0(VALU_DEP_2) | instskip(NEXT) | instid1(VALU_DEP_1)
	v_and_b32_e32 v67, 0x1fffff, v68
	v_add_nc_u32_e32 v68, v67, v145
                                        ; implicit-def: $vgpr67
	s_delay_alu instid0(VALU_DEP_3)
	v_cmpx_ne_u32_e64 v69, v133
	s_xor_b32 s13, exec_lo, s13
; %bb.9665:                             ;   in Loop: Header=BB4_9504 Depth=3
	s_delay_alu instid0(VALU_DEP_2) | instskip(SKIP_2) | instid1(VALU_DEP_2)
	v_cmp_lt_u32_e32 vcc_lo, 0xffffff, v68
	v_sub_nc_u32_e32 v67, v69, v133
	v_cndmask_b32_e64 v69, 0, 1, vcc_lo
	v_add_co_ci_u32_e32 v67, vcc_lo, 0, v67, vcc_lo
	s_delay_alu instid0(VALU_DEP_2)
	v_lshrrev_b32_e32 v68, v69, v68
; %bb.9666:                             ;   in Loop: Header=BB4_9504 Depth=3
	s_and_not1_saveexec_b32 s13, s13
; %bb.9667:                             ;   in Loop: Header=BB4_9504 Depth=3
	s_delay_alu instid0(VALU_DEP_1)
	v_bfe_u32 v67, v68, 23, 1
; %bb.9668:                             ;   in Loop: Header=BB4_9504 Depth=3
	s_or_b32 exec_lo, exec_lo, s13
	v_lshrrev_b32_e32 v68, 21, v68
	s_delay_alu instid0(VALU_DEP_2) | instskip(SKIP_2) | instid1(VALU_DEP_4)
	v_cmp_gt_i32_e32 vcc_lo, 32, v67
	v_lshrrev_b32_e32 v14, 24, v14
	v_min_i32_e32 v69, 31, v67
	v_cndmask_b32_e32 v68, 3, v68, vcc_lo
	s_delay_alu instid0(VALU_DEP_3) | instskip(NEXT) | instid1(VALU_DEP_3)
	v_and_b32_e32 v14, 0x80, v14
	v_lshlrev_b32_e32 v69, 2, v69
	s_delay_alu instid0(VALU_DEP_3) | instskip(SKIP_1) | instid1(VALU_DEP_2)
	v_and_b32_e32 v133, 3, v68
	v_or_b32_e32 v67, v67, v68
	v_or3_b32 v14, v69, v14, v133
	s_delay_alu instid0(VALU_DEP_2) | instskip(NEXT) | instid1(VALU_DEP_2)
	v_cmp_ne_u32_e32 vcc_lo, 0, v67
	v_cndmask_b32_e32 v133, 0, v14, vcc_lo
.LBB4_9669:                             ;   in Loop: Header=BB4_9504 Depth=3
	s_or_b32 exec_lo, exec_lo, s30
.LBB4_9670:                             ;   in Loop: Header=BB4_9504 Depth=3
	s_delay_alu instid0(SALU_CYCLE_1)
	s_or_b32 exec_lo, exec_lo, s17
	flat_load_u8 v14, v[8:9] offset:416 slc dlc
	s_mov_b32 s13, 0
	s_mov_b32 s30, exec_lo
                                        ; implicit-def: $sgpr17
	s_waitcnt vmcnt(0) lgkmcnt(0)
	v_cmpx_lt_i16_e32 0x7f, v14
	s_xor_b32 s30, exec_lo, s30
	s_cbranch_execnz .LBB4_10015
; %bb.9671:                             ;   in Loop: Header=BB4_9504 Depth=3
	s_or_saveexec_b32 s30, s30
	v_mov_b32_e32 v67, s17
	s_xor_b32 exec_lo, exec_lo, s30
	s_cbranch_execnz .LBB4_10018
.LBB4_9672:                             ;   in Loop: Header=BB4_9504 Depth=3
	s_or_b32 exec_lo, exec_lo, s30
	s_and_saveexec_b32 s17, s13
	s_cbranch_execz .LBB4_9674
.LBB4_9673:                             ;   in Loop: Header=BB4_9504 Depth=3
	v_and_b32_e32 v67, 0xffff, v14
	v_lshlrev_b32_e32 v14, 24, v14
	s_delay_alu instid0(VALU_DEP_2) | instskip(NEXT) | instid1(VALU_DEP_2)
	v_and_b32_e32 v68, 3, v67
	v_and_b32_e32 v14, 0x80000000, v14
	s_delay_alu instid0(VALU_DEP_2) | instskip(NEXT) | instid1(VALU_DEP_1)
	v_clz_i32_u32_e32 v69, v68
	v_min_u32_e32 v69, 32, v69
	s_delay_alu instid0(VALU_DEP_1) | instskip(SKIP_1) | instid1(VALU_DEP_2)
	v_subrev_nc_u32_e32 v145, 29, v69
	v_sub_nc_u32_e32 v69, 30, v69
	v_lshlrev_b32_e32 v145, v145, v67
	v_bfe_u32 v67, v67, 2, 5
	s_delay_alu instid0(VALU_DEP_2) | instskip(NEXT) | instid1(VALU_DEP_2)
	v_and_b32_e32 v145, 3, v145
	v_cmp_eq_u32_e32 vcc_lo, 0, v67
	v_cndmask_b32_e32 v67, v67, v69, vcc_lo
	s_delay_alu instid0(VALU_DEP_3) | instskip(NEXT) | instid1(VALU_DEP_2)
	v_cndmask_b32_e32 v68, v68, v145, vcc_lo
	v_lshl_add_u32 v67, v67, 23, 0x37800000
	s_delay_alu instid0(VALU_DEP_2) | instskip(NEXT) | instid1(VALU_DEP_1)
	v_lshlrev_b32_e32 v68, 21, v68
	v_or3_b32 v67, v14, v67, v68
.LBB4_9674:                             ;   in Loop: Header=BB4_9504 Depth=3
	s_or_b32 exec_lo, exec_lo, s17
	s_delay_alu instid0(VALU_DEP_1) | instskip(SKIP_2) | instid1(VALU_DEP_2)
	v_mul_f32_e32 v14, v15, v67
	v_mov_b32_e32 v68, 0x80
	s_mov_b32 s17, exec_lo
	v_and_b32_e32 v67, 0x7f800000, v14
	s_delay_alu instid0(VALU_DEP_1)
	v_cmpx_ne_u32_e32 0x7f800000, v67
	s_cbranch_execz .LBB4_9682
; %bb.9675:                             ;   in Loop: Header=BB4_9504 Depth=3
	v_mov_b32_e32 v68, 0
	s_mov_b32 s30, exec_lo
	v_cmpx_ne_u32_e32 0, v14
	s_cbranch_execz .LBB4_9681
; %bb.9676:                             ;   in Loop: Header=BB4_9504 Depth=3
	v_bfe_u32 v67, v14, 23, 8
	s_delay_alu instid0(VALU_DEP_1) | instskip(SKIP_1) | instid1(VALU_DEP_2)
	v_sub_nc_u32_e32 v69, 0x70, v67
	v_cmp_gt_u32_e32 vcc_lo, 0x71, v67
	v_dual_cndmask_b32 v69, 0, v69 :: v_dual_and_b32 v68, 0x7fffff, v14
	s_delay_alu instid0(VALU_DEP_1) | instskip(SKIP_2) | instid1(VALU_DEP_4)
	v_or_b32_e32 v145, 0x800000, v68
	v_cmp_eq_u32_e32 vcc_lo, 0, v67
	v_add_nc_u32_e32 v67, 0xffffff91, v67
	v_cndmask_b32_e64 v69, v69, 0x6f, vcc_lo
	s_delay_alu instid0(VALU_DEP_4) | instskip(NEXT) | instid1(VALU_DEP_3)
	v_cndmask_b32_e32 v68, v145, v68, vcc_lo
	v_cndmask_b32_e64 v67, v67, 0xffffff92, vcc_lo
	s_delay_alu instid0(VALU_DEP_3) | instskip(NEXT) | instid1(VALU_DEP_3)
	v_lshl_add_u32 v145, 0x200000, v69, -1
	v_lshrrev_b32_e32 v150, v69, v68
	v_lshlrev_b32_e64 v164, v69, 0x100000
	s_delay_alu instid0(VALU_DEP_4) | instskip(NEXT) | instid1(VALU_DEP_4)
	v_add_nc_u32_e32 v69, v69, v67
	v_and_b32_e32 v68, v145, v68
	s_delay_alu instid0(VALU_DEP_4) | instskip(NEXT) | instid1(VALU_DEP_2)
	v_bfe_u32 v163, v150, 21, 1
	v_cmp_eq_u32_e64 s13, v68, v164
	s_delay_alu instid0(VALU_DEP_2) | instskip(NEXT) | instid1(VALU_DEP_1)
	v_add_nc_u32_e32 v145, -1, v163
	v_cndmask_b32_e64 v68, 0, v145, s13
	v_lshrrev_b32_e32 v145, 23, v150
	s_mov_b32 s13, exec_lo
	s_delay_alu instid0(VALU_DEP_2) | instskip(NEXT) | instid1(VALU_DEP_2)
	v_add_nc_u32_e32 v68, v68, v150
	v_xor_b32_e32 v145, 1, v145
	s_delay_alu instid0(VALU_DEP_2) | instskip(NEXT) | instid1(VALU_DEP_1)
	v_and_b32_e32 v67, 0x1fffff, v68
	v_add_nc_u32_e32 v68, v67, v150
                                        ; implicit-def: $vgpr67
	s_delay_alu instid0(VALU_DEP_3)
	v_cmpx_ne_u32_e64 v69, v145
	s_xor_b32 s13, exec_lo, s13
; %bb.9677:                             ;   in Loop: Header=BB4_9504 Depth=3
	s_delay_alu instid0(VALU_DEP_2) | instskip(SKIP_2) | instid1(VALU_DEP_2)
	v_cmp_lt_u32_e32 vcc_lo, 0xffffff, v68
	v_sub_nc_u32_e32 v67, v69, v145
	v_cndmask_b32_e64 v69, 0, 1, vcc_lo
	v_add_co_ci_u32_e32 v67, vcc_lo, 0, v67, vcc_lo
	s_delay_alu instid0(VALU_DEP_2)
	v_lshrrev_b32_e32 v68, v69, v68
; %bb.9678:                             ;   in Loop: Header=BB4_9504 Depth=3
	s_and_not1_saveexec_b32 s13, s13
; %bb.9679:                             ;   in Loop: Header=BB4_9504 Depth=3
	s_delay_alu instid0(VALU_DEP_1)
	v_bfe_u32 v67, v68, 23, 1
; %bb.9680:                             ;   in Loop: Header=BB4_9504 Depth=3
	s_or_b32 exec_lo, exec_lo, s13
	v_lshrrev_b32_e32 v68, 21, v68
	s_delay_alu instid0(VALU_DEP_2) | instskip(SKIP_2) | instid1(VALU_DEP_2)
	v_cmp_gt_i32_e32 vcc_lo, 32, v67
	v_min_i32_e32 v69, 31, v67
	v_lshrrev_b32_e32 v14, 24, v14
	v_dual_cndmask_b32 v68, 3, v68 :: v_dual_lshlrev_b32 v69, 2, v69
	s_delay_alu instid0(VALU_DEP_2) | instskip(NEXT) | instid1(VALU_DEP_2)
	v_and_b32_e32 v14, 0x80, v14
	v_or_b32_e32 v67, v67, v68
	s_delay_alu instid0(VALU_DEP_1) | instskip(SKIP_1) | instid1(VALU_DEP_1)
	v_cmp_ne_u32_e32 vcc_lo, 0, v67
	v_and_b32_e32 v145, 3, v68
	v_or3_b32 v14, v69, v14, v145
	s_delay_alu instid0(VALU_DEP_1)
	v_cndmask_b32_e32 v68, 0, v14, vcc_lo
.LBB4_9681:                             ;   in Loop: Header=BB4_9504 Depth=3
	s_or_b32 exec_lo, exec_lo, s30
.LBB4_9682:                             ;   in Loop: Header=BB4_9504 Depth=3
	s_delay_alu instid0(SALU_CYCLE_1)
	s_or_b32 exec_lo, exec_lo, s17
	flat_load_u8 v14, v[8:9] offset:448 slc dlc
	s_mov_b32 s13, 0
	s_mov_b32 s30, exec_lo
                                        ; implicit-def: $sgpr17
	s_waitcnt vmcnt(0) lgkmcnt(0)
	v_cmpx_lt_i16_e32 0x7f, v14
	s_xor_b32 s30, exec_lo, s30
	s_cbranch_execnz .LBB4_10019
; %bb.9683:                             ;   in Loop: Header=BB4_9504 Depth=3
	s_or_saveexec_b32 s30, s30
	v_mov_b32_e32 v67, s17
	s_xor_b32 exec_lo, exec_lo, s30
	s_cbranch_execnz .LBB4_10022
.LBB4_9684:                             ;   in Loop: Header=BB4_9504 Depth=3
	s_or_b32 exec_lo, exec_lo, s30
	s_and_saveexec_b32 s17, s13
	s_cbranch_execz .LBB4_9686
.LBB4_9685:                             ;   in Loop: Header=BB4_9504 Depth=3
	v_and_b32_e32 v67, 0xffff, v14
	v_lshlrev_b32_e32 v14, 24, v14
	s_delay_alu instid0(VALU_DEP_2) | instskip(NEXT) | instid1(VALU_DEP_2)
	v_and_b32_e32 v69, 3, v67
	v_and_b32_e32 v14, 0x80000000, v14
	s_delay_alu instid0(VALU_DEP_2) | instskip(NEXT) | instid1(VALU_DEP_1)
	v_clz_i32_u32_e32 v145, v69
	v_min_u32_e32 v145, 32, v145
	s_delay_alu instid0(VALU_DEP_1) | instskip(SKIP_1) | instid1(VALU_DEP_2)
	v_subrev_nc_u32_e32 v150, 29, v145
	v_sub_nc_u32_e32 v145, 30, v145
	v_lshlrev_b32_e32 v150, v150, v67
	v_bfe_u32 v67, v67, 2, 5
	s_delay_alu instid0(VALU_DEP_1) | instskip(NEXT) | instid1(VALU_DEP_3)
	v_cmp_eq_u32_e32 vcc_lo, 0, v67
	v_dual_cndmask_b32 v67, v67, v145 :: v_dual_and_b32 v150, 3, v150
	s_delay_alu instid0(VALU_DEP_1) | instskip(NEXT) | instid1(VALU_DEP_2)
	v_lshl_add_u32 v67, v67, 23, 0x37800000
	v_cndmask_b32_e32 v69, v69, v150, vcc_lo
	s_delay_alu instid0(VALU_DEP_1) | instskip(NEXT) | instid1(VALU_DEP_1)
	v_lshlrev_b32_e32 v69, 21, v69
	v_or3_b32 v67, v14, v67, v69
.LBB4_9686:                             ;   in Loop: Header=BB4_9504 Depth=3
	s_or_b32 exec_lo, exec_lo, s17
	s_delay_alu instid0(VALU_DEP_1) | instskip(NEXT) | instid1(VALU_DEP_1)
	v_mul_f32_e32 v14, v15, v67
	v_and_b32_e32 v67, 0x7f800000, v14
	s_delay_alu instid0(VALU_DEP_1)
	v_cmp_ne_u32_e32 vcc_lo, 0x7f800000, v67
	v_mov_b32_e32 v67, 0x80
	s_and_saveexec_b32 s17, vcc_lo
	s_cbranch_execz .LBB4_9694
; %bb.9687:                             ;   in Loop: Header=BB4_9504 Depth=3
	v_mov_b32_e32 v67, 0
	s_mov_b32 s30, exec_lo
	v_cmpx_ne_u32_e32 0, v14
	s_cbranch_execz .LBB4_9693
; %bb.9688:                             ;   in Loop: Header=BB4_9504 Depth=3
	v_bfe_u32 v67, v14, 23, 8
	v_and_b32_e32 v69, 0x7fffff, v14
	s_delay_alu instid0(VALU_DEP_2) | instskip(SKIP_1) | instid1(VALU_DEP_3)
	v_sub_nc_u32_e32 v145, 0x70, v67
	v_cmp_gt_u32_e32 vcc_lo, 0x71, v67
	v_or_b32_e32 v150, 0x800000, v69
	s_delay_alu instid0(VALU_DEP_3) | instskip(SKIP_2) | instid1(VALU_DEP_3)
	v_cndmask_b32_e32 v145, 0, v145, vcc_lo
	v_cmp_eq_u32_e32 vcc_lo, 0, v67
	v_add_nc_u32_e32 v67, 0xffffff91, v67
	v_cndmask_b32_e64 v145, v145, 0x6f, vcc_lo
	v_cndmask_b32_e32 v69, v150, v69, vcc_lo
	s_delay_alu instid0(VALU_DEP_3) | instskip(NEXT) | instid1(VALU_DEP_3)
	v_cndmask_b32_e64 v67, v67, 0xffffff92, vcc_lo
	v_lshl_add_u32 v150, 0x200000, v145, -1
	s_delay_alu instid0(VALU_DEP_3) | instskip(SKIP_1) | instid1(VALU_DEP_4)
	v_lshrrev_b32_e32 v163, v145, v69
	v_lshlrev_b32_e64 v165, v145, 0x100000
	v_add_nc_u32_e32 v145, v145, v67
	s_delay_alu instid0(VALU_DEP_4) | instskip(NEXT) | instid1(VALU_DEP_4)
	v_and_b32_e32 v69, v150, v69
	v_bfe_u32 v164, v163, 21, 1
	s_delay_alu instid0(VALU_DEP_2) | instskip(NEXT) | instid1(VALU_DEP_2)
	v_cmp_eq_u32_e64 s13, v69, v165
	v_add_nc_u32_e32 v150, -1, v164
	s_delay_alu instid0(VALU_DEP_1) | instskip(SKIP_2) | instid1(VALU_DEP_2)
	v_cndmask_b32_e64 v69, 0, v150, s13
	v_lshrrev_b32_e32 v150, 23, v163
	s_mov_b32 s13, exec_lo
	v_add_nc_u32_e32 v69, v69, v163
	s_delay_alu instid0(VALU_DEP_2) | instskip(NEXT) | instid1(VALU_DEP_2)
	v_xor_b32_e32 v150, 1, v150
	v_and_b32_e32 v67, 0x1fffff, v69
	s_delay_alu instid0(VALU_DEP_1) | instskip(NEXT) | instid1(VALU_DEP_3)
	v_add_nc_u32_e32 v69, v67, v163
                                        ; implicit-def: $vgpr67
	v_cmpx_ne_u32_e64 v145, v150
	s_xor_b32 s13, exec_lo, s13
; %bb.9689:                             ;   in Loop: Header=BB4_9504 Depth=3
	s_delay_alu instid0(VALU_DEP_2) | instskip(SKIP_2) | instid1(VALU_DEP_2)
	v_cmp_lt_u32_e32 vcc_lo, 0xffffff, v69
	v_sub_nc_u32_e32 v67, v145, v150
	v_cndmask_b32_e64 v145, 0, 1, vcc_lo
	v_add_co_ci_u32_e32 v67, vcc_lo, 0, v67, vcc_lo
	s_delay_alu instid0(VALU_DEP_2)
	v_lshrrev_b32_e32 v69, v145, v69
; %bb.9690:                             ;   in Loop: Header=BB4_9504 Depth=3
	s_and_not1_saveexec_b32 s13, s13
; %bb.9691:                             ;   in Loop: Header=BB4_9504 Depth=3
	s_delay_alu instid0(VALU_DEP_1)
	v_bfe_u32 v67, v69, 23, 1
; %bb.9692:                             ;   in Loop: Header=BB4_9504 Depth=3
	s_or_b32 exec_lo, exec_lo, s13
	v_lshrrev_b32_e32 v69, 21, v69
	s_delay_alu instid0(VALU_DEP_2) | instskip(SKIP_2) | instid1(VALU_DEP_2)
	v_cmp_gt_i32_e32 vcc_lo, 32, v67
	v_lshrrev_b32_e32 v14, 24, v14
	v_min_i32_e32 v145, 31, v67
	v_dual_cndmask_b32 v69, 3, v69 :: v_dual_and_b32 v14, 0x80, v14
	s_delay_alu instid0(VALU_DEP_2) | instskip(NEXT) | instid1(VALU_DEP_2)
	v_lshlrev_b32_e32 v145, 2, v145
	v_or_b32_e32 v67, v67, v69
	s_delay_alu instid0(VALU_DEP_1) | instskip(SKIP_1) | instid1(VALU_DEP_1)
	v_cmp_ne_u32_e32 vcc_lo, 0, v67
	v_and_b32_e32 v150, 3, v69
	v_or3_b32 v14, v145, v14, v150
	s_delay_alu instid0(VALU_DEP_1)
	v_cndmask_b32_e32 v67, 0, v14, vcc_lo
.LBB4_9693:                             ;   in Loop: Header=BB4_9504 Depth=3
	s_or_b32 exec_lo, exec_lo, s30
.LBB4_9694:                             ;   in Loop: Header=BB4_9504 Depth=3
	s_delay_alu instid0(SALU_CYCLE_1)
	s_or_b32 exec_lo, exec_lo, s17
	flat_load_u8 v14, v[8:9] offset:480 slc dlc
	s_mov_b32 s13, 0
	s_mov_b32 s30, exec_lo
                                        ; implicit-def: $sgpr17
	s_waitcnt vmcnt(0) lgkmcnt(0)
	v_cmpx_lt_i16_e32 0x7f, v14
	s_xor_b32 s30, exec_lo, s30
	s_cbranch_execnz .LBB4_10023
; %bb.9695:                             ;   in Loop: Header=BB4_9504 Depth=3
	s_or_saveexec_b32 s30, s30
	v_mov_b32_e32 v69, s17
	s_xor_b32 exec_lo, exec_lo, s30
	s_cbranch_execnz .LBB4_10026
.LBB4_9696:                             ;   in Loop: Header=BB4_9504 Depth=3
	s_or_b32 exec_lo, exec_lo, s30
	s_and_saveexec_b32 s17, s13
	s_cbranch_execz .LBB4_9698
.LBB4_9697:                             ;   in Loop: Header=BB4_9504 Depth=3
	v_and_b32_e32 v69, 0xffff, v14
	s_delay_alu instid0(VALU_DEP_1) | instskip(NEXT) | instid1(VALU_DEP_1)
	v_and_b32_e32 v145, 3, v69
	v_clz_i32_u32_e32 v150, v145
	s_delay_alu instid0(VALU_DEP_1) | instskip(NEXT) | instid1(VALU_DEP_1)
	v_min_u32_e32 v150, 32, v150
	v_subrev_nc_u32_e32 v163, 29, v150
	v_sub_nc_u32_e32 v150, 30, v150
	s_delay_alu instid0(VALU_DEP_2) | instskip(SKIP_1) | instid1(VALU_DEP_2)
	v_lshlrev_b32_e32 v163, v163, v69
	v_bfe_u32 v69, v69, 2, 5
	v_and_b32_e32 v163, 3, v163
	s_delay_alu instid0(VALU_DEP_2) | instskip(NEXT) | instid1(VALU_DEP_2)
	v_cmp_eq_u32_e32 vcc_lo, 0, v69
	v_dual_cndmask_b32 v145, v145, v163 :: v_dual_lshlrev_b32 v14, 24, v14
	v_cndmask_b32_e32 v69, v69, v150, vcc_lo
	s_delay_alu instid0(VALU_DEP_2) | instskip(NEXT) | instid1(VALU_DEP_3)
	v_and_b32_e32 v14, 0x80000000, v14
	v_lshlrev_b32_e32 v145, 21, v145
	s_delay_alu instid0(VALU_DEP_3) | instskip(NEXT) | instid1(VALU_DEP_1)
	v_lshl_add_u32 v69, v69, 23, 0x37800000
	v_or3_b32 v69, v14, v69, v145
.LBB4_9698:                             ;   in Loop: Header=BB4_9504 Depth=3
	s_or_b32 exec_lo, exec_lo, s17
	s_delay_alu instid0(VALU_DEP_1) | instskip(NEXT) | instid1(VALU_DEP_1)
	v_mul_f32_e32 v14, v15, v69
	v_and_b32_e32 v15, 0x7f800000, v14
	s_delay_alu instid0(VALU_DEP_1)
	v_cmp_ne_u32_e32 vcc_lo, 0x7f800000, v15
	v_mov_b32_e32 v15, 0x80
	s_and_saveexec_b32 s17, vcc_lo
	s_cbranch_execz .LBB4_9706
; %bb.9699:                             ;   in Loop: Header=BB4_9504 Depth=3
	v_mov_b32_e32 v15, 0
	s_mov_b32 s30, exec_lo
	v_cmpx_ne_u32_e32 0, v14
	s_cbranch_execz .LBB4_9705
; %bb.9700:                             ;   in Loop: Header=BB4_9504 Depth=3
	v_bfe_u32 v15, v14, 23, 8
	v_and_b32_e32 v69, 0x7fffff, v14
	s_delay_alu instid0(VALU_DEP_2) | instskip(SKIP_1) | instid1(VALU_DEP_3)
	v_sub_nc_u32_e32 v145, 0x70, v15
	v_cmp_gt_u32_e32 vcc_lo, 0x71, v15
	v_or_b32_e32 v150, 0x800000, v69
	s_delay_alu instid0(VALU_DEP_3) | instskip(SKIP_2) | instid1(VALU_DEP_3)
	v_cndmask_b32_e32 v145, 0, v145, vcc_lo
	v_cmp_eq_u32_e32 vcc_lo, 0, v15
	v_add_nc_u32_e32 v15, 0xffffff91, v15
	v_cndmask_b32_e64 v145, v145, 0x6f, vcc_lo
	v_cndmask_b32_e32 v69, v150, v69, vcc_lo
	s_delay_alu instid0(VALU_DEP_3) | instskip(NEXT) | instid1(VALU_DEP_3)
	v_cndmask_b32_e64 v15, v15, 0xffffff92, vcc_lo
	v_lshl_add_u32 v150, 0x200000, v145, -1
	s_delay_alu instid0(VALU_DEP_3) | instskip(SKIP_1) | instid1(VALU_DEP_4)
	v_lshrrev_b32_e32 v163, v145, v69
	v_lshlrev_b32_e64 v165, v145, 0x100000
	v_add_nc_u32_e32 v145, v145, v15
	s_delay_alu instid0(VALU_DEP_4) | instskip(NEXT) | instid1(VALU_DEP_4)
	v_and_b32_e32 v69, v150, v69
	v_bfe_u32 v164, v163, 21, 1
	s_delay_alu instid0(VALU_DEP_2) | instskip(NEXT) | instid1(VALU_DEP_2)
	v_cmp_eq_u32_e64 s13, v69, v165
	v_add_nc_u32_e32 v150, -1, v164
	s_delay_alu instid0(VALU_DEP_1) | instskip(SKIP_2) | instid1(VALU_DEP_2)
	v_cndmask_b32_e64 v69, 0, v150, s13
	v_lshrrev_b32_e32 v150, 23, v163
	s_mov_b32 s13, exec_lo
	v_add_nc_u32_e32 v69, v69, v163
	s_delay_alu instid0(VALU_DEP_2) | instskip(NEXT) | instid1(VALU_DEP_2)
	v_xor_b32_e32 v150, 1, v150
	v_and_b32_e32 v15, 0x1fffff, v69
	s_delay_alu instid0(VALU_DEP_1) | instskip(NEXT) | instid1(VALU_DEP_3)
	v_add_nc_u32_e32 v69, v15, v163
                                        ; implicit-def: $vgpr15
	v_cmpx_ne_u32_e64 v145, v150
	s_xor_b32 s13, exec_lo, s13
; %bb.9701:                             ;   in Loop: Header=BB4_9504 Depth=3
	s_delay_alu instid0(VALU_DEP_2) | instskip(SKIP_2) | instid1(VALU_DEP_2)
	v_cmp_lt_u32_e32 vcc_lo, 0xffffff, v69
	v_sub_nc_u32_e32 v15, v145, v150
	v_cndmask_b32_e64 v145, 0, 1, vcc_lo
	v_add_co_ci_u32_e32 v15, vcc_lo, 0, v15, vcc_lo
	s_delay_alu instid0(VALU_DEP_2)
	v_lshrrev_b32_e32 v69, v145, v69
; %bb.9702:                             ;   in Loop: Header=BB4_9504 Depth=3
	s_and_not1_saveexec_b32 s13, s13
; %bb.9703:                             ;   in Loop: Header=BB4_9504 Depth=3
	s_delay_alu instid0(VALU_DEP_1)
	v_bfe_u32 v15, v69, 23, 1
; %bb.9704:                             ;   in Loop: Header=BB4_9504 Depth=3
	s_or_b32 exec_lo, exec_lo, s13
	v_lshrrev_b32_e32 v69, 21, v69
	s_delay_alu instid0(VALU_DEP_2) | instskip(SKIP_2) | instid1(VALU_DEP_2)
	v_cmp_gt_i32_e32 vcc_lo, 32, v15
	v_lshrrev_b32_e32 v14, 24, v14
	v_min_i32_e32 v145, 31, v15
	v_dual_cndmask_b32 v69, 3, v69 :: v_dual_and_b32 v14, 0x80, v14
	s_delay_alu instid0(VALU_DEP_2) | instskip(NEXT) | instid1(VALU_DEP_2)
	v_lshlrev_b32_e32 v145, 2, v145
	v_or_b32_e32 v15, v15, v69
	s_delay_alu instid0(VALU_DEP_1) | instskip(SKIP_1) | instid1(VALU_DEP_1)
	v_cmp_ne_u32_e32 vcc_lo, 0, v15
	v_and_b32_e32 v150, 3, v69
	v_or3_b32 v14, v145, v14, v150
	s_delay_alu instid0(VALU_DEP_1)
	v_cndmask_b32_e32 v15, 0, v14, vcc_lo
.LBB4_9705:                             ;   in Loop: Header=BB4_9504 Depth=3
	s_or_b32 exec_lo, exec_lo, s30
.LBB4_9706:                             ;   in Loop: Header=BB4_9504 Depth=3
	s_delay_alu instid0(SALU_CYCLE_1)
	s_or_b32 exec_lo, exec_lo, s17
	s_clause 0xf
	flat_load_u8 v182, v[10:11] slc dlc
	flat_load_u8 v181, v[10:11] offset:32 slc dlc
	flat_load_u8 v180, v[10:11] offset:64 slc dlc
	;; [unrolled: 1-line block ×15, first 2 shown]
	v_and_b32_e32 v40, 0xff, v66
	s_mov_b32 s13, 0
	s_mov_b32 s30, exec_lo
                                        ; implicit-def: $sgpr17
	s_delay_alu instid0(VALU_DEP_1)
	v_cmpx_lt_i16_e32 0x7f, v40
	s_xor_b32 s30, exec_lo, s30
	s_cbranch_execnz .LBB4_10027
; %bb.9707:                             ;   in Loop: Header=BB4_9504 Depth=3
	s_or_saveexec_b32 s30, s30
	v_mov_b32_e32 v183, s17
	s_xor_b32 exec_lo, exec_lo, s30
	s_cbranch_execnz .LBB4_10030
.LBB4_9708:                             ;   in Loop: Header=BB4_9504 Depth=3
	s_or_b32 exec_lo, exec_lo, s30
	s_and_saveexec_b32 s17, s13
	s_cbranch_execz .LBB4_9710
.LBB4_9709:                             ;   in Loop: Header=BB4_9504 Depth=3
	v_lshrrev_b16 v42, 2, v66
	s_delay_alu instid0(VALU_DEP_1) | instskip(NEXT) | instid1(VALU_DEP_1)
	v_and_b32_e32 v42, 31, v42
	v_cmp_eq_u32_e32 vcc_lo, 0, v42
	v_and_b32_e32 v183, 3, v66
	s_delay_alu instid0(VALU_DEP_1) | instskip(NEXT) | instid1(VALU_DEP_1)
	v_clz_i32_u32_e32 v40, v183
	v_min_u32_e32 v40, 32, v40
	s_delay_alu instid0(VALU_DEP_1) | instskip(SKIP_1) | instid1(VALU_DEP_1)
	v_subrev_nc_u32_e32 v41, 29, v40
	v_sub_nc_u32_e32 v40, 30, v40
	v_dual_cndmask_b32 v40, v42, v40 :: v_dual_lshlrev_b32 v41, v41, v66
	v_lshlrev_b32_e32 v66, 24, v66
	s_delay_alu instid0(VALU_DEP_2) | instskip(NEXT) | instid1(VALU_DEP_3)
	v_and_b32_e32 v41, 3, v41
	v_lshl_add_u32 v40, v40, 23, 0x37800000
	s_delay_alu instid0(VALU_DEP_2) | instskip(NEXT) | instid1(VALU_DEP_1)
	v_dual_cndmask_b32 v183, v183, v41 :: v_dual_and_b32 v66, 0x80000000, v66
	v_lshlrev_b32_e32 v183, 21, v183
	s_delay_alu instid0(VALU_DEP_1)
	v_or3_b32 v183, v66, v40, v183
.LBB4_9710:                             ;   in Loop: Header=BB4_9504 Depth=3
	s_or_b32 exec_lo, exec_lo, s17
	s_waitcnt vmcnt(15) lgkmcnt(15)
	v_and_b32_e32 v40, 0xff, v182
	s_mov_b32 s13, 0
	s_mov_b32 s30, exec_lo
                                        ; implicit-def: $sgpr17
	s_delay_alu instid0(VALU_DEP_1)
	v_cmpx_lt_i16_e32 0x7f, v40
	s_xor_b32 s30, exec_lo, s30
	s_cbranch_execnz .LBB4_10031
; %bb.9711:                             ;   in Loop: Header=BB4_9504 Depth=3
	s_or_saveexec_b32 s30, s30
	v_mov_b32_e32 v66, s17
	s_xor_b32 exec_lo, exec_lo, s30
	s_cbranch_execnz .LBB4_10034
.LBB4_9712:                             ;   in Loop: Header=BB4_9504 Depth=3
	s_or_b32 exec_lo, exec_lo, s30
	s_and_saveexec_b32 s17, s13
	s_cbranch_execz .LBB4_9714
.LBB4_9713:                             ;   in Loop: Header=BB4_9504 Depth=3
	v_and_b32_e32 v66, 3, v182
	v_lshrrev_b16 v42, 2, v182
	s_delay_alu instid0(VALU_DEP_2) | instskip(NEXT) | instid1(VALU_DEP_2)
	v_clz_i32_u32_e32 v40, v66
	v_and_b32_e32 v42, 31, v42
	s_delay_alu instid0(VALU_DEP_2) | instskip(NEXT) | instid1(VALU_DEP_2)
	v_min_u32_e32 v40, 32, v40
	v_cmp_eq_u32_e32 vcc_lo, 0, v42
	s_delay_alu instid0(VALU_DEP_2) | instskip(SKIP_1) | instid1(VALU_DEP_1)
	v_subrev_nc_u32_e32 v41, 29, v40
	v_sub_nc_u32_e32 v40, 30, v40
	v_dual_cndmask_b32 v40, v42, v40 :: v_dual_lshlrev_b32 v41, v41, v182
	v_lshlrev_b32_e32 v182, 24, v182
	s_delay_alu instid0(VALU_DEP_2) | instskip(NEXT) | instid1(VALU_DEP_3)
	v_and_b32_e32 v41, 3, v41
	v_lshl_add_u32 v40, v40, 23, 0x37800000
	s_delay_alu instid0(VALU_DEP_3) | instskip(NEXT) | instid1(VALU_DEP_3)
	v_and_b32_e32 v182, 0x80000000, v182
	v_cndmask_b32_e32 v66, v66, v41, vcc_lo
	s_delay_alu instid0(VALU_DEP_1) | instskip(NEXT) | instid1(VALU_DEP_1)
	v_lshlrev_b32_e32 v66, 21, v66
	v_or3_b32 v66, v182, v40, v66
.LBB4_9714:                             ;   in Loop: Header=BB4_9504 Depth=3
	s_or_b32 exec_lo, exec_lo, s17
	s_delay_alu instid0(VALU_DEP_1) | instskip(NEXT) | instid1(VALU_DEP_1)
	v_add_f32_e32 v182, v183, v66
	v_and_b32_e32 v66, 0x7f800000, v182
	s_delay_alu instid0(VALU_DEP_1)
	v_cmp_ne_u32_e32 vcc_lo, 0x7f800000, v66
	v_mov_b32_e32 v66, 0x80
	s_and_saveexec_b32 s17, vcc_lo
	s_cbranch_execz .LBB4_9722
; %bb.9715:                             ;   in Loop: Header=BB4_9504 Depth=3
	v_mov_b32_e32 v66, 0
	s_mov_b32 s30, exec_lo
	v_cmpx_ne_u32_e32 0, v182
	s_cbranch_execz .LBB4_9721
; %bb.9716:                             ;   in Loop: Header=BB4_9504 Depth=3
	v_bfe_u32 v66, v182, 23, 8
	s_delay_alu instid0(VALU_DEP_1) | instskip(SKIP_1) | instid1(VALU_DEP_2)
	v_sub_nc_u32_e32 v40, 0x70, v66
	v_cmp_gt_u32_e32 vcc_lo, 0x71, v66
	v_dual_cndmask_b32 v40, 0, v40 :: v_dual_and_b32 v183, 0x7fffff, v182
	s_delay_alu instid0(VALU_DEP_1) | instskip(SKIP_2) | instid1(VALU_DEP_4)
	v_or_b32_e32 v41, 0x800000, v183
	v_cmp_eq_u32_e32 vcc_lo, 0, v66
	v_add_nc_u32_e32 v66, 0xffffff91, v66
	v_cndmask_b32_e64 v40, v40, 0x6f, vcc_lo
	s_delay_alu instid0(VALU_DEP_4) | instskip(NEXT) | instid1(VALU_DEP_3)
	v_cndmask_b32_e32 v183, v41, v183, vcc_lo
	v_cndmask_b32_e64 v66, v66, 0xffffff92, vcc_lo
	s_delay_alu instid0(VALU_DEP_3) | instskip(NEXT) | instid1(VALU_DEP_3)
	v_lshl_add_u32 v41, 0x200000, v40, -1
	v_lshrrev_b32_e32 v42, v40, v183
	v_lshlrev_b32_e64 v44, v40, 0x100000
	s_delay_alu instid0(VALU_DEP_4) | instskip(NEXT) | instid1(VALU_DEP_4)
	v_add_nc_u32_e32 v40, v40, v66
	v_and_b32_e32 v183, v41, v183
	s_delay_alu instid0(VALU_DEP_4) | instskip(NEXT) | instid1(VALU_DEP_2)
	v_bfe_u32 v43, v42, 21, 1
	v_cmp_eq_u32_e64 s13, v183, v44
	s_delay_alu instid0(VALU_DEP_2) | instskip(NEXT) | instid1(VALU_DEP_1)
	v_add_nc_u32_e32 v41, -1, v43
	v_cndmask_b32_e64 v183, 0, v41, s13
	v_lshrrev_b32_e32 v41, 23, v42
	s_mov_b32 s13, exec_lo
	s_delay_alu instid0(VALU_DEP_2) | instskip(NEXT) | instid1(VALU_DEP_2)
	v_add_nc_u32_e32 v183, v183, v42
	v_xor_b32_e32 v41, 1, v41
	s_delay_alu instid0(VALU_DEP_2) | instskip(NEXT) | instid1(VALU_DEP_1)
	v_and_b32_e32 v66, 0x1fffff, v183
	v_add_nc_u32_e32 v183, v66, v42
                                        ; implicit-def: $vgpr66
	s_delay_alu instid0(VALU_DEP_3)
	v_cmpx_ne_u32_e64 v40, v41
	s_xor_b32 s13, exec_lo, s13
; %bb.9717:                             ;   in Loop: Header=BB4_9504 Depth=3
	s_delay_alu instid0(VALU_DEP_2) | instskip(SKIP_2) | instid1(VALU_DEP_2)
	v_cmp_lt_u32_e32 vcc_lo, 0xffffff, v183
	v_sub_nc_u32_e32 v66, v40, v41
	v_cndmask_b32_e64 v40, 0, 1, vcc_lo
	v_add_co_ci_u32_e32 v66, vcc_lo, 0, v66, vcc_lo
	s_delay_alu instid0(VALU_DEP_2)
	v_lshrrev_b32_e32 v183, v40, v183
; %bb.9718:                             ;   in Loop: Header=BB4_9504 Depth=3
	s_and_not1_saveexec_b32 s13, s13
; %bb.9719:                             ;   in Loop: Header=BB4_9504 Depth=3
	s_delay_alu instid0(VALU_DEP_1)
	v_bfe_u32 v66, v183, 23, 1
; %bb.9720:                             ;   in Loop: Header=BB4_9504 Depth=3
	s_or_b32 exec_lo, exec_lo, s13
	v_lshrrev_b32_e32 v183, 21, v183
	s_delay_alu instid0(VALU_DEP_2) | instskip(SKIP_2) | instid1(VALU_DEP_2)
	v_cmp_gt_i32_e32 vcc_lo, 32, v66
	v_lshrrev_b32_e32 v182, 24, v182
	v_min_i32_e32 v40, 31, v66
	v_dual_cndmask_b32 v183, 3, v183 :: v_dual_and_b32 v182, 0x80, v182
	s_delay_alu instid0(VALU_DEP_2) | instskip(NEXT) | instid1(VALU_DEP_2)
	v_lshlrev_b32_e32 v40, 2, v40
	v_or_b32_e32 v66, v66, v183
	s_delay_alu instid0(VALU_DEP_1) | instskip(SKIP_1) | instid1(VALU_DEP_1)
	v_cmp_ne_u32_e32 vcc_lo, 0, v66
	v_and_b32_e32 v41, 3, v183
	v_or3_b32 v182, v40, v182, v41
	s_delay_alu instid0(VALU_DEP_1)
	v_cndmask_b32_e32 v66, 0, v182, vcc_lo
.LBB4_9721:                             ;   in Loop: Header=BB4_9504 Depth=3
	s_or_b32 exec_lo, exec_lo, s30
.LBB4_9722:                             ;   in Loop: Header=BB4_9504 Depth=3
	s_delay_alu instid0(SALU_CYCLE_1) | instskip(SKIP_3) | instid1(VALU_DEP_1)
	s_or_b32 exec_lo, exec_lo, s17
	v_and_b32_e32 v183, 0xff, v134
	s_mov_b32 s13, 0
	s_mov_b32 s30, exec_lo
                                        ; implicit-def: $sgpr17
	v_cmpx_lt_i16_e64 0x7f, v183
	s_xor_b32 s30, exec_lo, s30
	s_cbranch_execnz .LBB4_10035
; %bb.9723:                             ;   in Loop: Header=BB4_9504 Depth=3
	s_or_saveexec_b32 s30, s30
	v_mov_b32_e32 v182, s17
	s_xor_b32 exec_lo, exec_lo, s30
	s_cbranch_execnz .LBB4_10038
.LBB4_9724:                             ;   in Loop: Header=BB4_9504 Depth=3
	s_or_b32 exec_lo, exec_lo, s30
	s_and_saveexec_b32 s17, s13
	s_cbranch_execz .LBB4_9726
.LBB4_9725:                             ;   in Loop: Header=BB4_9504 Depth=3
	v_lshrrev_b16 v41, 2, v134
	s_delay_alu instid0(VALU_DEP_1) | instskip(NEXT) | instid1(VALU_DEP_1)
	v_and_b32_e32 v41, 31, v41
	v_cmp_eq_u32_e32 vcc_lo, 0, v41
	v_and_b32_e32 v182, 3, v134
	s_delay_alu instid0(VALU_DEP_1) | instskip(NEXT) | instid1(VALU_DEP_1)
	v_clz_i32_u32_e32 v183, v182
	v_min_u32_e32 v183, 32, v183
	s_delay_alu instid0(VALU_DEP_1) | instskip(SKIP_1) | instid1(VALU_DEP_1)
	v_subrev_nc_u32_e32 v40, 29, v183
	v_sub_nc_u32_e32 v183, 30, v183
	v_dual_cndmask_b32 v183, v41, v183 :: v_dual_lshlrev_b32 v40, v40, v134
	v_lshlrev_b32_e32 v134, 24, v134
	s_delay_alu instid0(VALU_DEP_2) | instskip(NEXT) | instid1(VALU_DEP_3)
	v_and_b32_e32 v40, 3, v40
	v_lshl_add_u32 v183, v183, 23, 0x37800000
	s_delay_alu instid0(VALU_DEP_3) | instskip(NEXT) | instid1(VALU_DEP_3)
	v_and_b32_e32 v134, 0x80000000, v134
	v_cndmask_b32_e32 v182, v182, v40, vcc_lo
	s_delay_alu instid0(VALU_DEP_1) | instskip(NEXT) | instid1(VALU_DEP_1)
	v_lshlrev_b32_e32 v182, 21, v182
	v_or3_b32 v182, v134, v183, v182
.LBB4_9726:                             ;   in Loop: Header=BB4_9504 Depth=3
	s_or_b32 exec_lo, exec_lo, s17
	s_waitcnt vmcnt(14) lgkmcnt(14)
	v_and_b32_e32 v183, 0xff, v181
	s_mov_b32 s13, 0
	s_mov_b32 s30, exec_lo
                                        ; implicit-def: $sgpr17
	s_delay_alu instid0(VALU_DEP_1)
	v_cmpx_lt_i16_e64 0x7f, v183
	s_xor_b32 s30, exec_lo, s30
	s_cbranch_execnz .LBB4_10039
; %bb.9727:                             ;   in Loop: Header=BB4_9504 Depth=3
	s_or_saveexec_b32 s30, s30
	v_mov_b32_e32 v134, s17
	s_xor_b32 exec_lo, exec_lo, s30
	s_cbranch_execnz .LBB4_10042
.LBB4_9728:                             ;   in Loop: Header=BB4_9504 Depth=3
	s_or_b32 exec_lo, exec_lo, s30
	s_and_saveexec_b32 s17, s13
	s_cbranch_execz .LBB4_9730
.LBB4_9729:                             ;   in Loop: Header=BB4_9504 Depth=3
	v_lshrrev_b16 v41, 2, v181
	s_delay_alu instid0(VALU_DEP_1) | instskip(NEXT) | instid1(VALU_DEP_1)
	v_and_b32_e32 v41, 31, v41
	v_cmp_eq_u32_e32 vcc_lo, 0, v41
	v_and_b32_e32 v134, 3, v181
	s_delay_alu instid0(VALU_DEP_1) | instskip(NEXT) | instid1(VALU_DEP_1)
	v_clz_i32_u32_e32 v183, v134
	v_min_u32_e32 v183, 32, v183
	s_delay_alu instid0(VALU_DEP_1) | instskip(SKIP_1) | instid1(VALU_DEP_1)
	v_subrev_nc_u32_e32 v40, 29, v183
	v_sub_nc_u32_e32 v183, 30, v183
	v_dual_cndmask_b32 v183, v41, v183 :: v_dual_lshlrev_b32 v40, v40, v181
	v_lshlrev_b32_e32 v181, 24, v181
	s_delay_alu instid0(VALU_DEP_2) | instskip(NEXT) | instid1(VALU_DEP_3)
	v_and_b32_e32 v40, 3, v40
	v_lshl_add_u32 v183, v183, 23, 0x37800000
	s_delay_alu instid0(VALU_DEP_2) | instskip(NEXT) | instid1(VALU_DEP_1)
	v_dual_cndmask_b32 v134, v134, v40 :: v_dual_and_b32 v181, 0x80000000, v181
	v_lshlrev_b32_e32 v134, 21, v134
	s_delay_alu instid0(VALU_DEP_1)
	v_or3_b32 v134, v181, v183, v134
.LBB4_9730:                             ;   in Loop: Header=BB4_9504 Depth=3
	s_or_b32 exec_lo, exec_lo, s17
	s_delay_alu instid0(VALU_DEP_1) | instskip(NEXT) | instid1(VALU_DEP_1)
	v_add_f32_e32 v181, v182, v134
	v_and_b32_e32 v134, 0x7f800000, v181
	s_delay_alu instid0(VALU_DEP_1)
	v_cmp_ne_u32_e32 vcc_lo, 0x7f800000, v134
	v_mov_b32_e32 v134, 0x80
	s_and_saveexec_b32 s17, vcc_lo
	s_cbranch_execz .LBB4_9738
; %bb.9731:                             ;   in Loop: Header=BB4_9504 Depth=3
	v_mov_b32_e32 v134, 0
	s_mov_b32 s30, exec_lo
	v_cmpx_ne_u32_e32 0, v181
	s_cbranch_execz .LBB4_9737
; %bb.9732:                             ;   in Loop: Header=BB4_9504 Depth=3
	v_bfe_u32 v134, v181, 23, 8
	s_delay_alu instid0(VALU_DEP_1) | instskip(SKIP_1) | instid1(VALU_DEP_2)
	v_sub_nc_u32_e32 v183, 0x70, v134
	v_cmp_gt_u32_e32 vcc_lo, 0x71, v134
	v_dual_cndmask_b32 v183, 0, v183 :: v_dual_and_b32 v182, 0x7fffff, v181
	s_delay_alu instid0(VALU_DEP_1) | instskip(SKIP_2) | instid1(VALU_DEP_4)
	v_or_b32_e32 v40, 0x800000, v182
	v_cmp_eq_u32_e32 vcc_lo, 0, v134
	v_add_nc_u32_e32 v134, 0xffffff91, v134
	v_cndmask_b32_e64 v183, v183, 0x6f, vcc_lo
	s_delay_alu instid0(VALU_DEP_4) | instskip(NEXT) | instid1(VALU_DEP_3)
	v_cndmask_b32_e32 v182, v40, v182, vcc_lo
	v_cndmask_b32_e64 v134, v134, 0xffffff92, vcc_lo
	s_delay_alu instid0(VALU_DEP_3) | instskip(NEXT) | instid1(VALU_DEP_3)
	v_lshl_add_u32 v40, 0x200000, v183, -1
	v_lshrrev_b32_e32 v41, v183, v182
	v_lshlrev_b32_e64 v43, v183, 0x100000
	s_delay_alu instid0(VALU_DEP_4) | instskip(NEXT) | instid1(VALU_DEP_4)
	v_add_nc_u32_e32 v183, v183, v134
	v_and_b32_e32 v182, v40, v182
	s_delay_alu instid0(VALU_DEP_4) | instskip(NEXT) | instid1(VALU_DEP_2)
	v_bfe_u32 v42, v41, 21, 1
	v_cmp_eq_u32_e64 s13, v182, v43
	s_delay_alu instid0(VALU_DEP_2) | instskip(NEXT) | instid1(VALU_DEP_1)
	v_add_nc_u32_e32 v40, -1, v42
	v_cndmask_b32_e64 v182, 0, v40, s13
	v_lshrrev_b32_e32 v40, 23, v41
	s_mov_b32 s13, exec_lo
	s_delay_alu instid0(VALU_DEP_2) | instskip(NEXT) | instid1(VALU_DEP_2)
	v_add_nc_u32_e32 v182, v182, v41
	v_xor_b32_e32 v40, 1, v40
	s_delay_alu instid0(VALU_DEP_2) | instskip(NEXT) | instid1(VALU_DEP_1)
	v_and_b32_e32 v134, 0x1fffff, v182
	v_add_nc_u32_e32 v182, v134, v41
                                        ; implicit-def: $vgpr134
	s_delay_alu instid0(VALU_DEP_3)
	v_cmpx_ne_u32_e64 v183, v40
	s_xor_b32 s13, exec_lo, s13
; %bb.9733:                             ;   in Loop: Header=BB4_9504 Depth=3
	s_delay_alu instid0(VALU_DEP_2) | instskip(SKIP_2) | instid1(VALU_DEP_2)
	v_cmp_lt_u32_e32 vcc_lo, 0xffffff, v182
	v_sub_nc_u32_e32 v134, v183, v40
	v_cndmask_b32_e64 v183, 0, 1, vcc_lo
	v_add_co_ci_u32_e32 v134, vcc_lo, 0, v134, vcc_lo
	s_delay_alu instid0(VALU_DEP_2)
	v_lshrrev_b32_e32 v182, v183, v182
; %bb.9734:                             ;   in Loop: Header=BB4_9504 Depth=3
	s_and_not1_saveexec_b32 s13, s13
; %bb.9735:                             ;   in Loop: Header=BB4_9504 Depth=3
	s_delay_alu instid0(VALU_DEP_1)
	v_bfe_u32 v134, v182, 23, 1
; %bb.9736:                             ;   in Loop: Header=BB4_9504 Depth=3
	s_or_b32 exec_lo, exec_lo, s13
	v_lshrrev_b32_e32 v182, 21, v182
	s_delay_alu instid0(VALU_DEP_2) | instskip(SKIP_2) | instid1(VALU_DEP_2)
	v_cmp_gt_i32_e32 vcc_lo, 32, v134
	v_lshrrev_b32_e32 v181, 24, v181
	v_min_i32_e32 v183, 31, v134
	v_dual_cndmask_b32 v182, 3, v182 :: v_dual_and_b32 v181, 0x80, v181
	s_delay_alu instid0(VALU_DEP_1) | instskip(SKIP_1) | instid1(VALU_DEP_2)
	v_or_b32_e32 v134, v134, v182
	v_and_b32_e32 v40, 3, v182
	v_cmp_ne_u32_e32 vcc_lo, 0, v134
	v_lshlrev_b32_e32 v183, 2, v183
	s_delay_alu instid0(VALU_DEP_1) | instskip(NEXT) | instid1(VALU_DEP_1)
	v_or3_b32 v181, v183, v181, v40
	v_cndmask_b32_e32 v134, 0, v181, vcc_lo
.LBB4_9737:                             ;   in Loop: Header=BB4_9504 Depth=3
	s_or_b32 exec_lo, exec_lo, s30
.LBB4_9738:                             ;   in Loop: Header=BB4_9504 Depth=3
	s_delay_alu instid0(SALU_CYCLE_1) | instskip(SKIP_3) | instid1(VALU_DEP_1)
	s_or_b32 exec_lo, exec_lo, s17
	v_and_b32_e32 v182, 0xff, v148
	s_mov_b32 s13, 0
	s_mov_b32 s30, exec_lo
                                        ; implicit-def: $sgpr17
	v_cmpx_lt_i16_e64 0x7f, v182
	s_xor_b32 s30, exec_lo, s30
	s_cbranch_execnz .LBB4_10043
; %bb.9739:                             ;   in Loop: Header=BB4_9504 Depth=3
	s_or_saveexec_b32 s30, s30
	v_mov_b32_e32 v181, s17
	s_xor_b32 exec_lo, exec_lo, s30
	s_cbranch_execnz .LBB4_10046
.LBB4_9740:                             ;   in Loop: Header=BB4_9504 Depth=3
	s_or_b32 exec_lo, exec_lo, s30
	s_and_saveexec_b32 s17, s13
	s_cbranch_execz .LBB4_9742
.LBB4_9741:                             ;   in Loop: Header=BB4_9504 Depth=3
	v_lshrrev_b16 v40, 2, v148
	s_delay_alu instid0(VALU_DEP_1) | instskip(NEXT) | instid1(VALU_DEP_1)
	v_and_b32_e32 v40, 31, v40
	v_cmp_eq_u32_e32 vcc_lo, 0, v40
	v_and_b32_e32 v181, 3, v148
	s_delay_alu instid0(VALU_DEP_1) | instskip(NEXT) | instid1(VALU_DEP_1)
	v_clz_i32_u32_e32 v182, v181
	v_min_u32_e32 v182, 32, v182
	s_delay_alu instid0(VALU_DEP_1) | instskip(SKIP_1) | instid1(VALU_DEP_1)
	v_subrev_nc_u32_e32 v183, 29, v182
	v_sub_nc_u32_e32 v182, 30, v182
	v_dual_cndmask_b32 v182, v40, v182 :: v_dual_lshlrev_b32 v183, v183, v148
	v_lshlrev_b32_e32 v148, 24, v148
	s_delay_alu instid0(VALU_DEP_2) | instskip(NEXT) | instid1(VALU_DEP_3)
	v_and_b32_e32 v183, 3, v183
	v_lshl_add_u32 v182, v182, 23, 0x37800000
	s_delay_alu instid0(VALU_DEP_2) | instskip(NEXT) | instid1(VALU_DEP_1)
	v_dual_cndmask_b32 v181, v181, v183 :: v_dual_and_b32 v148, 0x80000000, v148
	v_lshlrev_b32_e32 v181, 21, v181
	s_delay_alu instid0(VALU_DEP_1)
	v_or3_b32 v181, v148, v182, v181
.LBB4_9742:                             ;   in Loop: Header=BB4_9504 Depth=3
	s_or_b32 exec_lo, exec_lo, s17
	s_waitcnt vmcnt(13) lgkmcnt(13)
	v_and_b32_e32 v182, 0xff, v180
	s_mov_b32 s13, 0
	s_mov_b32 s30, exec_lo
                                        ; implicit-def: $sgpr17
	s_delay_alu instid0(VALU_DEP_1)
	v_cmpx_lt_i16_e64 0x7f, v182
	s_xor_b32 s30, exec_lo, s30
	s_cbranch_execnz .LBB4_10047
; %bb.9743:                             ;   in Loop: Header=BB4_9504 Depth=3
	s_or_saveexec_b32 s30, s30
	v_mov_b32_e32 v148, s17
	s_xor_b32 exec_lo, exec_lo, s30
	s_cbranch_execnz .LBB4_10050
.LBB4_9744:                             ;   in Loop: Header=BB4_9504 Depth=3
	s_or_b32 exec_lo, exec_lo, s30
	s_and_saveexec_b32 s17, s13
	s_cbranch_execz .LBB4_9746
.LBB4_9745:                             ;   in Loop: Header=BB4_9504 Depth=3
	v_and_b32_e32 v148, 3, v180
	v_lshrrev_b16 v40, 2, v180
	s_delay_alu instid0(VALU_DEP_2) | instskip(NEXT) | instid1(VALU_DEP_2)
	v_clz_i32_u32_e32 v182, v148
	v_and_b32_e32 v40, 31, v40
	s_delay_alu instid0(VALU_DEP_2) | instskip(NEXT) | instid1(VALU_DEP_2)
	v_min_u32_e32 v182, 32, v182
	v_cmp_eq_u32_e32 vcc_lo, 0, v40
	s_delay_alu instid0(VALU_DEP_2) | instskip(SKIP_1) | instid1(VALU_DEP_1)
	v_subrev_nc_u32_e32 v183, 29, v182
	v_sub_nc_u32_e32 v182, 30, v182
	v_dual_cndmask_b32 v182, v40, v182 :: v_dual_lshlrev_b32 v183, v183, v180
	v_lshlrev_b32_e32 v180, 24, v180
	s_delay_alu instid0(VALU_DEP_2) | instskip(NEXT) | instid1(VALU_DEP_3)
	v_and_b32_e32 v183, 3, v183
	v_lshl_add_u32 v182, v182, 23, 0x37800000
	s_delay_alu instid0(VALU_DEP_3) | instskip(NEXT) | instid1(VALU_DEP_3)
	v_and_b32_e32 v180, 0x80000000, v180
	v_cndmask_b32_e32 v148, v148, v183, vcc_lo
	s_delay_alu instid0(VALU_DEP_1) | instskip(NEXT) | instid1(VALU_DEP_1)
	v_lshlrev_b32_e32 v148, 21, v148
	v_or3_b32 v148, v180, v182, v148
.LBB4_9746:                             ;   in Loop: Header=BB4_9504 Depth=3
	s_or_b32 exec_lo, exec_lo, s17
	s_delay_alu instid0(VALU_DEP_1) | instskip(NEXT) | instid1(VALU_DEP_1)
	v_add_f32_e32 v180, v181, v148
	v_and_b32_e32 v148, 0x7f800000, v180
	s_delay_alu instid0(VALU_DEP_1)
	v_cmp_ne_u32_e32 vcc_lo, 0x7f800000, v148
	v_mov_b32_e32 v148, 0x80
	s_and_saveexec_b32 s17, vcc_lo
	s_cbranch_execz .LBB4_9754
; %bb.9747:                             ;   in Loop: Header=BB4_9504 Depth=3
	v_mov_b32_e32 v148, 0
	s_mov_b32 s30, exec_lo
	v_cmpx_ne_u32_e32 0, v180
	s_cbranch_execz .LBB4_9753
; %bb.9748:                             ;   in Loop: Header=BB4_9504 Depth=3
	v_bfe_u32 v148, v180, 23, 8
	s_delay_alu instid0(VALU_DEP_1) | instskip(SKIP_1) | instid1(VALU_DEP_2)
	v_sub_nc_u32_e32 v182, 0x70, v148
	v_cmp_gt_u32_e32 vcc_lo, 0x71, v148
	v_dual_cndmask_b32 v182, 0, v182 :: v_dual_and_b32 v181, 0x7fffff, v180
	s_delay_alu instid0(VALU_DEP_1) | instskip(SKIP_2) | instid1(VALU_DEP_4)
	v_or_b32_e32 v183, 0x800000, v181
	v_cmp_eq_u32_e32 vcc_lo, 0, v148
	v_add_nc_u32_e32 v148, 0xffffff91, v148
	v_cndmask_b32_e64 v182, v182, 0x6f, vcc_lo
	s_delay_alu instid0(VALU_DEP_4) | instskip(NEXT) | instid1(VALU_DEP_3)
	v_cndmask_b32_e32 v181, v183, v181, vcc_lo
	v_cndmask_b32_e64 v148, v148, 0xffffff92, vcc_lo
	s_delay_alu instid0(VALU_DEP_3) | instskip(NEXT) | instid1(VALU_DEP_3)
	v_lshl_add_u32 v183, 0x200000, v182, -1
	v_lshrrev_b32_e32 v40, v182, v181
	v_lshlrev_b32_e64 v42, v182, 0x100000
	s_delay_alu instid0(VALU_DEP_4) | instskip(NEXT) | instid1(VALU_DEP_4)
	v_add_nc_u32_e32 v182, v182, v148
	v_and_b32_e32 v181, v183, v181
	s_delay_alu instid0(VALU_DEP_4) | instskip(NEXT) | instid1(VALU_DEP_2)
	v_bfe_u32 v41, v40, 21, 1
	v_cmp_eq_u32_e64 s13, v181, v42
	s_delay_alu instid0(VALU_DEP_2) | instskip(NEXT) | instid1(VALU_DEP_1)
	v_add_nc_u32_e32 v183, -1, v41
	v_cndmask_b32_e64 v181, 0, v183, s13
	v_lshrrev_b32_e32 v183, 23, v40
	s_mov_b32 s13, exec_lo
	s_delay_alu instid0(VALU_DEP_2) | instskip(NEXT) | instid1(VALU_DEP_2)
	v_add_nc_u32_e32 v181, v181, v40
	v_xor_b32_e32 v183, 1, v183
	s_delay_alu instid0(VALU_DEP_2) | instskip(NEXT) | instid1(VALU_DEP_1)
	v_and_b32_e32 v148, 0x1fffff, v181
	v_add_nc_u32_e32 v181, v148, v40
                                        ; implicit-def: $vgpr148
	s_delay_alu instid0(VALU_DEP_3)
	v_cmpx_ne_u32_e64 v182, v183
	s_xor_b32 s13, exec_lo, s13
; %bb.9749:                             ;   in Loop: Header=BB4_9504 Depth=3
	s_delay_alu instid0(VALU_DEP_2) | instskip(SKIP_2) | instid1(VALU_DEP_2)
	v_cmp_lt_u32_e32 vcc_lo, 0xffffff, v181
	v_sub_nc_u32_e32 v148, v182, v183
	v_cndmask_b32_e64 v182, 0, 1, vcc_lo
	v_add_co_ci_u32_e32 v148, vcc_lo, 0, v148, vcc_lo
	s_delay_alu instid0(VALU_DEP_2)
	v_lshrrev_b32_e32 v181, v182, v181
; %bb.9750:                             ;   in Loop: Header=BB4_9504 Depth=3
	s_and_not1_saveexec_b32 s13, s13
; %bb.9751:                             ;   in Loop: Header=BB4_9504 Depth=3
	s_delay_alu instid0(VALU_DEP_1)
	v_bfe_u32 v148, v181, 23, 1
; %bb.9752:                             ;   in Loop: Header=BB4_9504 Depth=3
	s_or_b32 exec_lo, exec_lo, s13
	v_lshrrev_b32_e32 v181, 21, v181
	s_delay_alu instid0(VALU_DEP_2) | instskip(SKIP_2) | instid1(VALU_DEP_2)
	v_cmp_gt_i32_e32 vcc_lo, 32, v148
	v_lshrrev_b32_e32 v180, 24, v180
	v_min_i32_e32 v182, 31, v148
	v_dual_cndmask_b32 v181, 3, v181 :: v_dual_and_b32 v180, 0x80, v180
	s_delay_alu instid0(VALU_DEP_2) | instskip(NEXT) | instid1(VALU_DEP_2)
	v_lshlrev_b32_e32 v182, 2, v182
	v_or_b32_e32 v148, v148, v181
	s_delay_alu instid0(VALU_DEP_1) | instskip(SKIP_1) | instid1(VALU_DEP_1)
	v_cmp_ne_u32_e32 vcc_lo, 0, v148
	v_and_b32_e32 v183, 3, v181
	v_or3_b32 v180, v182, v180, v183
	s_delay_alu instid0(VALU_DEP_1)
	v_cndmask_b32_e32 v148, 0, v180, vcc_lo
.LBB4_9753:                             ;   in Loop: Header=BB4_9504 Depth=3
	s_or_b32 exec_lo, exec_lo, s30
.LBB4_9754:                             ;   in Loop: Header=BB4_9504 Depth=3
	s_delay_alu instid0(SALU_CYCLE_1) | instskip(SKIP_3) | instid1(VALU_DEP_1)
	s_or_b32 exec_lo, exec_lo, s17
	v_and_b32_e32 v181, 0xff, v161
	s_mov_b32 s13, 0
	s_mov_b32 s30, exec_lo
                                        ; implicit-def: $sgpr17
	v_cmpx_lt_i16_e64 0x7f, v181
	s_xor_b32 s30, exec_lo, s30
	s_cbranch_execnz .LBB4_10051
; %bb.9755:                             ;   in Loop: Header=BB4_9504 Depth=3
	s_or_saveexec_b32 s30, s30
	v_mov_b32_e32 v180, s17
	s_xor_b32 exec_lo, exec_lo, s30
	s_cbranch_execnz .LBB4_10054
.LBB4_9756:                             ;   in Loop: Header=BB4_9504 Depth=3
	s_or_b32 exec_lo, exec_lo, s30
	s_and_saveexec_b32 s17, s13
	s_cbranch_execz .LBB4_9758
.LBB4_9757:                             ;   in Loop: Header=BB4_9504 Depth=3
	v_and_b32_e32 v180, 3, v161
	v_lshrrev_b16 v183, 2, v161
	s_delay_alu instid0(VALU_DEP_2) | instskip(NEXT) | instid1(VALU_DEP_1)
	v_clz_i32_u32_e32 v181, v180
	v_min_u32_e32 v181, 32, v181
	s_delay_alu instid0(VALU_DEP_1) | instskip(SKIP_1) | instid1(VALU_DEP_2)
	v_subrev_nc_u32_e32 v182, 29, v181
	v_sub_nc_u32_e32 v181, 30, v181
	v_lshlrev_b32_e32 v182, v182, v161
	v_lshlrev_b32_e32 v161, 24, v161
	s_delay_alu instid0(VALU_DEP_2) | instskip(SKIP_1) | instid1(VALU_DEP_3)
	v_and_b32_e32 v182, 3, v182
	v_and_b32_e32 v183, 31, v183
	v_and_b32_e32 v161, 0x80000000, v161
	s_delay_alu instid0(VALU_DEP_2) | instskip(NEXT) | instid1(VALU_DEP_4)
	v_cmp_eq_u32_e32 vcc_lo, 0, v183
	v_dual_cndmask_b32 v180, v180, v182 :: v_dual_cndmask_b32 v181, v183, v181
	s_delay_alu instid0(VALU_DEP_1) | instskip(NEXT) | instid1(VALU_DEP_2)
	v_lshlrev_b32_e32 v180, 21, v180
	v_lshl_add_u32 v181, v181, 23, 0x37800000
	s_delay_alu instid0(VALU_DEP_1)
	v_or3_b32 v180, v161, v181, v180
.LBB4_9758:                             ;   in Loop: Header=BB4_9504 Depth=3
	s_or_b32 exec_lo, exec_lo, s17
	s_waitcnt vmcnt(12) lgkmcnt(12)
	v_and_b32_e32 v181, 0xff, v179
	s_mov_b32 s13, 0
	s_mov_b32 s30, exec_lo
                                        ; implicit-def: $sgpr17
	s_delay_alu instid0(VALU_DEP_1)
	v_cmpx_lt_i16_e64 0x7f, v181
	s_xor_b32 s30, exec_lo, s30
	s_cbranch_execnz .LBB4_10055
; %bb.9759:                             ;   in Loop: Header=BB4_9504 Depth=3
	s_or_saveexec_b32 s30, s30
	v_mov_b32_e32 v161, s17
	s_xor_b32 exec_lo, exec_lo, s30
	s_cbranch_execnz .LBB4_10058
.LBB4_9760:                             ;   in Loop: Header=BB4_9504 Depth=3
	s_or_b32 exec_lo, exec_lo, s30
	s_and_saveexec_b32 s17, s13
	s_cbranch_execz .LBB4_9762
.LBB4_9761:                             ;   in Loop: Header=BB4_9504 Depth=3
	v_and_b32_e32 v161, 3, v179
	v_lshrrev_b16 v183, 2, v179
	s_delay_alu instid0(VALU_DEP_2) | instskip(NEXT) | instid1(VALU_DEP_2)
	v_clz_i32_u32_e32 v181, v161
	v_and_b32_e32 v183, 31, v183
	s_delay_alu instid0(VALU_DEP_2) | instskip(NEXT) | instid1(VALU_DEP_2)
	v_min_u32_e32 v181, 32, v181
	v_cmp_eq_u32_e32 vcc_lo, 0, v183
	s_delay_alu instid0(VALU_DEP_2) | instskip(SKIP_1) | instid1(VALU_DEP_1)
	v_subrev_nc_u32_e32 v182, 29, v181
	v_sub_nc_u32_e32 v181, 30, v181
	v_dual_cndmask_b32 v181, v183, v181 :: v_dual_lshlrev_b32 v182, v182, v179
	v_lshlrev_b32_e32 v179, 24, v179
	s_delay_alu instid0(VALU_DEP_2) | instskip(NEXT) | instid1(VALU_DEP_3)
	v_and_b32_e32 v182, 3, v182
	v_lshl_add_u32 v181, v181, 23, 0x37800000
	s_delay_alu instid0(VALU_DEP_3) | instskip(NEXT) | instid1(VALU_DEP_3)
	v_and_b32_e32 v179, 0x80000000, v179
	v_cndmask_b32_e32 v161, v161, v182, vcc_lo
	s_delay_alu instid0(VALU_DEP_1) | instskip(NEXT) | instid1(VALU_DEP_1)
	v_lshlrev_b32_e32 v161, 21, v161
	v_or3_b32 v161, v179, v181, v161
.LBB4_9762:                             ;   in Loop: Header=BB4_9504 Depth=3
	s_or_b32 exec_lo, exec_lo, s17
	s_delay_alu instid0(VALU_DEP_1) | instskip(NEXT) | instid1(VALU_DEP_1)
	v_add_f32_e32 v179, v180, v161
	v_and_b32_e32 v161, 0x7f800000, v179
	s_delay_alu instid0(VALU_DEP_1)
	v_cmp_ne_u32_e32 vcc_lo, 0x7f800000, v161
	v_mov_b32_e32 v161, 0x80
	s_and_saveexec_b32 s17, vcc_lo
	s_cbranch_execz .LBB4_9770
; %bb.9763:                             ;   in Loop: Header=BB4_9504 Depth=3
	v_mov_b32_e32 v161, 0
	s_mov_b32 s30, exec_lo
	v_cmpx_ne_u32_e32 0, v179
	s_cbranch_execz .LBB4_9769
; %bb.9764:                             ;   in Loop: Header=BB4_9504 Depth=3
	v_bfe_u32 v161, v179, 23, 8
	s_delay_alu instid0(VALU_DEP_1) | instskip(SKIP_1) | instid1(VALU_DEP_2)
	v_sub_nc_u32_e32 v181, 0x70, v161
	v_cmp_gt_u32_e32 vcc_lo, 0x71, v161
	v_dual_cndmask_b32 v181, 0, v181 :: v_dual_and_b32 v180, 0x7fffff, v179
	s_delay_alu instid0(VALU_DEP_1) | instskip(SKIP_2) | instid1(VALU_DEP_4)
	v_or_b32_e32 v182, 0x800000, v180
	v_cmp_eq_u32_e32 vcc_lo, 0, v161
	v_add_nc_u32_e32 v161, 0xffffff91, v161
	v_cndmask_b32_e64 v181, v181, 0x6f, vcc_lo
	s_delay_alu instid0(VALU_DEP_4) | instskip(NEXT) | instid1(VALU_DEP_3)
	v_cndmask_b32_e32 v180, v182, v180, vcc_lo
	v_cndmask_b32_e64 v161, v161, 0xffffff92, vcc_lo
	s_delay_alu instid0(VALU_DEP_3) | instskip(NEXT) | instid1(VALU_DEP_3)
	v_lshl_add_u32 v182, 0x200000, v181, -1
	v_lshrrev_b32_e32 v183, v181, v180
	v_lshlrev_b32_e64 v41, v181, 0x100000
	s_delay_alu instid0(VALU_DEP_4) | instskip(NEXT) | instid1(VALU_DEP_4)
	v_add_nc_u32_e32 v181, v181, v161
	v_and_b32_e32 v180, v182, v180
	s_delay_alu instid0(VALU_DEP_4) | instskip(NEXT) | instid1(VALU_DEP_2)
	v_bfe_u32 v40, v183, 21, 1
	v_cmp_eq_u32_e64 s13, v180, v41
	s_delay_alu instid0(VALU_DEP_2) | instskip(NEXT) | instid1(VALU_DEP_1)
	v_add_nc_u32_e32 v182, -1, v40
	v_cndmask_b32_e64 v180, 0, v182, s13
	v_lshrrev_b32_e32 v182, 23, v183
	s_mov_b32 s13, exec_lo
	s_delay_alu instid0(VALU_DEP_2) | instskip(NEXT) | instid1(VALU_DEP_2)
	v_add_nc_u32_e32 v180, v180, v183
	v_xor_b32_e32 v182, 1, v182
	s_delay_alu instid0(VALU_DEP_2) | instskip(NEXT) | instid1(VALU_DEP_1)
	v_and_b32_e32 v161, 0x1fffff, v180
	v_add_nc_u32_e32 v180, v161, v183
                                        ; implicit-def: $vgpr161
	s_delay_alu instid0(VALU_DEP_3)
	v_cmpx_ne_u32_e64 v181, v182
	s_xor_b32 s13, exec_lo, s13
; %bb.9765:                             ;   in Loop: Header=BB4_9504 Depth=3
	s_delay_alu instid0(VALU_DEP_2) | instskip(SKIP_2) | instid1(VALU_DEP_2)
	v_cmp_lt_u32_e32 vcc_lo, 0xffffff, v180
	v_sub_nc_u32_e32 v161, v181, v182
	v_cndmask_b32_e64 v181, 0, 1, vcc_lo
	v_add_co_ci_u32_e32 v161, vcc_lo, 0, v161, vcc_lo
	s_delay_alu instid0(VALU_DEP_2)
	v_lshrrev_b32_e32 v180, v181, v180
; %bb.9766:                             ;   in Loop: Header=BB4_9504 Depth=3
	s_and_not1_saveexec_b32 s13, s13
; %bb.9767:                             ;   in Loop: Header=BB4_9504 Depth=3
	s_delay_alu instid0(VALU_DEP_1)
	v_bfe_u32 v161, v180, 23, 1
; %bb.9768:                             ;   in Loop: Header=BB4_9504 Depth=3
	s_or_b32 exec_lo, exec_lo, s13
	v_lshrrev_b32_e32 v180, 21, v180
	s_delay_alu instid0(VALU_DEP_2) | instskip(SKIP_2) | instid1(VALU_DEP_2)
	v_cmp_gt_i32_e32 vcc_lo, 32, v161
	v_lshrrev_b32_e32 v179, 24, v179
	v_min_i32_e32 v181, 31, v161
	v_dual_cndmask_b32 v180, 3, v180 :: v_dual_and_b32 v179, 0x80, v179
	s_delay_alu instid0(VALU_DEP_2) | instskip(NEXT) | instid1(VALU_DEP_2)
	v_lshlrev_b32_e32 v181, 2, v181
	v_or_b32_e32 v161, v161, v180
	s_delay_alu instid0(VALU_DEP_1) | instskip(SKIP_1) | instid1(VALU_DEP_1)
	v_cmp_ne_u32_e32 vcc_lo, 0, v161
	v_and_b32_e32 v182, 3, v180
	v_or3_b32 v179, v181, v179, v182
	s_delay_alu instid0(VALU_DEP_1)
	v_cndmask_b32_e32 v161, 0, v179, vcc_lo
.LBB4_9769:                             ;   in Loop: Header=BB4_9504 Depth=3
	s_or_b32 exec_lo, exec_lo, s30
.LBB4_9770:                             ;   in Loop: Header=BB4_9504 Depth=3
	s_delay_alu instid0(SALU_CYCLE_1) | instskip(SKIP_3) | instid1(VALU_DEP_1)
	s_or_b32 exec_lo, exec_lo, s17
	v_and_b32_e32 v180, 0xff, v162
	s_mov_b32 s13, 0
	s_mov_b32 s30, exec_lo
                                        ; implicit-def: $sgpr17
	v_cmpx_lt_i16_e64 0x7f, v180
	s_xor_b32 s30, exec_lo, s30
	s_cbranch_execnz .LBB4_10059
; %bb.9771:                             ;   in Loop: Header=BB4_9504 Depth=3
	s_or_saveexec_b32 s30, s30
	v_mov_b32_e32 v179, s17
	s_xor_b32 exec_lo, exec_lo, s30
	s_cbranch_execnz .LBB4_10062
.LBB4_9772:                             ;   in Loop: Header=BB4_9504 Depth=3
	s_or_b32 exec_lo, exec_lo, s30
	s_and_saveexec_b32 s17, s13
	s_cbranch_execz .LBB4_9774
.LBB4_9773:                             ;   in Loop: Header=BB4_9504 Depth=3
	v_lshrrev_b16 v182, 2, v162
	s_delay_alu instid0(VALU_DEP_1) | instskip(NEXT) | instid1(VALU_DEP_1)
	v_and_b32_e32 v182, 31, v182
	v_cmp_eq_u32_e32 vcc_lo, 0, v182
	v_and_b32_e32 v179, 3, v162
	s_delay_alu instid0(VALU_DEP_1) | instskip(NEXT) | instid1(VALU_DEP_1)
	v_clz_i32_u32_e32 v180, v179
	v_min_u32_e32 v180, 32, v180
	s_delay_alu instid0(VALU_DEP_1) | instskip(SKIP_1) | instid1(VALU_DEP_1)
	v_subrev_nc_u32_e32 v181, 29, v180
	v_sub_nc_u32_e32 v180, 30, v180
	v_dual_cndmask_b32 v180, v182, v180 :: v_dual_lshlrev_b32 v181, v181, v162
	v_lshlrev_b32_e32 v162, 24, v162
	s_delay_alu instid0(VALU_DEP_2) | instskip(NEXT) | instid1(VALU_DEP_3)
	v_and_b32_e32 v181, 3, v181
	v_lshl_add_u32 v180, v180, 23, 0x37800000
	s_delay_alu instid0(VALU_DEP_2) | instskip(NEXT) | instid1(VALU_DEP_1)
	v_dual_cndmask_b32 v179, v179, v181 :: v_dual_and_b32 v162, 0x80000000, v162
	v_lshlrev_b32_e32 v179, 21, v179
	s_delay_alu instid0(VALU_DEP_1)
	v_or3_b32 v179, v162, v180, v179
.LBB4_9774:                             ;   in Loop: Header=BB4_9504 Depth=3
	s_or_b32 exec_lo, exec_lo, s17
	s_waitcnt vmcnt(11) lgkmcnt(11)
	v_and_b32_e32 v180, 0xff, v178
	s_mov_b32 s13, 0
	s_mov_b32 s30, exec_lo
                                        ; implicit-def: $sgpr17
	s_delay_alu instid0(VALU_DEP_1)
	v_cmpx_lt_i16_e64 0x7f, v180
	s_xor_b32 s30, exec_lo, s30
	s_cbranch_execnz .LBB4_10063
; %bb.9775:                             ;   in Loop: Header=BB4_9504 Depth=3
	s_or_saveexec_b32 s30, s30
	v_mov_b32_e32 v162, s17
	s_xor_b32 exec_lo, exec_lo, s30
	s_cbranch_execnz .LBB4_10066
.LBB4_9776:                             ;   in Loop: Header=BB4_9504 Depth=3
	s_or_b32 exec_lo, exec_lo, s30
	s_and_saveexec_b32 s17, s13
	s_cbranch_execz .LBB4_9778
.LBB4_9777:                             ;   in Loop: Header=BB4_9504 Depth=3
	v_and_b32_e32 v162, 3, v178
	v_lshrrev_b16 v182, 2, v178
	s_delay_alu instid0(VALU_DEP_2) | instskip(NEXT) | instid1(VALU_DEP_2)
	v_clz_i32_u32_e32 v180, v162
	v_and_b32_e32 v182, 31, v182
	s_delay_alu instid0(VALU_DEP_2) | instskip(NEXT) | instid1(VALU_DEP_2)
	v_min_u32_e32 v180, 32, v180
	v_cmp_eq_u32_e32 vcc_lo, 0, v182
	s_delay_alu instid0(VALU_DEP_2) | instskip(SKIP_1) | instid1(VALU_DEP_1)
	v_subrev_nc_u32_e32 v181, 29, v180
	v_sub_nc_u32_e32 v180, 30, v180
	v_dual_cndmask_b32 v180, v182, v180 :: v_dual_lshlrev_b32 v181, v181, v178
	v_lshlrev_b32_e32 v178, 24, v178
	s_delay_alu instid0(VALU_DEP_2) | instskip(NEXT) | instid1(VALU_DEP_3)
	v_and_b32_e32 v181, 3, v181
	v_lshl_add_u32 v180, v180, 23, 0x37800000
	s_delay_alu instid0(VALU_DEP_3) | instskip(NEXT) | instid1(VALU_DEP_3)
	v_and_b32_e32 v178, 0x80000000, v178
	v_cndmask_b32_e32 v162, v162, v181, vcc_lo
	s_delay_alu instid0(VALU_DEP_1) | instskip(NEXT) | instid1(VALU_DEP_1)
	v_lshlrev_b32_e32 v162, 21, v162
	v_or3_b32 v162, v178, v180, v162
.LBB4_9778:                             ;   in Loop: Header=BB4_9504 Depth=3
	s_or_b32 exec_lo, exec_lo, s17
	s_delay_alu instid0(VALU_DEP_1) | instskip(NEXT) | instid1(VALU_DEP_1)
	v_add_f32_e32 v178, v179, v162
	v_and_b32_e32 v162, 0x7f800000, v178
	s_delay_alu instid0(VALU_DEP_1)
	v_cmp_ne_u32_e32 vcc_lo, 0x7f800000, v162
	v_mov_b32_e32 v162, 0x80
	s_and_saveexec_b32 s17, vcc_lo
	s_cbranch_execz .LBB4_9786
; %bb.9779:                             ;   in Loop: Header=BB4_9504 Depth=3
	v_mov_b32_e32 v162, 0
	s_mov_b32 s30, exec_lo
	v_cmpx_ne_u32_e32 0, v178
	s_cbranch_execz .LBB4_9785
; %bb.9780:                             ;   in Loop: Header=BB4_9504 Depth=3
	v_bfe_u32 v162, v178, 23, 8
	s_delay_alu instid0(VALU_DEP_1) | instskip(SKIP_1) | instid1(VALU_DEP_2)
	v_sub_nc_u32_e32 v180, 0x70, v162
	v_cmp_gt_u32_e32 vcc_lo, 0x71, v162
	v_dual_cndmask_b32 v180, 0, v180 :: v_dual_and_b32 v179, 0x7fffff, v178
	s_delay_alu instid0(VALU_DEP_1) | instskip(SKIP_2) | instid1(VALU_DEP_4)
	v_or_b32_e32 v181, 0x800000, v179
	v_cmp_eq_u32_e32 vcc_lo, 0, v162
	v_add_nc_u32_e32 v162, 0xffffff91, v162
	v_cndmask_b32_e64 v180, v180, 0x6f, vcc_lo
	s_delay_alu instid0(VALU_DEP_4) | instskip(NEXT) | instid1(VALU_DEP_3)
	v_cndmask_b32_e32 v179, v181, v179, vcc_lo
	v_cndmask_b32_e64 v162, v162, 0xffffff92, vcc_lo
	s_delay_alu instid0(VALU_DEP_3) | instskip(NEXT) | instid1(VALU_DEP_3)
	v_lshl_add_u32 v181, 0x200000, v180, -1
	v_lshrrev_b32_e32 v182, v180, v179
	v_lshlrev_b32_e64 v40, v180, 0x100000
	s_delay_alu instid0(VALU_DEP_4) | instskip(NEXT) | instid1(VALU_DEP_4)
	v_add_nc_u32_e32 v180, v180, v162
	v_and_b32_e32 v179, v181, v179
	s_delay_alu instid0(VALU_DEP_4) | instskip(NEXT) | instid1(VALU_DEP_2)
	v_bfe_u32 v183, v182, 21, 1
	v_cmp_eq_u32_e64 s13, v179, v40
	s_delay_alu instid0(VALU_DEP_2) | instskip(NEXT) | instid1(VALU_DEP_1)
	v_add_nc_u32_e32 v181, -1, v183
	v_cndmask_b32_e64 v179, 0, v181, s13
	v_lshrrev_b32_e32 v181, 23, v182
	s_mov_b32 s13, exec_lo
	s_delay_alu instid0(VALU_DEP_2) | instskip(NEXT) | instid1(VALU_DEP_2)
	v_add_nc_u32_e32 v179, v179, v182
	v_xor_b32_e32 v181, 1, v181
	s_delay_alu instid0(VALU_DEP_2) | instskip(NEXT) | instid1(VALU_DEP_1)
	v_and_b32_e32 v162, 0x1fffff, v179
	v_add_nc_u32_e32 v179, v162, v182
                                        ; implicit-def: $vgpr162
	s_delay_alu instid0(VALU_DEP_3)
	v_cmpx_ne_u32_e64 v180, v181
	s_xor_b32 s13, exec_lo, s13
; %bb.9781:                             ;   in Loop: Header=BB4_9504 Depth=3
	s_delay_alu instid0(VALU_DEP_2) | instskip(SKIP_2) | instid1(VALU_DEP_2)
	v_cmp_lt_u32_e32 vcc_lo, 0xffffff, v179
	v_sub_nc_u32_e32 v162, v180, v181
	v_cndmask_b32_e64 v180, 0, 1, vcc_lo
	v_add_co_ci_u32_e32 v162, vcc_lo, 0, v162, vcc_lo
	s_delay_alu instid0(VALU_DEP_2)
	v_lshrrev_b32_e32 v179, v180, v179
; %bb.9782:                             ;   in Loop: Header=BB4_9504 Depth=3
	s_and_not1_saveexec_b32 s13, s13
; %bb.9783:                             ;   in Loop: Header=BB4_9504 Depth=3
	s_delay_alu instid0(VALU_DEP_1)
	v_bfe_u32 v162, v179, 23, 1
; %bb.9784:                             ;   in Loop: Header=BB4_9504 Depth=3
	s_or_b32 exec_lo, exec_lo, s13
	v_lshrrev_b32_e32 v179, 21, v179
	s_delay_alu instid0(VALU_DEP_2) | instskip(SKIP_2) | instid1(VALU_DEP_2)
	v_cmp_gt_i32_e32 vcc_lo, 32, v162
	v_lshrrev_b32_e32 v178, 24, v178
	v_min_i32_e32 v180, 31, v162
	v_dual_cndmask_b32 v179, 3, v179 :: v_dual_and_b32 v178, 0x80, v178
	s_delay_alu instid0(VALU_DEP_2) | instskip(NEXT) | instid1(VALU_DEP_2)
	v_lshlrev_b32_e32 v180, 2, v180
	v_or_b32_e32 v162, v162, v179
	s_delay_alu instid0(VALU_DEP_1) | instskip(SKIP_1) | instid1(VALU_DEP_1)
	v_cmp_ne_u32_e32 vcc_lo, 0, v162
	v_and_b32_e32 v181, 3, v179
	v_or3_b32 v178, v180, v178, v181
	s_delay_alu instid0(VALU_DEP_1)
	v_cndmask_b32_e32 v162, 0, v178, vcc_lo
.LBB4_9785:                             ;   in Loop: Header=BB4_9504 Depth=3
	s_or_b32 exec_lo, exec_lo, s30
.LBB4_9786:                             ;   in Loop: Header=BB4_9504 Depth=3
	s_delay_alu instid0(SALU_CYCLE_1) | instskip(SKIP_3) | instid1(VALU_DEP_1)
	s_or_b32 exec_lo, exec_lo, s17
	v_and_b32_e32 v179, 0xff, v160
	s_mov_b32 s13, 0
	s_mov_b32 s30, exec_lo
                                        ; implicit-def: $sgpr17
	v_cmpx_lt_i16_e64 0x7f, v179
	s_xor_b32 s30, exec_lo, s30
	s_cbranch_execnz .LBB4_10067
; %bb.9787:                             ;   in Loop: Header=BB4_9504 Depth=3
	s_or_saveexec_b32 s30, s30
	v_mov_b32_e32 v178, s17
	s_xor_b32 exec_lo, exec_lo, s30
	s_cbranch_execnz .LBB4_10070
.LBB4_9788:                             ;   in Loop: Header=BB4_9504 Depth=3
	s_or_b32 exec_lo, exec_lo, s30
	s_and_saveexec_b32 s17, s13
	s_cbranch_execz .LBB4_9790
.LBB4_9789:                             ;   in Loop: Header=BB4_9504 Depth=3
	v_lshrrev_b16 v181, 2, v160
	s_delay_alu instid0(VALU_DEP_1) | instskip(NEXT) | instid1(VALU_DEP_1)
	v_and_b32_e32 v181, 31, v181
	v_cmp_eq_u32_e32 vcc_lo, 0, v181
	v_and_b32_e32 v178, 3, v160
	s_delay_alu instid0(VALU_DEP_1) | instskip(NEXT) | instid1(VALU_DEP_1)
	v_clz_i32_u32_e32 v179, v178
	v_min_u32_e32 v179, 32, v179
	s_delay_alu instid0(VALU_DEP_1) | instskip(SKIP_1) | instid1(VALU_DEP_1)
	v_subrev_nc_u32_e32 v180, 29, v179
	v_sub_nc_u32_e32 v179, 30, v179
	v_dual_cndmask_b32 v179, v181, v179 :: v_dual_lshlrev_b32 v180, v180, v160
	v_lshlrev_b32_e32 v160, 24, v160
	s_delay_alu instid0(VALU_DEP_2) | instskip(NEXT) | instid1(VALU_DEP_3)
	v_and_b32_e32 v180, 3, v180
	v_lshl_add_u32 v179, v179, 23, 0x37800000
	s_delay_alu instid0(VALU_DEP_3) | instskip(NEXT) | instid1(VALU_DEP_3)
	v_and_b32_e32 v160, 0x80000000, v160
	v_cndmask_b32_e32 v178, v178, v180, vcc_lo
	s_delay_alu instid0(VALU_DEP_1) | instskip(NEXT) | instid1(VALU_DEP_1)
	v_lshlrev_b32_e32 v178, 21, v178
	v_or3_b32 v178, v160, v179, v178
.LBB4_9790:                             ;   in Loop: Header=BB4_9504 Depth=3
	s_or_b32 exec_lo, exec_lo, s17
	s_waitcnt vmcnt(10) lgkmcnt(10)
	v_and_b32_e32 v179, 0xff, v177
	s_mov_b32 s13, 0
	s_mov_b32 s30, exec_lo
                                        ; implicit-def: $sgpr17
	s_delay_alu instid0(VALU_DEP_1)
	v_cmpx_lt_i16_e64 0x7f, v179
	s_xor_b32 s30, exec_lo, s30
	s_cbranch_execnz .LBB4_10071
; %bb.9791:                             ;   in Loop: Header=BB4_9504 Depth=3
	s_or_saveexec_b32 s30, s30
	v_mov_b32_e32 v160, s17
	s_xor_b32 exec_lo, exec_lo, s30
	s_cbranch_execnz .LBB4_10074
.LBB4_9792:                             ;   in Loop: Header=BB4_9504 Depth=3
	s_or_b32 exec_lo, exec_lo, s30
	s_and_saveexec_b32 s17, s13
	s_cbranch_execz .LBB4_9794
.LBB4_9793:                             ;   in Loop: Header=BB4_9504 Depth=3
	v_lshrrev_b16 v181, 2, v177
	s_delay_alu instid0(VALU_DEP_1) | instskip(NEXT) | instid1(VALU_DEP_1)
	v_and_b32_e32 v181, 31, v181
	v_cmp_eq_u32_e32 vcc_lo, 0, v181
	v_and_b32_e32 v160, 3, v177
	s_delay_alu instid0(VALU_DEP_1) | instskip(NEXT) | instid1(VALU_DEP_1)
	v_clz_i32_u32_e32 v179, v160
	v_min_u32_e32 v179, 32, v179
	s_delay_alu instid0(VALU_DEP_1) | instskip(SKIP_1) | instid1(VALU_DEP_1)
	v_subrev_nc_u32_e32 v180, 29, v179
	v_sub_nc_u32_e32 v179, 30, v179
	v_dual_cndmask_b32 v179, v181, v179 :: v_dual_lshlrev_b32 v180, v180, v177
	v_lshlrev_b32_e32 v177, 24, v177
	s_delay_alu instid0(VALU_DEP_2) | instskip(NEXT) | instid1(VALU_DEP_3)
	v_and_b32_e32 v180, 3, v180
	v_lshl_add_u32 v179, v179, 23, 0x37800000
	s_delay_alu instid0(VALU_DEP_2) | instskip(NEXT) | instid1(VALU_DEP_1)
	v_dual_cndmask_b32 v160, v160, v180 :: v_dual_and_b32 v177, 0x80000000, v177
	v_lshlrev_b32_e32 v160, 21, v160
	s_delay_alu instid0(VALU_DEP_1)
	v_or3_b32 v160, v177, v179, v160
.LBB4_9794:                             ;   in Loop: Header=BB4_9504 Depth=3
	s_or_b32 exec_lo, exec_lo, s17
	s_delay_alu instid0(VALU_DEP_1) | instskip(NEXT) | instid1(VALU_DEP_1)
	v_add_f32_e32 v177, v178, v160
	v_and_b32_e32 v160, 0x7f800000, v177
	s_delay_alu instid0(VALU_DEP_1)
	v_cmp_ne_u32_e32 vcc_lo, 0x7f800000, v160
	v_mov_b32_e32 v160, 0x80
	s_and_saveexec_b32 s17, vcc_lo
	s_cbranch_execz .LBB4_9802
; %bb.9795:                             ;   in Loop: Header=BB4_9504 Depth=3
	v_mov_b32_e32 v160, 0
	s_mov_b32 s30, exec_lo
	v_cmpx_ne_u32_e32 0, v177
	s_cbranch_execz .LBB4_9801
; %bb.9796:                             ;   in Loop: Header=BB4_9504 Depth=3
	v_bfe_u32 v160, v177, 23, 8
	s_delay_alu instid0(VALU_DEP_1) | instskip(SKIP_1) | instid1(VALU_DEP_2)
	v_sub_nc_u32_e32 v179, 0x70, v160
	v_cmp_gt_u32_e32 vcc_lo, 0x71, v160
	v_dual_cndmask_b32 v179, 0, v179 :: v_dual_and_b32 v178, 0x7fffff, v177
	s_delay_alu instid0(VALU_DEP_1) | instskip(SKIP_2) | instid1(VALU_DEP_4)
	v_or_b32_e32 v180, 0x800000, v178
	v_cmp_eq_u32_e32 vcc_lo, 0, v160
	v_add_nc_u32_e32 v160, 0xffffff91, v160
	v_cndmask_b32_e64 v179, v179, 0x6f, vcc_lo
	s_delay_alu instid0(VALU_DEP_2) | instskip(SKIP_1) | instid1(VALU_DEP_3)
	v_cndmask_b32_e64 v160, v160, 0xffffff92, vcc_lo
	v_cndmask_b32_e32 v178, v180, v178, vcc_lo
	v_lshl_add_u32 v180, 0x200000, v179, -1
	v_lshlrev_b32_e64 v183, v179, 0x100000
	s_delay_alu instid0(VALU_DEP_3) | instskip(SKIP_1) | instid1(VALU_DEP_4)
	v_lshrrev_b32_e32 v181, v179, v178
	v_add_nc_u32_e32 v179, v179, v160
	v_and_b32_e32 v178, v180, v178
	s_delay_alu instid0(VALU_DEP_3) | instskip(NEXT) | instid1(VALU_DEP_2)
	v_bfe_u32 v182, v181, 21, 1
	v_cmp_eq_u32_e64 s13, v178, v183
	s_delay_alu instid0(VALU_DEP_2) | instskip(NEXT) | instid1(VALU_DEP_1)
	v_add_nc_u32_e32 v180, -1, v182
	v_cndmask_b32_e64 v178, 0, v180, s13
	v_lshrrev_b32_e32 v180, 23, v181
	s_mov_b32 s13, exec_lo
	s_delay_alu instid0(VALU_DEP_2) | instskip(NEXT) | instid1(VALU_DEP_2)
	v_add_nc_u32_e32 v178, v178, v181
	v_xor_b32_e32 v180, 1, v180
	s_delay_alu instid0(VALU_DEP_2) | instskip(NEXT) | instid1(VALU_DEP_1)
	v_and_b32_e32 v160, 0x1fffff, v178
	v_add_nc_u32_e32 v178, v160, v181
                                        ; implicit-def: $vgpr160
	s_delay_alu instid0(VALU_DEP_3)
	v_cmpx_ne_u32_e64 v179, v180
	s_xor_b32 s13, exec_lo, s13
; %bb.9797:                             ;   in Loop: Header=BB4_9504 Depth=3
	s_delay_alu instid0(VALU_DEP_2) | instskip(SKIP_2) | instid1(VALU_DEP_2)
	v_cmp_lt_u32_e32 vcc_lo, 0xffffff, v178
	v_sub_nc_u32_e32 v160, v179, v180
	v_cndmask_b32_e64 v179, 0, 1, vcc_lo
	v_add_co_ci_u32_e32 v160, vcc_lo, 0, v160, vcc_lo
	s_delay_alu instid0(VALU_DEP_2)
	v_lshrrev_b32_e32 v178, v179, v178
; %bb.9798:                             ;   in Loop: Header=BB4_9504 Depth=3
	s_and_not1_saveexec_b32 s13, s13
; %bb.9799:                             ;   in Loop: Header=BB4_9504 Depth=3
	s_delay_alu instid0(VALU_DEP_1)
	v_bfe_u32 v160, v178, 23, 1
; %bb.9800:                             ;   in Loop: Header=BB4_9504 Depth=3
	s_or_b32 exec_lo, exec_lo, s13
	v_lshrrev_b32_e32 v178, 21, v178
	s_delay_alu instid0(VALU_DEP_2) | instskip(SKIP_2) | instid1(VALU_DEP_2)
	v_cmp_gt_i32_e32 vcc_lo, 32, v160
	v_lshrrev_b32_e32 v177, 24, v177
	v_min_i32_e32 v179, 31, v160
	v_dual_cndmask_b32 v178, 3, v178 :: v_dual_and_b32 v177, 0x80, v177
	s_delay_alu instid0(VALU_DEP_1) | instskip(SKIP_1) | instid1(VALU_DEP_2)
	v_or_b32_e32 v160, v160, v178
	v_and_b32_e32 v180, 3, v178
	v_cmp_ne_u32_e32 vcc_lo, 0, v160
	v_lshlrev_b32_e32 v179, 2, v179
	s_delay_alu instid0(VALU_DEP_1) | instskip(NEXT) | instid1(VALU_DEP_1)
	v_or3_b32 v177, v179, v177, v180
	v_cndmask_b32_e32 v160, 0, v177, vcc_lo
.LBB4_9801:                             ;   in Loop: Header=BB4_9504 Depth=3
	s_or_b32 exec_lo, exec_lo, s30
.LBB4_9802:                             ;   in Loop: Header=BB4_9504 Depth=3
	s_delay_alu instid0(SALU_CYCLE_1) | instskip(SKIP_3) | instid1(VALU_DEP_1)
	s_or_b32 exec_lo, exec_lo, s17
	v_and_b32_e32 v178, 0xff, v151
	s_mov_b32 s13, 0
	s_mov_b32 s30, exec_lo
                                        ; implicit-def: $sgpr17
	v_cmpx_lt_i16_e64 0x7f, v178
	s_xor_b32 s30, exec_lo, s30
	s_cbranch_execnz .LBB4_10075
; %bb.9803:                             ;   in Loop: Header=BB4_9504 Depth=3
	s_or_saveexec_b32 s30, s30
	v_mov_b32_e32 v177, s17
	s_xor_b32 exec_lo, exec_lo, s30
	s_cbranch_execnz .LBB4_10078
.LBB4_9804:                             ;   in Loop: Header=BB4_9504 Depth=3
	s_or_b32 exec_lo, exec_lo, s30
	s_and_saveexec_b32 s17, s13
	s_cbranch_execz .LBB4_9806
.LBB4_9805:                             ;   in Loop: Header=BB4_9504 Depth=3
	v_lshrrev_b16 v180, 2, v151
	s_delay_alu instid0(VALU_DEP_1) | instskip(NEXT) | instid1(VALU_DEP_1)
	v_and_b32_e32 v180, 31, v180
	v_cmp_eq_u32_e32 vcc_lo, 0, v180
	v_and_b32_e32 v177, 3, v151
	s_delay_alu instid0(VALU_DEP_1) | instskip(NEXT) | instid1(VALU_DEP_1)
	v_clz_i32_u32_e32 v178, v177
	v_min_u32_e32 v178, 32, v178
	s_delay_alu instid0(VALU_DEP_1) | instskip(SKIP_1) | instid1(VALU_DEP_1)
	v_subrev_nc_u32_e32 v179, 29, v178
	v_sub_nc_u32_e32 v178, 30, v178
	v_dual_cndmask_b32 v178, v180, v178 :: v_dual_lshlrev_b32 v179, v179, v151
	v_lshlrev_b32_e32 v151, 24, v151
	s_delay_alu instid0(VALU_DEP_2) | instskip(NEXT) | instid1(VALU_DEP_3)
	v_and_b32_e32 v179, 3, v179
	v_lshl_add_u32 v178, v178, 23, 0x37800000
	s_delay_alu instid0(VALU_DEP_3) | instskip(NEXT) | instid1(VALU_DEP_3)
	v_and_b32_e32 v151, 0x80000000, v151
	v_cndmask_b32_e32 v177, v177, v179, vcc_lo
	s_delay_alu instid0(VALU_DEP_1) | instskip(NEXT) | instid1(VALU_DEP_1)
	v_lshlrev_b32_e32 v177, 21, v177
	v_or3_b32 v177, v151, v178, v177
.LBB4_9806:                             ;   in Loop: Header=BB4_9504 Depth=3
	s_or_b32 exec_lo, exec_lo, s17
	s_waitcnt vmcnt(9) lgkmcnt(9)
	v_and_b32_e32 v178, 0xff, v176
	s_mov_b32 s13, 0
	s_mov_b32 s30, exec_lo
                                        ; implicit-def: $sgpr17
	s_delay_alu instid0(VALU_DEP_1)
	v_cmpx_lt_i16_e64 0x7f, v178
	s_xor_b32 s30, exec_lo, s30
	s_cbranch_execnz .LBB4_10079
; %bb.9807:                             ;   in Loop: Header=BB4_9504 Depth=3
	s_or_saveexec_b32 s30, s30
	v_mov_b32_e32 v151, s17
	s_xor_b32 exec_lo, exec_lo, s30
	s_cbranch_execnz .LBB4_10082
.LBB4_9808:                             ;   in Loop: Header=BB4_9504 Depth=3
	s_or_b32 exec_lo, exec_lo, s30
	s_and_saveexec_b32 s17, s13
	s_cbranch_execz .LBB4_9810
.LBB4_9809:                             ;   in Loop: Header=BB4_9504 Depth=3
	v_lshrrev_b16 v180, 2, v176
	s_delay_alu instid0(VALU_DEP_1) | instskip(NEXT) | instid1(VALU_DEP_1)
	v_and_b32_e32 v180, 31, v180
	v_cmp_eq_u32_e32 vcc_lo, 0, v180
	v_and_b32_e32 v151, 3, v176
	s_delay_alu instid0(VALU_DEP_1) | instskip(NEXT) | instid1(VALU_DEP_1)
	v_clz_i32_u32_e32 v178, v151
	v_min_u32_e32 v178, 32, v178
	s_delay_alu instid0(VALU_DEP_1) | instskip(SKIP_1) | instid1(VALU_DEP_1)
	v_subrev_nc_u32_e32 v179, 29, v178
	v_sub_nc_u32_e32 v178, 30, v178
	v_dual_cndmask_b32 v178, v180, v178 :: v_dual_lshlrev_b32 v179, v179, v176
	v_lshlrev_b32_e32 v176, 24, v176
	s_delay_alu instid0(VALU_DEP_2) | instskip(NEXT) | instid1(VALU_DEP_3)
	v_and_b32_e32 v179, 3, v179
	v_lshl_add_u32 v178, v178, 23, 0x37800000
	s_delay_alu instid0(VALU_DEP_2) | instskip(NEXT) | instid1(VALU_DEP_1)
	v_dual_cndmask_b32 v151, v151, v179 :: v_dual_and_b32 v176, 0x80000000, v176
	v_lshlrev_b32_e32 v151, 21, v151
	s_delay_alu instid0(VALU_DEP_1)
	v_or3_b32 v151, v176, v178, v151
.LBB4_9810:                             ;   in Loop: Header=BB4_9504 Depth=3
	s_or_b32 exec_lo, exec_lo, s17
	s_delay_alu instid0(VALU_DEP_1) | instskip(NEXT) | instid1(VALU_DEP_1)
	v_add_f32_e32 v176, v177, v151
	v_and_b32_e32 v151, 0x7f800000, v176
	s_delay_alu instid0(VALU_DEP_1)
	v_cmp_ne_u32_e32 vcc_lo, 0x7f800000, v151
	v_mov_b32_e32 v151, 0x80
	s_and_saveexec_b32 s17, vcc_lo
	s_cbranch_execz .LBB4_9818
; %bb.9811:                             ;   in Loop: Header=BB4_9504 Depth=3
	v_mov_b32_e32 v151, 0
	s_mov_b32 s30, exec_lo
	v_cmpx_ne_u32_e32 0, v176
	s_cbranch_execz .LBB4_9817
; %bb.9812:                             ;   in Loop: Header=BB4_9504 Depth=3
	v_bfe_u32 v151, v176, 23, 8
	s_delay_alu instid0(VALU_DEP_1) | instskip(SKIP_1) | instid1(VALU_DEP_2)
	v_sub_nc_u32_e32 v178, 0x70, v151
	v_cmp_gt_u32_e32 vcc_lo, 0x71, v151
	v_dual_cndmask_b32 v178, 0, v178 :: v_dual_and_b32 v177, 0x7fffff, v176
	s_delay_alu instid0(VALU_DEP_1) | instskip(SKIP_2) | instid1(VALU_DEP_4)
	v_or_b32_e32 v179, 0x800000, v177
	v_cmp_eq_u32_e32 vcc_lo, 0, v151
	v_add_nc_u32_e32 v151, 0xffffff91, v151
	v_cndmask_b32_e64 v178, v178, 0x6f, vcc_lo
	s_delay_alu instid0(VALU_DEP_2) | instskip(SKIP_1) | instid1(VALU_DEP_3)
	v_cndmask_b32_e64 v151, v151, 0xffffff92, vcc_lo
	v_cndmask_b32_e32 v177, v179, v177, vcc_lo
	v_lshl_add_u32 v179, 0x200000, v178, -1
	v_lshlrev_b32_e64 v182, v178, 0x100000
	s_delay_alu instid0(VALU_DEP_3) | instskip(SKIP_1) | instid1(VALU_DEP_4)
	v_lshrrev_b32_e32 v180, v178, v177
	v_add_nc_u32_e32 v178, v178, v151
	v_and_b32_e32 v177, v179, v177
	s_delay_alu instid0(VALU_DEP_3) | instskip(NEXT) | instid1(VALU_DEP_2)
	v_bfe_u32 v181, v180, 21, 1
	v_cmp_eq_u32_e64 s13, v177, v182
	s_delay_alu instid0(VALU_DEP_2) | instskip(NEXT) | instid1(VALU_DEP_1)
	v_add_nc_u32_e32 v179, -1, v181
	v_cndmask_b32_e64 v177, 0, v179, s13
	v_lshrrev_b32_e32 v179, 23, v180
	s_mov_b32 s13, exec_lo
	s_delay_alu instid0(VALU_DEP_2) | instskip(NEXT) | instid1(VALU_DEP_2)
	v_add_nc_u32_e32 v177, v177, v180
	v_xor_b32_e32 v179, 1, v179
	s_delay_alu instid0(VALU_DEP_2) | instskip(NEXT) | instid1(VALU_DEP_1)
	v_and_b32_e32 v151, 0x1fffff, v177
	v_add_nc_u32_e32 v177, v151, v180
                                        ; implicit-def: $vgpr151
	s_delay_alu instid0(VALU_DEP_3)
	v_cmpx_ne_u32_e64 v178, v179
	s_xor_b32 s13, exec_lo, s13
; %bb.9813:                             ;   in Loop: Header=BB4_9504 Depth=3
	s_delay_alu instid0(VALU_DEP_2) | instskip(SKIP_2) | instid1(VALU_DEP_2)
	v_cmp_lt_u32_e32 vcc_lo, 0xffffff, v177
	v_sub_nc_u32_e32 v151, v178, v179
	v_cndmask_b32_e64 v178, 0, 1, vcc_lo
	v_add_co_ci_u32_e32 v151, vcc_lo, 0, v151, vcc_lo
	s_delay_alu instid0(VALU_DEP_2)
	v_lshrrev_b32_e32 v177, v178, v177
; %bb.9814:                             ;   in Loop: Header=BB4_9504 Depth=3
	s_and_not1_saveexec_b32 s13, s13
; %bb.9815:                             ;   in Loop: Header=BB4_9504 Depth=3
	s_delay_alu instid0(VALU_DEP_1)
	v_bfe_u32 v151, v177, 23, 1
; %bb.9816:                             ;   in Loop: Header=BB4_9504 Depth=3
	s_or_b32 exec_lo, exec_lo, s13
	v_lshrrev_b32_e32 v177, 21, v177
	s_delay_alu instid0(VALU_DEP_2) | instskip(SKIP_2) | instid1(VALU_DEP_2)
	v_cmp_gt_i32_e32 vcc_lo, 32, v151
	v_lshrrev_b32_e32 v176, 24, v176
	v_min_i32_e32 v178, 31, v151
	v_dual_cndmask_b32 v177, 3, v177 :: v_dual_and_b32 v176, 0x80, v176
	s_delay_alu instid0(VALU_DEP_1) | instskip(SKIP_1) | instid1(VALU_DEP_2)
	v_or_b32_e32 v151, v151, v177
	v_and_b32_e32 v179, 3, v177
	v_cmp_ne_u32_e32 vcc_lo, 0, v151
	v_lshlrev_b32_e32 v178, 2, v178
	s_delay_alu instid0(VALU_DEP_1) | instskip(NEXT) | instid1(VALU_DEP_1)
	v_or3_b32 v176, v178, v176, v179
	v_cndmask_b32_e32 v151, 0, v176, vcc_lo
.LBB4_9817:                             ;   in Loop: Header=BB4_9504 Depth=3
	s_or_b32 exec_lo, exec_lo, s30
.LBB4_9818:                             ;   in Loop: Header=BB4_9504 Depth=3
	s_delay_alu instid0(SALU_CYCLE_1) | instskip(SKIP_3) | instid1(VALU_DEP_1)
	s_or_b32 exec_lo, exec_lo, s17
	v_and_b32_e32 v177, 0xff, v149
	s_mov_b32 s13, 0
	s_mov_b32 s30, exec_lo
                                        ; implicit-def: $sgpr17
	v_cmpx_lt_i16_e64 0x7f, v177
	s_xor_b32 s30, exec_lo, s30
	s_cbranch_execnz .LBB4_10083
; %bb.9819:                             ;   in Loop: Header=BB4_9504 Depth=3
	s_or_saveexec_b32 s30, s30
	v_mov_b32_e32 v176, s17
	s_xor_b32 exec_lo, exec_lo, s30
	s_cbranch_execnz .LBB4_10086
.LBB4_9820:                             ;   in Loop: Header=BB4_9504 Depth=3
	s_or_b32 exec_lo, exec_lo, s30
	s_and_saveexec_b32 s17, s13
	s_cbranch_execz .LBB4_9822
.LBB4_9821:                             ;   in Loop: Header=BB4_9504 Depth=3
	v_and_b32_e32 v176, 3, v149
	v_lshrrev_b16 v179, 2, v149
	s_delay_alu instid0(VALU_DEP_2) | instskip(NEXT) | instid1(VALU_DEP_1)
	v_clz_i32_u32_e32 v177, v176
	v_min_u32_e32 v177, 32, v177
	s_delay_alu instid0(VALU_DEP_1) | instskip(SKIP_1) | instid1(VALU_DEP_2)
	v_subrev_nc_u32_e32 v178, 29, v177
	v_sub_nc_u32_e32 v177, 30, v177
	v_lshlrev_b32_e32 v178, v178, v149
	v_lshlrev_b32_e32 v149, 24, v149
	s_delay_alu instid0(VALU_DEP_2) | instskip(SKIP_1) | instid1(VALU_DEP_3)
	v_and_b32_e32 v178, 3, v178
	v_and_b32_e32 v179, 31, v179
	;; [unrolled: 1-line block ×3, first 2 shown]
	s_delay_alu instid0(VALU_DEP_2) | instskip(NEXT) | instid1(VALU_DEP_4)
	v_cmp_eq_u32_e32 vcc_lo, 0, v179
	v_dual_cndmask_b32 v176, v176, v178 :: v_dual_cndmask_b32 v177, v179, v177
	s_delay_alu instid0(VALU_DEP_1) | instskip(NEXT) | instid1(VALU_DEP_2)
	v_lshlrev_b32_e32 v176, 21, v176
	v_lshl_add_u32 v177, v177, 23, 0x37800000
	s_delay_alu instid0(VALU_DEP_1)
	v_or3_b32 v176, v149, v177, v176
.LBB4_9822:                             ;   in Loop: Header=BB4_9504 Depth=3
	s_or_b32 exec_lo, exec_lo, s17
	s_waitcnt vmcnt(8) lgkmcnt(8)
	v_and_b32_e32 v177, 0xff, v167
	s_mov_b32 s13, 0
	s_mov_b32 s30, exec_lo
                                        ; implicit-def: $sgpr17
	s_delay_alu instid0(VALU_DEP_1)
	v_cmpx_lt_i16_e64 0x7f, v177
	s_xor_b32 s30, exec_lo, s30
	s_cbranch_execnz .LBB4_10087
; %bb.9823:                             ;   in Loop: Header=BB4_9504 Depth=3
	s_or_saveexec_b32 s30, s30
	v_mov_b32_e32 v149, s17
	s_xor_b32 exec_lo, exec_lo, s30
	s_cbranch_execnz .LBB4_10090
.LBB4_9824:                             ;   in Loop: Header=BB4_9504 Depth=3
	s_or_b32 exec_lo, exec_lo, s30
	s_and_saveexec_b32 s17, s13
	s_cbranch_execz .LBB4_9826
.LBB4_9825:                             ;   in Loop: Header=BB4_9504 Depth=3
	v_and_b32_e32 v149, 3, v167
	v_lshrrev_b16 v179, 2, v167
	s_delay_alu instid0(VALU_DEP_2) | instskip(NEXT) | instid1(VALU_DEP_2)
	v_clz_i32_u32_e32 v177, v149
	v_and_b32_e32 v179, 31, v179
	s_delay_alu instid0(VALU_DEP_2) | instskip(NEXT) | instid1(VALU_DEP_2)
	v_min_u32_e32 v177, 32, v177
	v_cmp_eq_u32_e32 vcc_lo, 0, v179
	s_delay_alu instid0(VALU_DEP_2) | instskip(SKIP_1) | instid1(VALU_DEP_1)
	v_subrev_nc_u32_e32 v178, 29, v177
	v_sub_nc_u32_e32 v177, 30, v177
	v_dual_cndmask_b32 v177, v179, v177 :: v_dual_lshlrev_b32 v178, v178, v167
	v_lshlrev_b32_e32 v167, 24, v167
	s_delay_alu instid0(VALU_DEP_2) | instskip(NEXT) | instid1(VALU_DEP_3)
	v_and_b32_e32 v178, 3, v178
	v_lshl_add_u32 v177, v177, 23, 0x37800000
	s_delay_alu instid0(VALU_DEP_3) | instskip(NEXT) | instid1(VALU_DEP_3)
	v_and_b32_e32 v167, 0x80000000, v167
	v_cndmask_b32_e32 v149, v149, v178, vcc_lo
	s_delay_alu instid0(VALU_DEP_1) | instskip(NEXT) | instid1(VALU_DEP_1)
	v_lshlrev_b32_e32 v149, 21, v149
	v_or3_b32 v149, v167, v177, v149
.LBB4_9826:                             ;   in Loop: Header=BB4_9504 Depth=3
	s_or_b32 exec_lo, exec_lo, s17
	s_delay_alu instid0(VALU_DEP_1) | instskip(NEXT) | instid1(VALU_DEP_1)
	v_add_f32_e32 v167, v176, v149
	v_and_b32_e32 v149, 0x7f800000, v167
	s_delay_alu instid0(VALU_DEP_1)
	v_cmp_ne_u32_e32 vcc_lo, 0x7f800000, v149
	v_mov_b32_e32 v149, 0x80
	s_and_saveexec_b32 s17, vcc_lo
	s_cbranch_execz .LBB4_9834
; %bb.9827:                             ;   in Loop: Header=BB4_9504 Depth=3
	v_mov_b32_e32 v149, 0
	s_mov_b32 s30, exec_lo
	v_cmpx_ne_u32_e32 0, v167
	s_cbranch_execz .LBB4_9833
; %bb.9828:                             ;   in Loop: Header=BB4_9504 Depth=3
	v_bfe_u32 v149, v167, 23, 8
	s_delay_alu instid0(VALU_DEP_1) | instskip(SKIP_1) | instid1(VALU_DEP_2)
	v_sub_nc_u32_e32 v177, 0x70, v149
	v_cmp_gt_u32_e32 vcc_lo, 0x71, v149
	v_dual_cndmask_b32 v177, 0, v177 :: v_dual_and_b32 v176, 0x7fffff, v167
	s_delay_alu instid0(VALU_DEP_1) | instskip(SKIP_2) | instid1(VALU_DEP_4)
	v_or_b32_e32 v178, 0x800000, v176
	v_cmp_eq_u32_e32 vcc_lo, 0, v149
	v_add_nc_u32_e32 v149, 0xffffff91, v149
	v_cndmask_b32_e64 v177, v177, 0x6f, vcc_lo
	s_delay_alu instid0(VALU_DEP_4) | instskip(NEXT) | instid1(VALU_DEP_3)
	v_cndmask_b32_e32 v176, v178, v176, vcc_lo
	v_cndmask_b32_e64 v149, v149, 0xffffff92, vcc_lo
	s_delay_alu instid0(VALU_DEP_3) | instskip(NEXT) | instid1(VALU_DEP_3)
	v_lshl_add_u32 v178, 0x200000, v177, -1
	v_lshrrev_b32_e32 v179, v177, v176
	v_lshlrev_b32_e64 v181, v177, 0x100000
	s_delay_alu instid0(VALU_DEP_4) | instskip(NEXT) | instid1(VALU_DEP_4)
	v_add_nc_u32_e32 v177, v177, v149
	v_and_b32_e32 v176, v178, v176
	s_delay_alu instid0(VALU_DEP_4) | instskip(NEXT) | instid1(VALU_DEP_2)
	v_bfe_u32 v180, v179, 21, 1
	v_cmp_eq_u32_e64 s13, v176, v181
	s_delay_alu instid0(VALU_DEP_2) | instskip(NEXT) | instid1(VALU_DEP_1)
	v_add_nc_u32_e32 v178, -1, v180
	v_cndmask_b32_e64 v176, 0, v178, s13
	v_lshrrev_b32_e32 v178, 23, v179
	s_mov_b32 s13, exec_lo
	s_delay_alu instid0(VALU_DEP_2) | instskip(NEXT) | instid1(VALU_DEP_2)
	v_add_nc_u32_e32 v176, v176, v179
	v_xor_b32_e32 v178, 1, v178
	s_delay_alu instid0(VALU_DEP_2) | instskip(NEXT) | instid1(VALU_DEP_1)
	v_and_b32_e32 v149, 0x1fffff, v176
	v_add_nc_u32_e32 v176, v149, v179
                                        ; implicit-def: $vgpr149
	s_delay_alu instid0(VALU_DEP_3)
	v_cmpx_ne_u32_e64 v177, v178
	s_xor_b32 s13, exec_lo, s13
; %bb.9829:                             ;   in Loop: Header=BB4_9504 Depth=3
	s_delay_alu instid0(VALU_DEP_2) | instskip(SKIP_2) | instid1(VALU_DEP_2)
	v_cmp_lt_u32_e32 vcc_lo, 0xffffff, v176
	v_sub_nc_u32_e32 v149, v177, v178
	v_cndmask_b32_e64 v177, 0, 1, vcc_lo
	v_add_co_ci_u32_e32 v149, vcc_lo, 0, v149, vcc_lo
	s_delay_alu instid0(VALU_DEP_2)
	v_lshrrev_b32_e32 v176, v177, v176
; %bb.9830:                             ;   in Loop: Header=BB4_9504 Depth=3
	s_and_not1_saveexec_b32 s13, s13
; %bb.9831:                             ;   in Loop: Header=BB4_9504 Depth=3
	s_delay_alu instid0(VALU_DEP_1)
	v_bfe_u32 v149, v176, 23, 1
; %bb.9832:                             ;   in Loop: Header=BB4_9504 Depth=3
	s_or_b32 exec_lo, exec_lo, s13
	v_lshrrev_b32_e32 v176, 21, v176
	s_delay_alu instid0(VALU_DEP_2) | instskip(SKIP_2) | instid1(VALU_DEP_2)
	v_cmp_gt_i32_e32 vcc_lo, 32, v149
	v_lshrrev_b32_e32 v167, 24, v167
	v_min_i32_e32 v177, 31, v149
	v_dual_cndmask_b32 v176, 3, v176 :: v_dual_and_b32 v167, 0x80, v167
	s_delay_alu instid0(VALU_DEP_2) | instskip(NEXT) | instid1(VALU_DEP_2)
	v_lshlrev_b32_e32 v177, 2, v177
	v_or_b32_e32 v149, v149, v176
	s_delay_alu instid0(VALU_DEP_1) | instskip(SKIP_1) | instid1(VALU_DEP_1)
	v_cmp_ne_u32_e32 vcc_lo, 0, v149
	v_and_b32_e32 v178, 3, v176
	v_or3_b32 v167, v177, v167, v178
	s_delay_alu instid0(VALU_DEP_1)
	v_cndmask_b32_e32 v149, 0, v167, vcc_lo
.LBB4_9833:                             ;   in Loop: Header=BB4_9504 Depth=3
	s_or_b32 exec_lo, exec_lo, s30
.LBB4_9834:                             ;   in Loop: Header=BB4_9504 Depth=3
	s_delay_alu instid0(SALU_CYCLE_1) | instskip(SKIP_3) | instid1(VALU_DEP_1)
	s_or_b32 exec_lo, exec_lo, s17
	v_and_b32_e32 v176, 0xff, v147
	s_mov_b32 s13, 0
	s_mov_b32 s30, exec_lo
                                        ; implicit-def: $sgpr17
	v_cmpx_lt_i16_e64 0x7f, v176
	s_xor_b32 s30, exec_lo, s30
	s_cbranch_execnz .LBB4_10091
; %bb.9835:                             ;   in Loop: Header=BB4_9504 Depth=3
	s_or_saveexec_b32 s30, s30
	v_mov_b32_e32 v167, s17
	s_xor_b32 exec_lo, exec_lo, s30
	s_cbranch_execnz .LBB4_10094
.LBB4_9836:                             ;   in Loop: Header=BB4_9504 Depth=3
	s_or_b32 exec_lo, exec_lo, s30
	s_and_saveexec_b32 s17, s13
	s_cbranch_execz .LBB4_9838
.LBB4_9837:                             ;   in Loop: Header=BB4_9504 Depth=3
	v_lshrrev_b16 v178, 2, v147
	s_delay_alu instid0(VALU_DEP_1) | instskip(NEXT) | instid1(VALU_DEP_1)
	v_and_b32_e32 v178, 31, v178
	v_cmp_eq_u32_e32 vcc_lo, 0, v178
	v_and_b32_e32 v167, 3, v147
	s_delay_alu instid0(VALU_DEP_1) | instskip(NEXT) | instid1(VALU_DEP_1)
	v_clz_i32_u32_e32 v176, v167
	v_min_u32_e32 v176, 32, v176
	s_delay_alu instid0(VALU_DEP_1) | instskip(SKIP_1) | instid1(VALU_DEP_1)
	v_subrev_nc_u32_e32 v177, 29, v176
	v_sub_nc_u32_e32 v176, 30, v176
	v_dual_cndmask_b32 v176, v178, v176 :: v_dual_lshlrev_b32 v177, v177, v147
	v_lshlrev_b32_e32 v147, 24, v147
	s_delay_alu instid0(VALU_DEP_2) | instskip(NEXT) | instid1(VALU_DEP_3)
	v_and_b32_e32 v177, 3, v177
	v_lshl_add_u32 v176, v176, 23, 0x37800000
	s_delay_alu instid0(VALU_DEP_3) | instskip(NEXT) | instid1(VALU_DEP_3)
	v_and_b32_e32 v147, 0x80000000, v147
	v_cndmask_b32_e32 v167, v167, v177, vcc_lo
	s_delay_alu instid0(VALU_DEP_1) | instskip(NEXT) | instid1(VALU_DEP_1)
	v_lshlrev_b32_e32 v167, 21, v167
	v_or3_b32 v167, v147, v176, v167
.LBB4_9838:                             ;   in Loop: Header=BB4_9504 Depth=3
	s_or_b32 exec_lo, exec_lo, s17
	s_waitcnt vmcnt(7) lgkmcnt(7)
	v_and_b32_e32 v176, 0xff, v166
	s_mov_b32 s13, 0
	s_mov_b32 s30, exec_lo
                                        ; implicit-def: $sgpr17
	s_delay_alu instid0(VALU_DEP_1)
	v_cmpx_lt_i16_e64 0x7f, v176
	s_xor_b32 s30, exec_lo, s30
	s_cbranch_execnz .LBB4_10095
; %bb.9839:                             ;   in Loop: Header=BB4_9504 Depth=3
	s_or_saveexec_b32 s30, s30
	v_mov_b32_e32 v147, s17
	s_xor_b32 exec_lo, exec_lo, s30
	s_cbranch_execnz .LBB4_10098
.LBB4_9840:                             ;   in Loop: Header=BB4_9504 Depth=3
	s_or_b32 exec_lo, exec_lo, s30
	s_and_saveexec_b32 s17, s13
	s_cbranch_execz .LBB4_9842
.LBB4_9841:                             ;   in Loop: Header=BB4_9504 Depth=3
	v_lshrrev_b16 v178, 2, v166
	s_delay_alu instid0(VALU_DEP_1) | instskip(NEXT) | instid1(VALU_DEP_1)
	v_and_b32_e32 v178, 31, v178
	v_cmp_eq_u32_e32 vcc_lo, 0, v178
	v_and_b32_e32 v147, 3, v166
	s_delay_alu instid0(VALU_DEP_1) | instskip(NEXT) | instid1(VALU_DEP_1)
	v_clz_i32_u32_e32 v176, v147
	v_min_u32_e32 v176, 32, v176
	s_delay_alu instid0(VALU_DEP_1) | instskip(SKIP_1) | instid1(VALU_DEP_1)
	v_subrev_nc_u32_e32 v177, 29, v176
	v_sub_nc_u32_e32 v176, 30, v176
	v_dual_cndmask_b32 v176, v178, v176 :: v_dual_lshlrev_b32 v177, v177, v166
	v_lshlrev_b32_e32 v166, 24, v166
	s_delay_alu instid0(VALU_DEP_2) | instskip(NEXT) | instid1(VALU_DEP_3)
	v_and_b32_e32 v177, 3, v177
	v_lshl_add_u32 v176, v176, 23, 0x37800000
	s_delay_alu instid0(VALU_DEP_2) | instskip(NEXT) | instid1(VALU_DEP_1)
	v_dual_cndmask_b32 v147, v147, v177 :: v_dual_and_b32 v166, 0x80000000, v166
	v_lshlrev_b32_e32 v147, 21, v147
	s_delay_alu instid0(VALU_DEP_1)
	v_or3_b32 v147, v166, v176, v147
.LBB4_9842:                             ;   in Loop: Header=BB4_9504 Depth=3
	s_or_b32 exec_lo, exec_lo, s17
	s_delay_alu instid0(VALU_DEP_1) | instskip(NEXT) | instid1(VALU_DEP_1)
	v_add_f32_e32 v166, v167, v147
	v_and_b32_e32 v147, 0x7f800000, v166
	s_delay_alu instid0(VALU_DEP_1)
	v_cmp_ne_u32_e32 vcc_lo, 0x7f800000, v147
	v_mov_b32_e32 v147, 0x80
	s_and_saveexec_b32 s17, vcc_lo
	s_cbranch_execz .LBB4_9850
; %bb.9843:                             ;   in Loop: Header=BB4_9504 Depth=3
	v_mov_b32_e32 v147, 0
	s_mov_b32 s30, exec_lo
	v_cmpx_ne_u32_e32 0, v166
	s_cbranch_execz .LBB4_9849
; %bb.9844:                             ;   in Loop: Header=BB4_9504 Depth=3
	v_bfe_u32 v147, v166, 23, 8
	s_delay_alu instid0(VALU_DEP_1) | instskip(SKIP_1) | instid1(VALU_DEP_2)
	v_sub_nc_u32_e32 v176, 0x70, v147
	v_cmp_gt_u32_e32 vcc_lo, 0x71, v147
	v_dual_cndmask_b32 v176, 0, v176 :: v_dual_and_b32 v167, 0x7fffff, v166
	s_delay_alu instid0(VALU_DEP_1) | instskip(SKIP_2) | instid1(VALU_DEP_4)
	v_or_b32_e32 v177, 0x800000, v167
	v_cmp_eq_u32_e32 vcc_lo, 0, v147
	v_add_nc_u32_e32 v147, 0xffffff91, v147
	v_cndmask_b32_e64 v176, v176, 0x6f, vcc_lo
	s_delay_alu instid0(VALU_DEP_4) | instskip(NEXT) | instid1(VALU_DEP_3)
	v_cndmask_b32_e32 v167, v177, v167, vcc_lo
	v_cndmask_b32_e64 v147, v147, 0xffffff92, vcc_lo
	s_delay_alu instid0(VALU_DEP_3) | instskip(NEXT) | instid1(VALU_DEP_3)
	v_lshl_add_u32 v177, 0x200000, v176, -1
	v_lshrrev_b32_e32 v178, v176, v167
	v_lshlrev_b32_e64 v180, v176, 0x100000
	s_delay_alu instid0(VALU_DEP_4) | instskip(NEXT) | instid1(VALU_DEP_4)
	v_add_nc_u32_e32 v176, v176, v147
	v_and_b32_e32 v167, v177, v167
	s_delay_alu instid0(VALU_DEP_4) | instskip(NEXT) | instid1(VALU_DEP_2)
	v_bfe_u32 v179, v178, 21, 1
	v_cmp_eq_u32_e64 s13, v167, v180
	s_delay_alu instid0(VALU_DEP_2) | instskip(NEXT) | instid1(VALU_DEP_1)
	v_add_nc_u32_e32 v177, -1, v179
	v_cndmask_b32_e64 v167, 0, v177, s13
	v_lshrrev_b32_e32 v177, 23, v178
	s_mov_b32 s13, exec_lo
	s_delay_alu instid0(VALU_DEP_2) | instskip(NEXT) | instid1(VALU_DEP_2)
	v_add_nc_u32_e32 v167, v167, v178
	v_xor_b32_e32 v177, 1, v177
	s_delay_alu instid0(VALU_DEP_2) | instskip(NEXT) | instid1(VALU_DEP_1)
	v_and_b32_e32 v147, 0x1fffff, v167
	v_add_nc_u32_e32 v167, v147, v178
                                        ; implicit-def: $vgpr147
	s_delay_alu instid0(VALU_DEP_3)
	v_cmpx_ne_u32_e64 v176, v177
	s_xor_b32 s13, exec_lo, s13
; %bb.9845:                             ;   in Loop: Header=BB4_9504 Depth=3
	s_delay_alu instid0(VALU_DEP_2) | instskip(SKIP_2) | instid1(VALU_DEP_2)
	v_cmp_lt_u32_e32 vcc_lo, 0xffffff, v167
	v_sub_nc_u32_e32 v147, v176, v177
	v_cndmask_b32_e64 v176, 0, 1, vcc_lo
	v_add_co_ci_u32_e32 v147, vcc_lo, 0, v147, vcc_lo
	s_delay_alu instid0(VALU_DEP_2)
	v_lshrrev_b32_e32 v167, v176, v167
; %bb.9846:                             ;   in Loop: Header=BB4_9504 Depth=3
	s_and_not1_saveexec_b32 s13, s13
; %bb.9847:                             ;   in Loop: Header=BB4_9504 Depth=3
	s_delay_alu instid0(VALU_DEP_1)
	v_bfe_u32 v147, v167, 23, 1
; %bb.9848:                             ;   in Loop: Header=BB4_9504 Depth=3
	s_or_b32 exec_lo, exec_lo, s13
	v_lshrrev_b32_e32 v167, 21, v167
	s_delay_alu instid0(VALU_DEP_2) | instskip(SKIP_2) | instid1(VALU_DEP_2)
	v_cmp_gt_i32_e32 vcc_lo, 32, v147
	v_lshrrev_b32_e32 v166, 24, v166
	v_min_i32_e32 v176, 31, v147
	v_dual_cndmask_b32 v167, 3, v167 :: v_dual_and_b32 v166, 0x80, v166
	s_delay_alu instid0(VALU_DEP_1) | instskip(SKIP_1) | instid1(VALU_DEP_2)
	v_or_b32_e32 v147, v147, v167
	v_and_b32_e32 v177, 3, v167
	v_cmp_ne_u32_e32 vcc_lo, 0, v147
	v_lshlrev_b32_e32 v176, 2, v176
	s_delay_alu instid0(VALU_DEP_1) | instskip(NEXT) | instid1(VALU_DEP_1)
	v_or3_b32 v166, v176, v166, v177
	v_cndmask_b32_e32 v147, 0, v166, vcc_lo
.LBB4_9849:                             ;   in Loop: Header=BB4_9504 Depth=3
	s_or_b32 exec_lo, exec_lo, s30
.LBB4_9850:                             ;   in Loop: Header=BB4_9504 Depth=3
	s_delay_alu instid0(SALU_CYCLE_1) | instskip(SKIP_3) | instid1(VALU_DEP_1)
	s_or_b32 exec_lo, exec_lo, s17
	v_and_b32_e32 v167, 0xff, v146
	s_mov_b32 s13, 0
	s_mov_b32 s30, exec_lo
                                        ; implicit-def: $sgpr17
	v_cmpx_lt_i16_e64 0x7f, v167
	s_xor_b32 s30, exec_lo, s30
	s_cbranch_execnz .LBB4_10099
; %bb.9851:                             ;   in Loop: Header=BB4_9504 Depth=3
	s_or_saveexec_b32 s30, s30
	v_mov_b32_e32 v166, s17
	s_xor_b32 exec_lo, exec_lo, s30
	s_cbranch_execnz .LBB4_10102
.LBB4_9852:                             ;   in Loop: Header=BB4_9504 Depth=3
	s_or_b32 exec_lo, exec_lo, s30
	s_and_saveexec_b32 s17, s13
	s_cbranch_execz .LBB4_9854
.LBB4_9853:                             ;   in Loop: Header=BB4_9504 Depth=3
	v_lshrrev_b16 v177, 2, v146
	s_delay_alu instid0(VALU_DEP_1) | instskip(NEXT) | instid1(VALU_DEP_1)
	v_and_b32_e32 v177, 31, v177
	v_cmp_eq_u32_e32 vcc_lo, 0, v177
	v_and_b32_e32 v166, 3, v146
	s_delay_alu instid0(VALU_DEP_1) | instskip(NEXT) | instid1(VALU_DEP_1)
	v_clz_i32_u32_e32 v167, v166
	v_min_u32_e32 v167, 32, v167
	s_delay_alu instid0(VALU_DEP_1) | instskip(SKIP_1) | instid1(VALU_DEP_1)
	v_subrev_nc_u32_e32 v176, 29, v167
	v_sub_nc_u32_e32 v167, 30, v167
	v_dual_cndmask_b32 v167, v177, v167 :: v_dual_lshlrev_b32 v176, v176, v146
	v_lshlrev_b32_e32 v146, 24, v146
	s_delay_alu instid0(VALU_DEP_2) | instskip(NEXT) | instid1(VALU_DEP_3)
	v_and_b32_e32 v176, 3, v176
	v_lshl_add_u32 v167, v167, 23, 0x37800000
	s_delay_alu instid0(VALU_DEP_3) | instskip(NEXT) | instid1(VALU_DEP_3)
	v_and_b32_e32 v146, 0x80000000, v146
	v_cndmask_b32_e32 v166, v166, v176, vcc_lo
	s_delay_alu instid0(VALU_DEP_1) | instskip(NEXT) | instid1(VALU_DEP_1)
	v_lshlrev_b32_e32 v166, 21, v166
	v_or3_b32 v166, v146, v167, v166
.LBB4_9854:                             ;   in Loop: Header=BB4_9504 Depth=3
	s_or_b32 exec_lo, exec_lo, s17
	s_waitcnt vmcnt(6) lgkmcnt(6)
	v_and_b32_e32 v167, 0xff, v165
	s_mov_b32 s13, 0
	s_mov_b32 s30, exec_lo
                                        ; implicit-def: $sgpr17
	s_delay_alu instid0(VALU_DEP_1)
	v_cmpx_lt_i16_e64 0x7f, v167
	s_xor_b32 s30, exec_lo, s30
	s_cbranch_execnz .LBB4_10103
; %bb.9855:                             ;   in Loop: Header=BB4_9504 Depth=3
	s_or_saveexec_b32 s30, s30
	v_mov_b32_e32 v146, s17
	s_xor_b32 exec_lo, exec_lo, s30
	s_cbranch_execnz .LBB4_10106
.LBB4_9856:                             ;   in Loop: Header=BB4_9504 Depth=3
	s_or_b32 exec_lo, exec_lo, s30
	s_and_saveexec_b32 s17, s13
	s_cbranch_execz .LBB4_9858
.LBB4_9857:                             ;   in Loop: Header=BB4_9504 Depth=3
	v_lshrrev_b16 v177, 2, v165
	s_delay_alu instid0(VALU_DEP_1) | instskip(NEXT) | instid1(VALU_DEP_1)
	v_and_b32_e32 v177, 31, v177
	v_cmp_eq_u32_e32 vcc_lo, 0, v177
	v_and_b32_e32 v146, 3, v165
	s_delay_alu instid0(VALU_DEP_1) | instskip(NEXT) | instid1(VALU_DEP_1)
	v_clz_i32_u32_e32 v167, v146
	v_min_u32_e32 v167, 32, v167
	s_delay_alu instid0(VALU_DEP_1) | instskip(SKIP_1) | instid1(VALU_DEP_1)
	v_subrev_nc_u32_e32 v176, 29, v167
	v_sub_nc_u32_e32 v167, 30, v167
	v_dual_cndmask_b32 v167, v177, v167 :: v_dual_lshlrev_b32 v176, v176, v165
	v_lshlrev_b32_e32 v165, 24, v165
	s_delay_alu instid0(VALU_DEP_2) | instskip(NEXT) | instid1(VALU_DEP_3)
	v_and_b32_e32 v176, 3, v176
	v_lshl_add_u32 v167, v167, 23, 0x37800000
	s_delay_alu instid0(VALU_DEP_2) | instskip(NEXT) | instid1(VALU_DEP_1)
	v_dual_cndmask_b32 v146, v146, v176 :: v_dual_and_b32 v165, 0x80000000, v165
	v_lshlrev_b32_e32 v146, 21, v146
	s_delay_alu instid0(VALU_DEP_1)
	v_or3_b32 v146, v165, v167, v146
.LBB4_9858:                             ;   in Loop: Header=BB4_9504 Depth=3
	s_or_b32 exec_lo, exec_lo, s17
	s_delay_alu instid0(VALU_DEP_1) | instskip(NEXT) | instid1(VALU_DEP_1)
	v_add_f32_e32 v165, v166, v146
	v_and_b32_e32 v146, 0x7f800000, v165
	s_delay_alu instid0(VALU_DEP_1)
	v_cmp_ne_u32_e32 vcc_lo, 0x7f800000, v146
	v_mov_b32_e32 v146, 0x80
	s_and_saveexec_b32 s17, vcc_lo
	s_cbranch_execz .LBB4_9866
; %bb.9859:                             ;   in Loop: Header=BB4_9504 Depth=3
	v_mov_b32_e32 v146, 0
	s_mov_b32 s30, exec_lo
	v_cmpx_ne_u32_e32 0, v165
	s_cbranch_execz .LBB4_9865
; %bb.9860:                             ;   in Loop: Header=BB4_9504 Depth=3
	v_bfe_u32 v146, v165, 23, 8
	s_delay_alu instid0(VALU_DEP_1) | instskip(SKIP_1) | instid1(VALU_DEP_2)
	v_sub_nc_u32_e32 v167, 0x70, v146
	v_cmp_gt_u32_e32 vcc_lo, 0x71, v146
	v_dual_cndmask_b32 v167, 0, v167 :: v_dual_and_b32 v166, 0x7fffff, v165
	s_delay_alu instid0(VALU_DEP_1) | instskip(SKIP_2) | instid1(VALU_DEP_4)
	v_or_b32_e32 v176, 0x800000, v166
	v_cmp_eq_u32_e32 vcc_lo, 0, v146
	v_add_nc_u32_e32 v146, 0xffffff91, v146
	v_cndmask_b32_e64 v167, v167, 0x6f, vcc_lo
	s_delay_alu instid0(VALU_DEP_4) | instskip(NEXT) | instid1(VALU_DEP_3)
	v_cndmask_b32_e32 v166, v176, v166, vcc_lo
	v_cndmask_b32_e64 v146, v146, 0xffffff92, vcc_lo
	s_delay_alu instid0(VALU_DEP_3) | instskip(NEXT) | instid1(VALU_DEP_3)
	v_lshl_add_u32 v176, 0x200000, v167, -1
	v_lshrrev_b32_e32 v177, v167, v166
	v_lshlrev_b32_e64 v179, v167, 0x100000
	s_delay_alu instid0(VALU_DEP_4) | instskip(NEXT) | instid1(VALU_DEP_4)
	v_add_nc_u32_e32 v167, v167, v146
	v_and_b32_e32 v166, v176, v166
	s_delay_alu instid0(VALU_DEP_4) | instskip(NEXT) | instid1(VALU_DEP_2)
	v_bfe_u32 v178, v177, 21, 1
	v_cmp_eq_u32_e64 s13, v166, v179
	s_delay_alu instid0(VALU_DEP_2) | instskip(NEXT) | instid1(VALU_DEP_1)
	v_add_nc_u32_e32 v176, -1, v178
	v_cndmask_b32_e64 v166, 0, v176, s13
	v_lshrrev_b32_e32 v176, 23, v177
	s_mov_b32 s13, exec_lo
	s_delay_alu instid0(VALU_DEP_2) | instskip(NEXT) | instid1(VALU_DEP_2)
	v_add_nc_u32_e32 v166, v166, v177
	v_xor_b32_e32 v176, 1, v176
	s_delay_alu instid0(VALU_DEP_2) | instskip(NEXT) | instid1(VALU_DEP_1)
	v_and_b32_e32 v146, 0x1fffff, v166
	v_add_nc_u32_e32 v166, v146, v177
                                        ; implicit-def: $vgpr146
	s_delay_alu instid0(VALU_DEP_3)
	v_cmpx_ne_u32_e64 v167, v176
	s_xor_b32 s13, exec_lo, s13
; %bb.9861:                             ;   in Loop: Header=BB4_9504 Depth=3
	s_delay_alu instid0(VALU_DEP_2) | instskip(SKIP_2) | instid1(VALU_DEP_2)
	v_cmp_lt_u32_e32 vcc_lo, 0xffffff, v166
	v_sub_nc_u32_e32 v146, v167, v176
	v_cndmask_b32_e64 v167, 0, 1, vcc_lo
	v_add_co_ci_u32_e32 v146, vcc_lo, 0, v146, vcc_lo
	s_delay_alu instid0(VALU_DEP_2)
	v_lshrrev_b32_e32 v166, v167, v166
; %bb.9862:                             ;   in Loop: Header=BB4_9504 Depth=3
	s_and_not1_saveexec_b32 s13, s13
; %bb.9863:                             ;   in Loop: Header=BB4_9504 Depth=3
	s_delay_alu instid0(VALU_DEP_1)
	v_bfe_u32 v146, v166, 23, 1
; %bb.9864:                             ;   in Loop: Header=BB4_9504 Depth=3
	s_or_b32 exec_lo, exec_lo, s13
	v_lshrrev_b32_e32 v166, 21, v166
	s_delay_alu instid0(VALU_DEP_2) | instskip(SKIP_2) | instid1(VALU_DEP_2)
	v_cmp_gt_i32_e32 vcc_lo, 32, v146
	v_lshrrev_b32_e32 v165, 24, v165
	v_min_i32_e32 v167, 31, v146
	v_dual_cndmask_b32 v166, 3, v166 :: v_dual_and_b32 v165, 0x80, v165
	s_delay_alu instid0(VALU_DEP_1) | instskip(SKIP_1) | instid1(VALU_DEP_2)
	v_or_b32_e32 v146, v146, v166
	v_and_b32_e32 v176, 3, v166
	v_cmp_ne_u32_e32 vcc_lo, 0, v146
	v_lshlrev_b32_e32 v167, 2, v167
	s_delay_alu instid0(VALU_DEP_1) | instskip(NEXT) | instid1(VALU_DEP_1)
	v_or3_b32 v165, v167, v165, v176
	v_cndmask_b32_e32 v146, 0, v165, vcc_lo
.LBB4_9865:                             ;   in Loop: Header=BB4_9504 Depth=3
	s_or_b32 exec_lo, exec_lo, s30
.LBB4_9866:                             ;   in Loop: Header=BB4_9504 Depth=3
	s_delay_alu instid0(SALU_CYCLE_1) | instskip(SKIP_3) | instid1(VALU_DEP_1)
	s_or_b32 exec_lo, exec_lo, s17
	v_and_b32_e32 v166, 0xff, v144
	s_mov_b32 s13, 0
	s_mov_b32 s30, exec_lo
                                        ; implicit-def: $sgpr17
	v_cmpx_lt_i16_e64 0x7f, v166
	s_xor_b32 s30, exec_lo, s30
	s_cbranch_execnz .LBB4_10107
; %bb.9867:                             ;   in Loop: Header=BB4_9504 Depth=3
	s_or_saveexec_b32 s30, s30
	v_mov_b32_e32 v165, s17
	s_xor_b32 exec_lo, exec_lo, s30
	s_cbranch_execnz .LBB4_10110
.LBB4_9868:                             ;   in Loop: Header=BB4_9504 Depth=3
	s_or_b32 exec_lo, exec_lo, s30
	s_and_saveexec_b32 s17, s13
	s_cbranch_execz .LBB4_9870
.LBB4_9869:                             ;   in Loop: Header=BB4_9504 Depth=3
	v_lshrrev_b16 v176, 2, v144
	s_delay_alu instid0(VALU_DEP_1) | instskip(NEXT) | instid1(VALU_DEP_1)
	v_and_b32_e32 v176, 31, v176
	v_cmp_eq_u32_e32 vcc_lo, 0, v176
	v_and_b32_e32 v165, 3, v144
	s_delay_alu instid0(VALU_DEP_1) | instskip(NEXT) | instid1(VALU_DEP_1)
	v_clz_i32_u32_e32 v166, v165
	v_min_u32_e32 v166, 32, v166
	s_delay_alu instid0(VALU_DEP_1) | instskip(SKIP_1) | instid1(VALU_DEP_1)
	v_subrev_nc_u32_e32 v167, 29, v166
	v_sub_nc_u32_e32 v166, 30, v166
	v_dual_cndmask_b32 v166, v176, v166 :: v_dual_lshlrev_b32 v167, v167, v144
	v_lshlrev_b32_e32 v144, 24, v144
	s_delay_alu instid0(VALU_DEP_2) | instskip(NEXT) | instid1(VALU_DEP_3)
	v_and_b32_e32 v167, 3, v167
	v_lshl_add_u32 v166, v166, 23, 0x37800000
	s_delay_alu instid0(VALU_DEP_2) | instskip(NEXT) | instid1(VALU_DEP_1)
	v_dual_cndmask_b32 v165, v165, v167 :: v_dual_and_b32 v144, 0x80000000, v144
	v_lshlrev_b32_e32 v165, 21, v165
	s_delay_alu instid0(VALU_DEP_1)
	v_or3_b32 v165, v144, v166, v165
.LBB4_9870:                             ;   in Loop: Header=BB4_9504 Depth=3
	s_or_b32 exec_lo, exec_lo, s17
	s_waitcnt vmcnt(5) lgkmcnt(5)
	v_and_b32_e32 v166, 0xff, v164
	s_mov_b32 s13, 0
	s_mov_b32 s30, exec_lo
                                        ; implicit-def: $sgpr17
	s_delay_alu instid0(VALU_DEP_1)
	v_cmpx_lt_i16_e64 0x7f, v166
	s_xor_b32 s30, exec_lo, s30
	s_cbranch_execnz .LBB4_10111
; %bb.9871:                             ;   in Loop: Header=BB4_9504 Depth=3
	s_or_saveexec_b32 s30, s30
	v_mov_b32_e32 v144, s17
	s_xor_b32 exec_lo, exec_lo, s30
	s_cbranch_execnz .LBB4_10114
.LBB4_9872:                             ;   in Loop: Header=BB4_9504 Depth=3
	s_or_b32 exec_lo, exec_lo, s30
	s_and_saveexec_b32 s17, s13
	s_cbranch_execz .LBB4_9874
.LBB4_9873:                             ;   in Loop: Header=BB4_9504 Depth=3
	v_and_b32_e32 v144, 3, v164
	v_lshrrev_b16 v176, 2, v164
	s_delay_alu instid0(VALU_DEP_2) | instskip(NEXT) | instid1(VALU_DEP_2)
	v_clz_i32_u32_e32 v166, v144
	v_and_b32_e32 v176, 31, v176
	s_delay_alu instid0(VALU_DEP_2) | instskip(NEXT) | instid1(VALU_DEP_2)
	v_min_u32_e32 v166, 32, v166
	v_cmp_eq_u32_e32 vcc_lo, 0, v176
	s_delay_alu instid0(VALU_DEP_2) | instskip(SKIP_1) | instid1(VALU_DEP_1)
	v_subrev_nc_u32_e32 v167, 29, v166
	v_sub_nc_u32_e32 v166, 30, v166
	v_dual_cndmask_b32 v166, v176, v166 :: v_dual_lshlrev_b32 v167, v167, v164
	v_lshlrev_b32_e32 v164, 24, v164
	s_delay_alu instid0(VALU_DEP_2) | instskip(NEXT) | instid1(VALU_DEP_3)
	v_and_b32_e32 v167, 3, v167
	v_lshl_add_u32 v166, v166, 23, 0x37800000
	s_delay_alu instid0(VALU_DEP_3) | instskip(NEXT) | instid1(VALU_DEP_3)
	v_and_b32_e32 v164, 0x80000000, v164
	v_cndmask_b32_e32 v144, v144, v167, vcc_lo
	s_delay_alu instid0(VALU_DEP_1) | instskip(NEXT) | instid1(VALU_DEP_1)
	v_lshlrev_b32_e32 v144, 21, v144
	v_or3_b32 v144, v164, v166, v144
.LBB4_9874:                             ;   in Loop: Header=BB4_9504 Depth=3
	s_or_b32 exec_lo, exec_lo, s17
	s_delay_alu instid0(VALU_DEP_1) | instskip(NEXT) | instid1(VALU_DEP_1)
	v_add_f32_e32 v164, v165, v144
	v_and_b32_e32 v144, 0x7f800000, v164
	s_delay_alu instid0(VALU_DEP_1)
	v_cmp_ne_u32_e32 vcc_lo, 0x7f800000, v144
	v_mov_b32_e32 v144, 0x80
	s_and_saveexec_b32 s17, vcc_lo
	s_cbranch_execz .LBB4_9882
; %bb.9875:                             ;   in Loop: Header=BB4_9504 Depth=3
	v_mov_b32_e32 v144, 0
	s_mov_b32 s30, exec_lo
	v_cmpx_ne_u32_e32 0, v164
	s_cbranch_execz .LBB4_9881
; %bb.9876:                             ;   in Loop: Header=BB4_9504 Depth=3
	v_bfe_u32 v144, v164, 23, 8
	s_delay_alu instid0(VALU_DEP_1) | instskip(SKIP_1) | instid1(VALU_DEP_2)
	v_sub_nc_u32_e32 v166, 0x70, v144
	v_cmp_gt_u32_e32 vcc_lo, 0x71, v144
	v_dual_cndmask_b32 v166, 0, v166 :: v_dual_and_b32 v165, 0x7fffff, v164
	s_delay_alu instid0(VALU_DEP_1) | instskip(SKIP_2) | instid1(VALU_DEP_4)
	v_or_b32_e32 v167, 0x800000, v165
	v_cmp_eq_u32_e32 vcc_lo, 0, v144
	v_add_nc_u32_e32 v144, 0xffffff91, v144
	v_cndmask_b32_e64 v166, v166, 0x6f, vcc_lo
	s_delay_alu instid0(VALU_DEP_4) | instskip(NEXT) | instid1(VALU_DEP_3)
	v_cndmask_b32_e32 v165, v167, v165, vcc_lo
	v_cndmask_b32_e64 v144, v144, 0xffffff92, vcc_lo
	s_delay_alu instid0(VALU_DEP_3) | instskip(NEXT) | instid1(VALU_DEP_3)
	v_lshl_add_u32 v167, 0x200000, v166, -1
	v_lshrrev_b32_e32 v176, v166, v165
	v_lshlrev_b32_e64 v178, v166, 0x100000
	s_delay_alu instid0(VALU_DEP_4) | instskip(NEXT) | instid1(VALU_DEP_4)
	v_add_nc_u32_e32 v166, v166, v144
	v_and_b32_e32 v165, v167, v165
	s_delay_alu instid0(VALU_DEP_4) | instskip(NEXT) | instid1(VALU_DEP_2)
	v_bfe_u32 v177, v176, 21, 1
	v_cmp_eq_u32_e64 s13, v165, v178
	s_delay_alu instid0(VALU_DEP_2) | instskip(NEXT) | instid1(VALU_DEP_1)
	v_add_nc_u32_e32 v167, -1, v177
	v_cndmask_b32_e64 v165, 0, v167, s13
	v_lshrrev_b32_e32 v167, 23, v176
	s_mov_b32 s13, exec_lo
	s_delay_alu instid0(VALU_DEP_2) | instskip(NEXT) | instid1(VALU_DEP_2)
	v_add_nc_u32_e32 v165, v165, v176
	v_xor_b32_e32 v167, 1, v167
	s_delay_alu instid0(VALU_DEP_2) | instskip(NEXT) | instid1(VALU_DEP_1)
	v_and_b32_e32 v144, 0x1fffff, v165
	v_add_nc_u32_e32 v165, v144, v176
                                        ; implicit-def: $vgpr144
	s_delay_alu instid0(VALU_DEP_3)
	v_cmpx_ne_u32_e64 v166, v167
	s_xor_b32 s13, exec_lo, s13
; %bb.9877:                             ;   in Loop: Header=BB4_9504 Depth=3
	s_delay_alu instid0(VALU_DEP_2) | instskip(SKIP_2) | instid1(VALU_DEP_2)
	v_cmp_lt_u32_e32 vcc_lo, 0xffffff, v165
	v_sub_nc_u32_e32 v144, v166, v167
	v_cndmask_b32_e64 v166, 0, 1, vcc_lo
	v_add_co_ci_u32_e32 v144, vcc_lo, 0, v144, vcc_lo
	s_delay_alu instid0(VALU_DEP_2)
	v_lshrrev_b32_e32 v165, v166, v165
; %bb.9878:                             ;   in Loop: Header=BB4_9504 Depth=3
	s_and_not1_saveexec_b32 s13, s13
; %bb.9879:                             ;   in Loop: Header=BB4_9504 Depth=3
	s_delay_alu instid0(VALU_DEP_1)
	v_bfe_u32 v144, v165, 23, 1
; %bb.9880:                             ;   in Loop: Header=BB4_9504 Depth=3
	s_or_b32 exec_lo, exec_lo, s13
	v_lshrrev_b32_e32 v165, 21, v165
	s_delay_alu instid0(VALU_DEP_2) | instskip(SKIP_2) | instid1(VALU_DEP_2)
	v_cmp_gt_i32_e32 vcc_lo, 32, v144
	v_lshrrev_b32_e32 v164, 24, v164
	v_min_i32_e32 v166, 31, v144
	v_dual_cndmask_b32 v165, 3, v165 :: v_dual_and_b32 v164, 0x80, v164
	s_delay_alu instid0(VALU_DEP_2) | instskip(NEXT) | instid1(VALU_DEP_2)
	v_lshlrev_b32_e32 v166, 2, v166
	v_or_b32_e32 v144, v144, v165
	s_delay_alu instid0(VALU_DEP_1) | instskip(SKIP_1) | instid1(VALU_DEP_1)
	v_cmp_ne_u32_e32 vcc_lo, 0, v144
	v_and_b32_e32 v167, 3, v165
	v_or3_b32 v164, v166, v164, v167
	s_delay_alu instid0(VALU_DEP_1)
	v_cndmask_b32_e32 v144, 0, v164, vcc_lo
.LBB4_9881:                             ;   in Loop: Header=BB4_9504 Depth=3
	s_or_b32 exec_lo, exec_lo, s30
.LBB4_9882:                             ;   in Loop: Header=BB4_9504 Depth=3
	s_delay_alu instid0(SALU_CYCLE_1) | instskip(SKIP_3) | instid1(VALU_DEP_1)
	s_or_b32 exec_lo, exec_lo, s17
	v_and_b32_e32 v165, 0xff, v135
	s_mov_b32 s13, 0
	s_mov_b32 s30, exec_lo
                                        ; implicit-def: $sgpr17
	v_cmpx_lt_i16_e64 0x7f, v165
	s_xor_b32 s30, exec_lo, s30
	s_cbranch_execnz .LBB4_10115
; %bb.9883:                             ;   in Loop: Header=BB4_9504 Depth=3
	s_or_saveexec_b32 s30, s30
	v_mov_b32_e32 v164, s17
	s_xor_b32 exec_lo, exec_lo, s30
	s_cbranch_execnz .LBB4_10118
.LBB4_9884:                             ;   in Loop: Header=BB4_9504 Depth=3
	s_or_b32 exec_lo, exec_lo, s30
	s_and_saveexec_b32 s17, s13
	s_cbranch_execz .LBB4_9886
.LBB4_9885:                             ;   in Loop: Header=BB4_9504 Depth=3
	v_lshrrev_b16 v167, 2, v135
	s_delay_alu instid0(VALU_DEP_1) | instskip(NEXT) | instid1(VALU_DEP_1)
	v_and_b32_e32 v167, 31, v167
	v_cmp_eq_u32_e32 vcc_lo, 0, v167
	v_and_b32_e32 v164, 3, v135
	s_delay_alu instid0(VALU_DEP_1) | instskip(NEXT) | instid1(VALU_DEP_1)
	v_clz_i32_u32_e32 v165, v164
	v_min_u32_e32 v165, 32, v165
	s_delay_alu instid0(VALU_DEP_1) | instskip(SKIP_1) | instid1(VALU_DEP_1)
	v_subrev_nc_u32_e32 v166, 29, v165
	v_sub_nc_u32_e32 v165, 30, v165
	v_dual_cndmask_b32 v165, v167, v165 :: v_dual_lshlrev_b32 v166, v166, v135
	v_lshlrev_b32_e32 v135, 24, v135
	s_delay_alu instid0(VALU_DEP_2) | instskip(NEXT) | instid1(VALU_DEP_3)
	v_and_b32_e32 v166, 3, v166
	v_lshl_add_u32 v165, v165, 23, 0x37800000
	s_delay_alu instid0(VALU_DEP_2) | instskip(NEXT) | instid1(VALU_DEP_1)
	v_dual_cndmask_b32 v164, v164, v166 :: v_dual_and_b32 v135, 0x80000000, v135
	v_lshlrev_b32_e32 v164, 21, v164
	s_delay_alu instid0(VALU_DEP_1)
	v_or3_b32 v164, v135, v165, v164
.LBB4_9886:                             ;   in Loop: Header=BB4_9504 Depth=3
	s_or_b32 exec_lo, exec_lo, s17
	s_waitcnt vmcnt(4) lgkmcnt(4)
	v_and_b32_e32 v165, 0xff, v163
	s_mov_b32 s13, 0
	s_mov_b32 s30, exec_lo
                                        ; implicit-def: $sgpr17
	s_delay_alu instid0(VALU_DEP_1)
	v_cmpx_lt_i16_e64 0x7f, v165
	s_xor_b32 s30, exec_lo, s30
	s_cbranch_execnz .LBB4_10119
; %bb.9887:                             ;   in Loop: Header=BB4_9504 Depth=3
	s_or_saveexec_b32 s30, s30
	v_mov_b32_e32 v135, s17
	s_xor_b32 exec_lo, exec_lo, s30
	s_cbranch_execnz .LBB4_10122
.LBB4_9888:                             ;   in Loop: Header=BB4_9504 Depth=3
	s_or_b32 exec_lo, exec_lo, s30
	s_and_saveexec_b32 s17, s13
	s_cbranch_execz .LBB4_9890
.LBB4_9889:                             ;   in Loop: Header=BB4_9504 Depth=3
	v_and_b32_e32 v135, 3, v163
	v_lshrrev_b16 v167, 2, v163
	s_delay_alu instid0(VALU_DEP_2) | instskip(NEXT) | instid1(VALU_DEP_2)
	v_clz_i32_u32_e32 v165, v135
	v_and_b32_e32 v167, 31, v167
	s_delay_alu instid0(VALU_DEP_2) | instskip(NEXT) | instid1(VALU_DEP_2)
	v_min_u32_e32 v165, 32, v165
	v_cmp_eq_u32_e32 vcc_lo, 0, v167
	s_delay_alu instid0(VALU_DEP_2) | instskip(SKIP_1) | instid1(VALU_DEP_1)
	v_subrev_nc_u32_e32 v166, 29, v165
	v_sub_nc_u32_e32 v165, 30, v165
	v_dual_cndmask_b32 v165, v167, v165 :: v_dual_lshlrev_b32 v166, v166, v163
	v_lshlrev_b32_e32 v163, 24, v163
	s_delay_alu instid0(VALU_DEP_2) | instskip(NEXT) | instid1(VALU_DEP_3)
	v_and_b32_e32 v166, 3, v166
	v_lshl_add_u32 v165, v165, 23, 0x37800000
	s_delay_alu instid0(VALU_DEP_3) | instskip(NEXT) | instid1(VALU_DEP_3)
	v_and_b32_e32 v163, 0x80000000, v163
	v_cndmask_b32_e32 v135, v135, v166, vcc_lo
	s_delay_alu instid0(VALU_DEP_1) | instskip(NEXT) | instid1(VALU_DEP_1)
	v_lshlrev_b32_e32 v135, 21, v135
	v_or3_b32 v135, v163, v165, v135
.LBB4_9890:                             ;   in Loop: Header=BB4_9504 Depth=3
	s_or_b32 exec_lo, exec_lo, s17
	s_delay_alu instid0(VALU_DEP_1) | instskip(NEXT) | instid1(VALU_DEP_1)
	v_add_f32_e32 v163, v164, v135
	v_and_b32_e32 v135, 0x7f800000, v163
	s_delay_alu instid0(VALU_DEP_1)
	v_cmp_ne_u32_e32 vcc_lo, 0x7f800000, v135
	v_mov_b32_e32 v135, 0x80
	s_and_saveexec_b32 s17, vcc_lo
	s_cbranch_execz .LBB4_9898
; %bb.9891:                             ;   in Loop: Header=BB4_9504 Depth=3
	v_mov_b32_e32 v135, 0
	s_mov_b32 s30, exec_lo
	v_cmpx_ne_u32_e32 0, v163
	s_cbranch_execz .LBB4_9897
; %bb.9892:                             ;   in Loop: Header=BB4_9504 Depth=3
	v_bfe_u32 v135, v163, 23, 8
	s_delay_alu instid0(VALU_DEP_1) | instskip(SKIP_1) | instid1(VALU_DEP_2)
	v_sub_nc_u32_e32 v165, 0x70, v135
	v_cmp_gt_u32_e32 vcc_lo, 0x71, v135
	v_dual_cndmask_b32 v165, 0, v165 :: v_dual_and_b32 v164, 0x7fffff, v163
	s_delay_alu instid0(VALU_DEP_1) | instskip(SKIP_2) | instid1(VALU_DEP_4)
	v_or_b32_e32 v166, 0x800000, v164
	v_cmp_eq_u32_e32 vcc_lo, 0, v135
	v_add_nc_u32_e32 v135, 0xffffff91, v135
	v_cndmask_b32_e64 v165, v165, 0x6f, vcc_lo
	s_delay_alu instid0(VALU_DEP_4) | instskip(NEXT) | instid1(VALU_DEP_3)
	v_cndmask_b32_e32 v164, v166, v164, vcc_lo
	v_cndmask_b32_e64 v135, v135, 0xffffff92, vcc_lo
	s_delay_alu instid0(VALU_DEP_3) | instskip(NEXT) | instid1(VALU_DEP_3)
	v_lshl_add_u32 v166, 0x200000, v165, -1
	v_lshrrev_b32_e32 v167, v165, v164
	v_lshlrev_b32_e64 v177, v165, 0x100000
	s_delay_alu instid0(VALU_DEP_4) | instskip(NEXT) | instid1(VALU_DEP_4)
	v_add_nc_u32_e32 v165, v165, v135
	v_and_b32_e32 v164, v166, v164
	s_delay_alu instid0(VALU_DEP_4) | instskip(NEXT) | instid1(VALU_DEP_2)
	v_bfe_u32 v176, v167, 21, 1
	v_cmp_eq_u32_e64 s13, v164, v177
	s_delay_alu instid0(VALU_DEP_2) | instskip(NEXT) | instid1(VALU_DEP_1)
	v_add_nc_u32_e32 v166, -1, v176
	v_cndmask_b32_e64 v164, 0, v166, s13
	v_lshrrev_b32_e32 v166, 23, v167
	s_mov_b32 s13, exec_lo
	s_delay_alu instid0(VALU_DEP_2) | instskip(NEXT) | instid1(VALU_DEP_2)
	v_add_nc_u32_e32 v164, v164, v167
	v_xor_b32_e32 v166, 1, v166
	s_delay_alu instid0(VALU_DEP_2) | instskip(NEXT) | instid1(VALU_DEP_1)
	v_and_b32_e32 v135, 0x1fffff, v164
	v_add_nc_u32_e32 v164, v135, v167
                                        ; implicit-def: $vgpr135
	s_delay_alu instid0(VALU_DEP_3)
	v_cmpx_ne_u32_e64 v165, v166
	s_xor_b32 s13, exec_lo, s13
; %bb.9893:                             ;   in Loop: Header=BB4_9504 Depth=3
	s_delay_alu instid0(VALU_DEP_2) | instskip(SKIP_2) | instid1(VALU_DEP_2)
	v_cmp_lt_u32_e32 vcc_lo, 0xffffff, v164
	v_sub_nc_u32_e32 v135, v165, v166
	v_cndmask_b32_e64 v165, 0, 1, vcc_lo
	v_add_co_ci_u32_e32 v135, vcc_lo, 0, v135, vcc_lo
	s_delay_alu instid0(VALU_DEP_2)
	v_lshrrev_b32_e32 v164, v165, v164
; %bb.9894:                             ;   in Loop: Header=BB4_9504 Depth=3
	s_and_not1_saveexec_b32 s13, s13
; %bb.9895:                             ;   in Loop: Header=BB4_9504 Depth=3
	s_delay_alu instid0(VALU_DEP_1)
	v_bfe_u32 v135, v164, 23, 1
; %bb.9896:                             ;   in Loop: Header=BB4_9504 Depth=3
	s_or_b32 exec_lo, exec_lo, s13
	v_lshrrev_b32_e32 v164, 21, v164
	s_delay_alu instid0(VALU_DEP_2) | instskip(SKIP_2) | instid1(VALU_DEP_2)
	v_cmp_gt_i32_e32 vcc_lo, 32, v135
	v_lshrrev_b32_e32 v163, 24, v163
	v_min_i32_e32 v165, 31, v135
	v_dual_cndmask_b32 v164, 3, v164 :: v_dual_and_b32 v163, 0x80, v163
	s_delay_alu instid0(VALU_DEP_2) | instskip(NEXT) | instid1(VALU_DEP_2)
	v_lshlrev_b32_e32 v165, 2, v165
	v_or_b32_e32 v135, v135, v164
	s_delay_alu instid0(VALU_DEP_1) | instskip(SKIP_1) | instid1(VALU_DEP_1)
	v_cmp_ne_u32_e32 vcc_lo, 0, v135
	v_and_b32_e32 v166, 3, v164
	v_or3_b32 v163, v165, v163, v166
	s_delay_alu instid0(VALU_DEP_1)
	v_cndmask_b32_e32 v135, 0, v163, vcc_lo
.LBB4_9897:                             ;   in Loop: Header=BB4_9504 Depth=3
	s_or_b32 exec_lo, exec_lo, s30
.LBB4_9898:                             ;   in Loop: Header=BB4_9504 Depth=3
	s_delay_alu instid0(SALU_CYCLE_1) | instskip(SKIP_3) | instid1(VALU_DEP_1)
	s_or_b32 exec_lo, exec_lo, s17
	v_and_b32_e32 v164, 0xff, v133
	s_mov_b32 s13, 0
	s_mov_b32 s30, exec_lo
                                        ; implicit-def: $sgpr17
	v_cmpx_lt_i16_e64 0x7f, v164
	s_xor_b32 s30, exec_lo, s30
	s_cbranch_execnz .LBB4_10123
; %bb.9899:                             ;   in Loop: Header=BB4_9504 Depth=3
	s_or_saveexec_b32 s30, s30
	v_mov_b32_e32 v163, s17
	s_xor_b32 exec_lo, exec_lo, s30
	s_cbranch_execnz .LBB4_10126
.LBB4_9900:                             ;   in Loop: Header=BB4_9504 Depth=3
	s_or_b32 exec_lo, exec_lo, s30
	s_and_saveexec_b32 s17, s13
	s_cbranch_execz .LBB4_9902
.LBB4_9901:                             ;   in Loop: Header=BB4_9504 Depth=3
	v_lshrrev_b16 v166, 2, v133
	s_delay_alu instid0(VALU_DEP_1) | instskip(NEXT) | instid1(VALU_DEP_1)
	v_and_b32_e32 v166, 31, v166
	v_cmp_eq_u32_e32 vcc_lo, 0, v166
	v_and_b32_e32 v163, 3, v133
	s_delay_alu instid0(VALU_DEP_1) | instskip(NEXT) | instid1(VALU_DEP_1)
	v_clz_i32_u32_e32 v164, v163
	v_min_u32_e32 v164, 32, v164
	s_delay_alu instid0(VALU_DEP_1) | instskip(SKIP_1) | instid1(VALU_DEP_1)
	v_subrev_nc_u32_e32 v165, 29, v164
	v_sub_nc_u32_e32 v164, 30, v164
	v_dual_cndmask_b32 v164, v166, v164 :: v_dual_lshlrev_b32 v165, v165, v133
	v_lshlrev_b32_e32 v133, 24, v133
	s_delay_alu instid0(VALU_DEP_2) | instskip(NEXT) | instid1(VALU_DEP_3)
	v_and_b32_e32 v165, 3, v165
	v_lshl_add_u32 v164, v164, 23, 0x37800000
	s_delay_alu instid0(VALU_DEP_3) | instskip(NEXT) | instid1(VALU_DEP_3)
	v_and_b32_e32 v133, 0x80000000, v133
	v_cndmask_b32_e32 v163, v163, v165, vcc_lo
	s_delay_alu instid0(VALU_DEP_1) | instskip(NEXT) | instid1(VALU_DEP_1)
	v_lshlrev_b32_e32 v163, 21, v163
	v_or3_b32 v163, v133, v164, v163
.LBB4_9902:                             ;   in Loop: Header=BB4_9504 Depth=3
	s_or_b32 exec_lo, exec_lo, s17
	s_waitcnt vmcnt(3) lgkmcnt(3)
	v_and_b32_e32 v164, 0xff, v150
	s_mov_b32 s13, 0
	s_mov_b32 s30, exec_lo
                                        ; implicit-def: $sgpr17
	s_delay_alu instid0(VALU_DEP_1)
	v_cmpx_lt_i16_e64 0x7f, v164
	s_xor_b32 s30, exec_lo, s30
	s_cbranch_execnz .LBB4_10127
; %bb.9903:                             ;   in Loop: Header=BB4_9504 Depth=3
	s_or_saveexec_b32 s30, s30
	v_mov_b32_e32 v133, s17
	s_xor_b32 exec_lo, exec_lo, s30
	s_cbranch_execnz .LBB4_10130
.LBB4_9904:                             ;   in Loop: Header=BB4_9504 Depth=3
	s_or_b32 exec_lo, exec_lo, s30
	s_and_saveexec_b32 s17, s13
	s_cbranch_execz .LBB4_9906
.LBB4_9905:                             ;   in Loop: Header=BB4_9504 Depth=3
	v_lshrrev_b16 v166, 2, v150
	s_delay_alu instid0(VALU_DEP_1) | instskip(NEXT) | instid1(VALU_DEP_1)
	v_and_b32_e32 v166, 31, v166
	v_cmp_eq_u32_e32 vcc_lo, 0, v166
	v_and_b32_e32 v133, 3, v150
	s_delay_alu instid0(VALU_DEP_1) | instskip(NEXT) | instid1(VALU_DEP_1)
	v_clz_i32_u32_e32 v164, v133
	v_min_u32_e32 v164, 32, v164
	s_delay_alu instid0(VALU_DEP_1) | instskip(SKIP_1) | instid1(VALU_DEP_1)
	v_subrev_nc_u32_e32 v165, 29, v164
	v_sub_nc_u32_e32 v164, 30, v164
	v_dual_cndmask_b32 v164, v166, v164 :: v_dual_lshlrev_b32 v165, v165, v150
	v_lshlrev_b32_e32 v150, 24, v150
	s_delay_alu instid0(VALU_DEP_2) | instskip(NEXT) | instid1(VALU_DEP_3)
	v_and_b32_e32 v165, 3, v165
	v_lshl_add_u32 v164, v164, 23, 0x37800000
	s_delay_alu instid0(VALU_DEP_2) | instskip(NEXT) | instid1(VALU_DEP_1)
	v_dual_cndmask_b32 v133, v133, v165 :: v_dual_and_b32 v150, 0x80000000, v150
	v_lshlrev_b32_e32 v133, 21, v133
	s_delay_alu instid0(VALU_DEP_1)
	v_or3_b32 v133, v150, v164, v133
.LBB4_9906:                             ;   in Loop: Header=BB4_9504 Depth=3
	s_or_b32 exec_lo, exec_lo, s17
	s_delay_alu instid0(VALU_DEP_1) | instskip(NEXT) | instid1(VALU_DEP_1)
	v_add_f32_e32 v150, v163, v133
	v_and_b32_e32 v133, 0x7f800000, v150
	s_delay_alu instid0(VALU_DEP_1)
	v_cmp_ne_u32_e32 vcc_lo, 0x7f800000, v133
	v_mov_b32_e32 v133, 0x80
	s_and_saveexec_b32 s17, vcc_lo
	s_cbranch_execz .LBB4_9914
; %bb.9907:                             ;   in Loop: Header=BB4_9504 Depth=3
	v_mov_b32_e32 v133, 0
	s_mov_b32 s30, exec_lo
	v_cmpx_ne_u32_e32 0, v150
	s_cbranch_execz .LBB4_9913
; %bb.9908:                             ;   in Loop: Header=BB4_9504 Depth=3
	v_bfe_u32 v133, v150, 23, 8
	s_delay_alu instid0(VALU_DEP_1) | instskip(SKIP_1) | instid1(VALU_DEP_2)
	v_sub_nc_u32_e32 v164, 0x70, v133
	v_cmp_gt_u32_e32 vcc_lo, 0x71, v133
	v_dual_cndmask_b32 v164, 0, v164 :: v_dual_and_b32 v163, 0x7fffff, v150
	s_delay_alu instid0(VALU_DEP_1) | instskip(SKIP_2) | instid1(VALU_DEP_4)
	v_or_b32_e32 v165, 0x800000, v163
	v_cmp_eq_u32_e32 vcc_lo, 0, v133
	v_add_nc_u32_e32 v133, 0xffffff91, v133
	v_cndmask_b32_e64 v164, v164, 0x6f, vcc_lo
	s_delay_alu instid0(VALU_DEP_2) | instskip(SKIP_1) | instid1(VALU_DEP_3)
	v_cndmask_b32_e64 v133, v133, 0xffffff92, vcc_lo
	v_cndmask_b32_e32 v163, v165, v163, vcc_lo
	v_lshl_add_u32 v165, 0x200000, v164, -1
	v_lshlrev_b32_e64 v176, v164, 0x100000
	s_delay_alu instid0(VALU_DEP_3) | instskip(SKIP_1) | instid1(VALU_DEP_4)
	v_lshrrev_b32_e32 v166, v164, v163
	v_add_nc_u32_e32 v164, v164, v133
	v_and_b32_e32 v163, v165, v163
	s_delay_alu instid0(VALU_DEP_3) | instskip(NEXT) | instid1(VALU_DEP_2)
	v_bfe_u32 v167, v166, 21, 1
	v_cmp_eq_u32_e64 s13, v163, v176
	s_delay_alu instid0(VALU_DEP_2) | instskip(NEXT) | instid1(VALU_DEP_1)
	v_add_nc_u32_e32 v165, -1, v167
	v_cndmask_b32_e64 v163, 0, v165, s13
	v_lshrrev_b32_e32 v165, 23, v166
	s_mov_b32 s13, exec_lo
	s_delay_alu instid0(VALU_DEP_2) | instskip(NEXT) | instid1(VALU_DEP_2)
	v_add_nc_u32_e32 v163, v163, v166
	v_xor_b32_e32 v165, 1, v165
	s_delay_alu instid0(VALU_DEP_2) | instskip(NEXT) | instid1(VALU_DEP_1)
	v_and_b32_e32 v133, 0x1fffff, v163
	v_add_nc_u32_e32 v163, v133, v166
                                        ; implicit-def: $vgpr133
	s_delay_alu instid0(VALU_DEP_3)
	v_cmpx_ne_u32_e64 v164, v165
	s_xor_b32 s13, exec_lo, s13
; %bb.9909:                             ;   in Loop: Header=BB4_9504 Depth=3
	s_delay_alu instid0(VALU_DEP_2) | instskip(SKIP_2) | instid1(VALU_DEP_2)
	v_cmp_lt_u32_e32 vcc_lo, 0xffffff, v163
	v_sub_nc_u32_e32 v133, v164, v165
	v_cndmask_b32_e64 v164, 0, 1, vcc_lo
	v_add_co_ci_u32_e32 v133, vcc_lo, 0, v133, vcc_lo
	s_delay_alu instid0(VALU_DEP_2)
	v_lshrrev_b32_e32 v163, v164, v163
; %bb.9910:                             ;   in Loop: Header=BB4_9504 Depth=3
	s_and_not1_saveexec_b32 s13, s13
; %bb.9911:                             ;   in Loop: Header=BB4_9504 Depth=3
	s_delay_alu instid0(VALU_DEP_1)
	v_bfe_u32 v133, v163, 23, 1
; %bb.9912:                             ;   in Loop: Header=BB4_9504 Depth=3
	s_or_b32 exec_lo, exec_lo, s13
	v_lshrrev_b32_e32 v163, 21, v163
	s_delay_alu instid0(VALU_DEP_2) | instskip(SKIP_2) | instid1(VALU_DEP_2)
	v_cmp_gt_i32_e32 vcc_lo, 32, v133
	v_lshrrev_b32_e32 v150, 24, v150
	v_min_i32_e32 v164, 31, v133
	v_dual_cndmask_b32 v163, 3, v163 :: v_dual_and_b32 v150, 0x80, v150
	s_delay_alu instid0(VALU_DEP_1) | instskip(SKIP_1) | instid1(VALU_DEP_2)
	v_or_b32_e32 v133, v133, v163
	v_and_b32_e32 v165, 3, v163
	v_cmp_ne_u32_e32 vcc_lo, 0, v133
	v_lshlrev_b32_e32 v164, 2, v164
	s_delay_alu instid0(VALU_DEP_1) | instskip(NEXT) | instid1(VALU_DEP_1)
	v_or3_b32 v150, v164, v150, v165
	v_cndmask_b32_e32 v133, 0, v150, vcc_lo
.LBB4_9913:                             ;   in Loop: Header=BB4_9504 Depth=3
	s_or_b32 exec_lo, exec_lo, s30
.LBB4_9914:                             ;   in Loop: Header=BB4_9504 Depth=3
	s_delay_alu instid0(SALU_CYCLE_1) | instskip(SKIP_3) | instid1(VALU_DEP_1)
	s_or_b32 exec_lo, exec_lo, s17
	v_and_b32_e32 v163, 0xff, v68
	s_mov_b32 s13, 0
	s_mov_b32 s30, exec_lo
                                        ; implicit-def: $sgpr17
	v_cmpx_lt_i16_e64 0x7f, v163
	s_xor_b32 s30, exec_lo, s30
	s_cbranch_execnz .LBB4_10131
; %bb.9915:                             ;   in Loop: Header=BB4_9504 Depth=3
	s_or_saveexec_b32 s30, s30
	v_mov_b32_e32 v150, s17
	s_xor_b32 exec_lo, exec_lo, s30
	s_cbranch_execnz .LBB4_10134
.LBB4_9916:                             ;   in Loop: Header=BB4_9504 Depth=3
	s_or_b32 exec_lo, exec_lo, s30
	s_and_saveexec_b32 s17, s13
	s_cbranch_execz .LBB4_9918
.LBB4_9917:                             ;   in Loop: Header=BB4_9504 Depth=3
	v_lshrrev_b16 v165, 2, v68
	s_delay_alu instid0(VALU_DEP_1) | instskip(NEXT) | instid1(VALU_DEP_1)
	v_and_b32_e32 v165, 31, v165
	v_cmp_eq_u32_e32 vcc_lo, 0, v165
	v_and_b32_e32 v150, 3, v68
	s_delay_alu instid0(VALU_DEP_1) | instskip(NEXT) | instid1(VALU_DEP_1)
	v_clz_i32_u32_e32 v163, v150
	v_min_u32_e32 v163, 32, v163
	s_delay_alu instid0(VALU_DEP_1) | instskip(SKIP_1) | instid1(VALU_DEP_1)
	v_subrev_nc_u32_e32 v164, 29, v163
	v_sub_nc_u32_e32 v163, 30, v163
	v_dual_cndmask_b32 v163, v165, v163 :: v_dual_lshlrev_b32 v164, v164, v68
	v_lshlrev_b32_e32 v68, 24, v68
	s_delay_alu instid0(VALU_DEP_2) | instskip(NEXT) | instid1(VALU_DEP_3)
	v_and_b32_e32 v164, 3, v164
	v_lshl_add_u32 v163, v163, 23, 0x37800000
	s_delay_alu instid0(VALU_DEP_3) | instskip(NEXT) | instid1(VALU_DEP_3)
	v_and_b32_e32 v68, 0x80000000, v68
	v_cndmask_b32_e32 v150, v150, v164, vcc_lo
	s_delay_alu instid0(VALU_DEP_1) | instskip(NEXT) | instid1(VALU_DEP_1)
	v_lshlrev_b32_e32 v150, 21, v150
	v_or3_b32 v150, v68, v163, v150
.LBB4_9918:                             ;   in Loop: Header=BB4_9504 Depth=3
	s_or_b32 exec_lo, exec_lo, s17
	s_waitcnt vmcnt(2) lgkmcnt(2)
	v_and_b32_e32 v163, 0xff, v145
	s_mov_b32 s13, 0
	s_mov_b32 s30, exec_lo
                                        ; implicit-def: $sgpr17
	s_delay_alu instid0(VALU_DEP_1)
	v_cmpx_lt_i16_e64 0x7f, v163
	s_xor_b32 s30, exec_lo, s30
	s_cbranch_execnz .LBB4_10135
; %bb.9919:                             ;   in Loop: Header=BB4_9504 Depth=3
	s_or_saveexec_b32 s30, s30
	v_mov_b32_e32 v68, s17
	s_xor_b32 exec_lo, exec_lo, s30
	s_cbranch_execnz .LBB4_10138
.LBB4_9920:                             ;   in Loop: Header=BB4_9504 Depth=3
	s_or_b32 exec_lo, exec_lo, s30
	s_and_saveexec_b32 s17, s13
	s_cbranch_execz .LBB4_9922
.LBB4_9921:                             ;   in Loop: Header=BB4_9504 Depth=3
	v_lshrrev_b16 v165, 2, v145
	s_delay_alu instid0(VALU_DEP_1) | instskip(NEXT) | instid1(VALU_DEP_1)
	v_and_b32_e32 v165, 31, v165
	v_cmp_eq_u32_e32 vcc_lo, 0, v165
	v_and_b32_e32 v68, 3, v145
	s_delay_alu instid0(VALU_DEP_1) | instskip(NEXT) | instid1(VALU_DEP_1)
	v_clz_i32_u32_e32 v163, v68
	v_min_u32_e32 v163, 32, v163
	s_delay_alu instid0(VALU_DEP_1) | instskip(SKIP_1) | instid1(VALU_DEP_1)
	v_subrev_nc_u32_e32 v164, 29, v163
	v_sub_nc_u32_e32 v163, 30, v163
	v_dual_cndmask_b32 v163, v165, v163 :: v_dual_lshlrev_b32 v164, v164, v145
	v_lshlrev_b32_e32 v145, 24, v145
	s_delay_alu instid0(VALU_DEP_2) | instskip(NEXT) | instid1(VALU_DEP_3)
	v_and_b32_e32 v164, 3, v164
	v_lshl_add_u32 v163, v163, 23, 0x37800000
	s_delay_alu instid0(VALU_DEP_2) | instskip(NEXT) | instid1(VALU_DEP_1)
	v_dual_cndmask_b32 v68, v68, v164 :: v_dual_and_b32 v145, 0x80000000, v145
	v_lshlrev_b32_e32 v68, 21, v68
	s_delay_alu instid0(VALU_DEP_1)
	v_or3_b32 v68, v145, v163, v68
.LBB4_9922:                             ;   in Loop: Header=BB4_9504 Depth=3
	s_or_b32 exec_lo, exec_lo, s17
	s_delay_alu instid0(VALU_DEP_1) | instskip(NEXT) | instid1(VALU_DEP_1)
	v_add_f32_e32 v145, v150, v68
	v_and_b32_e32 v68, 0x7f800000, v145
	s_delay_alu instid0(VALU_DEP_1)
	v_cmp_ne_u32_e32 vcc_lo, 0x7f800000, v68
	v_mov_b32_e32 v68, 0x80
	s_and_saveexec_b32 s17, vcc_lo
	s_cbranch_execz .LBB4_9930
; %bb.9923:                             ;   in Loop: Header=BB4_9504 Depth=3
	v_mov_b32_e32 v68, 0
	s_mov_b32 s30, exec_lo
	v_cmpx_ne_u32_e32 0, v145
	s_cbranch_execz .LBB4_9929
; %bb.9924:                             ;   in Loop: Header=BB4_9504 Depth=3
	v_bfe_u32 v68, v145, 23, 8
	s_delay_alu instid0(VALU_DEP_1) | instskip(SKIP_1) | instid1(VALU_DEP_2)
	v_sub_nc_u32_e32 v163, 0x70, v68
	v_cmp_gt_u32_e32 vcc_lo, 0x71, v68
	v_dual_cndmask_b32 v163, 0, v163 :: v_dual_and_b32 v150, 0x7fffff, v145
	s_delay_alu instid0(VALU_DEP_1) | instskip(SKIP_2) | instid1(VALU_DEP_4)
	v_or_b32_e32 v164, 0x800000, v150
	v_cmp_eq_u32_e32 vcc_lo, 0, v68
	v_add_nc_u32_e32 v68, 0xffffff91, v68
	v_cndmask_b32_e64 v163, v163, 0x6f, vcc_lo
	s_delay_alu instid0(VALU_DEP_2) | instskip(SKIP_1) | instid1(VALU_DEP_3)
	v_cndmask_b32_e64 v68, v68, 0xffffff92, vcc_lo
	v_cndmask_b32_e32 v150, v164, v150, vcc_lo
	v_lshl_add_u32 v164, 0x200000, v163, -1
	v_lshlrev_b32_e64 v167, v163, 0x100000
	s_delay_alu instid0(VALU_DEP_3) | instskip(SKIP_1) | instid1(VALU_DEP_4)
	v_lshrrev_b32_e32 v165, v163, v150
	v_add_nc_u32_e32 v163, v163, v68
	v_and_b32_e32 v150, v164, v150
	s_delay_alu instid0(VALU_DEP_3) | instskip(NEXT) | instid1(VALU_DEP_2)
	v_bfe_u32 v166, v165, 21, 1
	v_cmp_eq_u32_e64 s13, v150, v167
	s_delay_alu instid0(VALU_DEP_2) | instskip(NEXT) | instid1(VALU_DEP_1)
	v_add_nc_u32_e32 v164, -1, v166
	v_cndmask_b32_e64 v150, 0, v164, s13
	v_lshrrev_b32_e32 v164, 23, v165
	s_mov_b32 s13, exec_lo
	s_delay_alu instid0(VALU_DEP_2) | instskip(NEXT) | instid1(VALU_DEP_2)
	v_add_nc_u32_e32 v150, v150, v165
	v_xor_b32_e32 v164, 1, v164
	s_delay_alu instid0(VALU_DEP_2) | instskip(NEXT) | instid1(VALU_DEP_1)
	v_and_b32_e32 v68, 0x1fffff, v150
	v_add_nc_u32_e32 v150, v68, v165
                                        ; implicit-def: $vgpr68
	s_delay_alu instid0(VALU_DEP_3)
	v_cmpx_ne_u32_e64 v163, v164
	s_xor_b32 s13, exec_lo, s13
; %bb.9925:                             ;   in Loop: Header=BB4_9504 Depth=3
	s_delay_alu instid0(VALU_DEP_2) | instskip(SKIP_2) | instid1(VALU_DEP_2)
	v_cmp_lt_u32_e32 vcc_lo, 0xffffff, v150
	v_sub_nc_u32_e32 v68, v163, v164
	v_cndmask_b32_e64 v163, 0, 1, vcc_lo
	v_add_co_ci_u32_e32 v68, vcc_lo, 0, v68, vcc_lo
	s_delay_alu instid0(VALU_DEP_2)
	v_lshrrev_b32_e32 v150, v163, v150
; %bb.9926:                             ;   in Loop: Header=BB4_9504 Depth=3
	s_and_not1_saveexec_b32 s13, s13
; %bb.9927:                             ;   in Loop: Header=BB4_9504 Depth=3
	s_delay_alu instid0(VALU_DEP_1)
	v_bfe_u32 v68, v150, 23, 1
; %bb.9928:                             ;   in Loop: Header=BB4_9504 Depth=3
	s_or_b32 exec_lo, exec_lo, s13
	v_lshrrev_b32_e32 v150, 21, v150
	s_delay_alu instid0(VALU_DEP_2) | instskip(SKIP_2) | instid1(VALU_DEP_2)
	v_cmp_gt_i32_e32 vcc_lo, 32, v68
	v_lshrrev_b32_e32 v145, 24, v145
	v_min_i32_e32 v163, 31, v68
	v_dual_cndmask_b32 v150, 3, v150 :: v_dual_and_b32 v145, 0x80, v145
	s_delay_alu instid0(VALU_DEP_1) | instskip(SKIP_1) | instid1(VALU_DEP_2)
	v_or_b32_e32 v68, v68, v150
	v_and_b32_e32 v164, 3, v150
	v_cmp_ne_u32_e32 vcc_lo, 0, v68
	v_lshlrev_b32_e32 v163, 2, v163
	s_delay_alu instid0(VALU_DEP_1) | instskip(NEXT) | instid1(VALU_DEP_1)
	v_or3_b32 v145, v163, v145, v164
	v_cndmask_b32_e32 v68, 0, v145, vcc_lo
.LBB4_9929:                             ;   in Loop: Header=BB4_9504 Depth=3
	s_or_b32 exec_lo, exec_lo, s30
.LBB4_9930:                             ;   in Loop: Header=BB4_9504 Depth=3
	s_delay_alu instid0(SALU_CYCLE_1) | instskip(SKIP_3) | instid1(VALU_DEP_1)
	s_or_b32 exec_lo, exec_lo, s17
	v_and_b32_e32 v150, 0xff, v67
	s_mov_b32 s13, 0
	s_mov_b32 s30, exec_lo
                                        ; implicit-def: $sgpr17
	v_cmpx_lt_i16_e64 0x7f, v150
	s_xor_b32 s30, exec_lo, s30
	s_cbranch_execnz .LBB4_10139
; %bb.9931:                             ;   in Loop: Header=BB4_9504 Depth=3
	s_or_saveexec_b32 s30, s30
	v_mov_b32_e32 v145, s17
	s_xor_b32 exec_lo, exec_lo, s30
	s_cbranch_execnz .LBB4_10142
.LBB4_9932:                             ;   in Loop: Header=BB4_9504 Depth=3
	s_or_b32 exec_lo, exec_lo, s30
	s_and_saveexec_b32 s17, s13
	s_cbranch_execz .LBB4_9934
.LBB4_9933:                             ;   in Loop: Header=BB4_9504 Depth=3
	v_lshrrev_b16 v164, 2, v67
	s_delay_alu instid0(VALU_DEP_1) | instskip(NEXT) | instid1(VALU_DEP_1)
	v_and_b32_e32 v164, 31, v164
	v_cmp_eq_u32_e32 vcc_lo, 0, v164
	v_and_b32_e32 v145, 3, v67
	s_delay_alu instid0(VALU_DEP_1) | instskip(NEXT) | instid1(VALU_DEP_1)
	v_clz_i32_u32_e32 v150, v145
	v_min_u32_e32 v150, 32, v150
	s_delay_alu instid0(VALU_DEP_1) | instskip(SKIP_1) | instid1(VALU_DEP_1)
	v_subrev_nc_u32_e32 v163, 29, v150
	v_sub_nc_u32_e32 v150, 30, v150
	v_dual_cndmask_b32 v150, v164, v150 :: v_dual_lshlrev_b32 v163, v163, v67
	v_lshlrev_b32_e32 v67, 24, v67
	s_delay_alu instid0(VALU_DEP_2) | instskip(NEXT) | instid1(VALU_DEP_3)
	v_and_b32_e32 v163, 3, v163
	v_lshl_add_u32 v150, v150, 23, 0x37800000
	s_delay_alu instid0(VALU_DEP_3) | instskip(NEXT) | instid1(VALU_DEP_3)
	v_and_b32_e32 v67, 0x80000000, v67
	v_cndmask_b32_e32 v145, v145, v163, vcc_lo
	s_delay_alu instid0(VALU_DEP_1) | instskip(NEXT) | instid1(VALU_DEP_1)
	v_lshlrev_b32_e32 v145, 21, v145
	v_or3_b32 v145, v67, v150, v145
.LBB4_9934:                             ;   in Loop: Header=BB4_9504 Depth=3
	s_or_b32 exec_lo, exec_lo, s17
	s_waitcnt vmcnt(1) lgkmcnt(1)
	v_and_b32_e32 v150, 0xff, v69
	s_mov_b32 s13, 0
	s_mov_b32 s30, exec_lo
                                        ; implicit-def: $sgpr17
	s_delay_alu instid0(VALU_DEP_1)
	v_cmpx_lt_i16_e64 0x7f, v150
	s_xor_b32 s30, exec_lo, s30
	s_cbranch_execnz .LBB4_10143
; %bb.9935:                             ;   in Loop: Header=BB4_9504 Depth=3
	s_or_saveexec_b32 s30, s30
	v_mov_b32_e32 v67, s17
	s_xor_b32 exec_lo, exec_lo, s30
	s_cbranch_execnz .LBB4_10146
.LBB4_9936:                             ;   in Loop: Header=BB4_9504 Depth=3
	s_or_b32 exec_lo, exec_lo, s30
	s_and_saveexec_b32 s17, s13
	s_cbranch_execz .LBB4_9938
.LBB4_9937:                             ;   in Loop: Header=BB4_9504 Depth=3
	v_lshrrev_b16 v164, 2, v69
	s_delay_alu instid0(VALU_DEP_1) | instskip(NEXT) | instid1(VALU_DEP_1)
	v_and_b32_e32 v164, 31, v164
	v_cmp_eq_u32_e32 vcc_lo, 0, v164
	v_and_b32_e32 v67, 3, v69
	s_delay_alu instid0(VALU_DEP_1) | instskip(NEXT) | instid1(VALU_DEP_1)
	v_clz_i32_u32_e32 v150, v67
	v_min_u32_e32 v150, 32, v150
	s_delay_alu instid0(VALU_DEP_1) | instskip(SKIP_1) | instid1(VALU_DEP_1)
	v_subrev_nc_u32_e32 v163, 29, v150
	v_sub_nc_u32_e32 v150, 30, v150
	v_dual_cndmask_b32 v150, v164, v150 :: v_dual_lshlrev_b32 v163, v163, v69
	v_lshlrev_b32_e32 v69, 24, v69
	s_delay_alu instid0(VALU_DEP_2) | instskip(NEXT) | instid1(VALU_DEP_3)
	v_and_b32_e32 v163, 3, v163
	v_lshl_add_u32 v150, v150, 23, 0x37800000
	s_delay_alu instid0(VALU_DEP_3) | instskip(NEXT) | instid1(VALU_DEP_3)
	v_and_b32_e32 v69, 0x80000000, v69
	v_cndmask_b32_e32 v67, v67, v163, vcc_lo
	s_delay_alu instid0(VALU_DEP_1) | instskip(NEXT) | instid1(VALU_DEP_1)
	v_lshlrev_b32_e32 v67, 21, v67
	v_or3_b32 v67, v69, v150, v67
.LBB4_9938:                             ;   in Loop: Header=BB4_9504 Depth=3
	s_or_b32 exec_lo, exec_lo, s17
	s_delay_alu instid0(VALU_DEP_1) | instskip(NEXT) | instid1(VALU_DEP_1)
	v_add_f32_e32 v69, v145, v67
	v_and_b32_e32 v67, 0x7f800000, v69
	s_delay_alu instid0(VALU_DEP_1)
	v_cmp_ne_u32_e32 vcc_lo, 0x7f800000, v67
	v_mov_b32_e32 v67, 0x80
	s_and_saveexec_b32 s17, vcc_lo
	s_cbranch_execz .LBB4_9946
; %bb.9939:                             ;   in Loop: Header=BB4_9504 Depth=3
	v_mov_b32_e32 v67, 0
	s_mov_b32 s30, exec_lo
	v_cmpx_ne_u32_e32 0, v69
	s_cbranch_execz .LBB4_9945
; %bb.9940:                             ;   in Loop: Header=BB4_9504 Depth=3
	v_bfe_u32 v67, v69, 23, 8
	s_delay_alu instid0(VALU_DEP_1) | instskip(SKIP_1) | instid1(VALU_DEP_2)
	v_sub_nc_u32_e32 v150, 0x70, v67
	v_cmp_gt_u32_e32 vcc_lo, 0x71, v67
	v_dual_cndmask_b32 v150, 0, v150 :: v_dual_and_b32 v145, 0x7fffff, v69
	s_delay_alu instid0(VALU_DEP_1) | instskip(SKIP_2) | instid1(VALU_DEP_4)
	v_or_b32_e32 v163, 0x800000, v145
	v_cmp_eq_u32_e32 vcc_lo, 0, v67
	v_add_nc_u32_e32 v67, 0xffffff91, v67
	v_cndmask_b32_e64 v150, v150, 0x6f, vcc_lo
	s_delay_alu instid0(VALU_DEP_2) | instskip(SKIP_1) | instid1(VALU_DEP_3)
	v_cndmask_b32_e64 v67, v67, 0xffffff92, vcc_lo
	v_cndmask_b32_e32 v145, v163, v145, vcc_lo
	v_lshl_add_u32 v163, 0x200000, v150, -1
	v_lshlrev_b32_e64 v166, v150, 0x100000
	s_delay_alu instid0(VALU_DEP_3) | instskip(SKIP_1) | instid1(VALU_DEP_4)
	v_lshrrev_b32_e32 v164, v150, v145
	v_add_nc_u32_e32 v150, v150, v67
	v_and_b32_e32 v145, v163, v145
	s_delay_alu instid0(VALU_DEP_3) | instskip(NEXT) | instid1(VALU_DEP_2)
	v_bfe_u32 v165, v164, 21, 1
	v_cmp_eq_u32_e64 s13, v145, v166
	s_delay_alu instid0(VALU_DEP_2) | instskip(NEXT) | instid1(VALU_DEP_1)
	v_add_nc_u32_e32 v163, -1, v165
	v_cndmask_b32_e64 v145, 0, v163, s13
	v_lshrrev_b32_e32 v163, 23, v164
	s_mov_b32 s13, exec_lo
	s_delay_alu instid0(VALU_DEP_2) | instskip(NEXT) | instid1(VALU_DEP_2)
	v_add_nc_u32_e32 v145, v145, v164
	v_xor_b32_e32 v163, 1, v163
	s_delay_alu instid0(VALU_DEP_2) | instskip(NEXT) | instid1(VALU_DEP_1)
	v_and_b32_e32 v67, 0x1fffff, v145
	v_add_nc_u32_e32 v145, v67, v164
                                        ; implicit-def: $vgpr67
	s_delay_alu instid0(VALU_DEP_3)
	v_cmpx_ne_u32_e64 v150, v163
	s_xor_b32 s13, exec_lo, s13
; %bb.9941:                             ;   in Loop: Header=BB4_9504 Depth=3
	s_delay_alu instid0(VALU_DEP_2) | instskip(SKIP_2) | instid1(VALU_DEP_2)
	v_cmp_lt_u32_e32 vcc_lo, 0xffffff, v145
	v_sub_nc_u32_e32 v67, v150, v163
	v_cndmask_b32_e64 v150, 0, 1, vcc_lo
	v_add_co_ci_u32_e32 v67, vcc_lo, 0, v67, vcc_lo
	s_delay_alu instid0(VALU_DEP_2)
	v_lshrrev_b32_e32 v145, v150, v145
; %bb.9942:                             ;   in Loop: Header=BB4_9504 Depth=3
	s_and_not1_saveexec_b32 s13, s13
; %bb.9943:                             ;   in Loop: Header=BB4_9504 Depth=3
	s_delay_alu instid0(VALU_DEP_1)
	v_bfe_u32 v67, v145, 23, 1
; %bb.9944:                             ;   in Loop: Header=BB4_9504 Depth=3
	s_or_b32 exec_lo, exec_lo, s13
	v_lshrrev_b32_e32 v145, 21, v145
	s_delay_alu instid0(VALU_DEP_2) | instskip(SKIP_2) | instid1(VALU_DEP_4)
	v_cmp_gt_i32_e32 vcc_lo, 32, v67
	v_lshrrev_b32_e32 v69, 24, v69
	v_min_i32_e32 v150, 31, v67
	v_cndmask_b32_e32 v145, 3, v145, vcc_lo
	s_delay_alu instid0(VALU_DEP_3) | instskip(NEXT) | instid1(VALU_DEP_3)
	v_and_b32_e32 v69, 0x80, v69
	v_lshlrev_b32_e32 v150, 2, v150
	s_delay_alu instid0(VALU_DEP_3) | instskip(SKIP_1) | instid1(VALU_DEP_2)
	v_and_b32_e32 v163, 3, v145
	v_or_b32_e32 v67, v67, v145
	v_or3_b32 v69, v150, v69, v163
	s_delay_alu instid0(VALU_DEP_2) | instskip(NEXT) | instid1(VALU_DEP_2)
	v_cmp_ne_u32_e32 vcc_lo, 0, v67
	v_cndmask_b32_e32 v67, 0, v69, vcc_lo
.LBB4_9945:                             ;   in Loop: Header=BB4_9504 Depth=3
	s_or_b32 exec_lo, exec_lo, s30
.LBB4_9946:                             ;   in Loop: Header=BB4_9504 Depth=3
	s_delay_alu instid0(SALU_CYCLE_1) | instskip(SKIP_3) | instid1(VALU_DEP_1)
	s_or_b32 exec_lo, exec_lo, s17
	v_and_b32_e32 v145, 0xff, v15
	s_mov_b32 s13, 0
	s_mov_b32 s30, exec_lo
                                        ; implicit-def: $sgpr17
	v_cmpx_lt_i16_e64 0x7f, v145
	s_xor_b32 s30, exec_lo, s30
	s_cbranch_execnz .LBB4_10147
; %bb.9947:                             ;   in Loop: Header=BB4_9504 Depth=3
	s_or_saveexec_b32 s30, s30
	v_mov_b32_e32 v69, s17
	s_xor_b32 exec_lo, exec_lo, s30
	s_cbranch_execnz .LBB4_10150
.LBB4_9948:                             ;   in Loop: Header=BB4_9504 Depth=3
	s_or_b32 exec_lo, exec_lo, s30
	s_and_saveexec_b32 s17, s13
	s_cbranch_execz .LBB4_9950
.LBB4_9949:                             ;   in Loop: Header=BB4_9504 Depth=3
	v_and_b32_e32 v69, 3, v15
	v_lshrrev_b16 v163, 2, v15
	s_delay_alu instid0(VALU_DEP_2) | instskip(NEXT) | instid1(VALU_DEP_2)
	v_clz_i32_u32_e32 v145, v69
	v_and_b32_e32 v163, 31, v163
	s_delay_alu instid0(VALU_DEP_2) | instskip(NEXT) | instid1(VALU_DEP_2)
	v_min_u32_e32 v145, 32, v145
	v_cmp_eq_u32_e32 vcc_lo, 0, v163
	s_delay_alu instid0(VALU_DEP_2) | instskip(SKIP_1) | instid1(VALU_DEP_1)
	v_subrev_nc_u32_e32 v150, 29, v145
	v_sub_nc_u32_e32 v145, 30, v145
	v_dual_cndmask_b32 v145, v163, v145 :: v_dual_lshlrev_b32 v150, v150, v15
	v_lshlrev_b32_e32 v15, 24, v15
	s_delay_alu instid0(VALU_DEP_2) | instskip(NEXT) | instid1(VALU_DEP_3)
	v_and_b32_e32 v150, 3, v150
	v_lshl_add_u32 v145, v145, 23, 0x37800000
	s_delay_alu instid0(VALU_DEP_3) | instskip(NEXT) | instid1(VALU_DEP_3)
	v_and_b32_e32 v15, 0x80000000, v15
	v_cndmask_b32_e32 v69, v69, v150, vcc_lo
	s_delay_alu instid0(VALU_DEP_1) | instskip(NEXT) | instid1(VALU_DEP_1)
	v_lshlrev_b32_e32 v69, 21, v69
	v_or3_b32 v69, v15, v145, v69
.LBB4_9950:                             ;   in Loop: Header=BB4_9504 Depth=3
	s_or_b32 exec_lo, exec_lo, s17
	s_waitcnt vmcnt(0) lgkmcnt(0)
	v_and_b32_e32 v145, 0xff, v14
	s_mov_b32 s13, 0
	s_mov_b32 s30, exec_lo
                                        ; implicit-def: $sgpr17
	s_delay_alu instid0(VALU_DEP_1)
	v_cmpx_lt_i16_e64 0x7f, v145
	s_xor_b32 s30, exec_lo, s30
	s_cbranch_execnz .LBB4_10151
; %bb.9951:                             ;   in Loop: Header=BB4_9504 Depth=3
	s_or_saveexec_b32 s30, s30
	v_mov_b32_e32 v15, s17
	s_xor_b32 exec_lo, exec_lo, s30
	s_cbranch_execnz .LBB4_10154
.LBB4_9952:                             ;   in Loop: Header=BB4_9504 Depth=3
	s_or_b32 exec_lo, exec_lo, s30
	s_and_saveexec_b32 s17, s13
	s_cbranch_execz .LBB4_9954
.LBB4_9953:                             ;   in Loop: Header=BB4_9504 Depth=3
	v_and_b32_e32 v15, 3, v14
	v_lshrrev_b16 v163, 2, v14
	s_delay_alu instid0(VALU_DEP_2) | instskip(NEXT) | instid1(VALU_DEP_2)
	v_clz_i32_u32_e32 v145, v15
	v_and_b32_e32 v163, 31, v163
	s_delay_alu instid0(VALU_DEP_2) | instskip(NEXT) | instid1(VALU_DEP_2)
	v_min_u32_e32 v145, 32, v145
	v_cmp_eq_u32_e32 vcc_lo, 0, v163
	s_delay_alu instid0(VALU_DEP_2) | instskip(SKIP_1) | instid1(VALU_DEP_1)
	v_subrev_nc_u32_e32 v150, 29, v145
	v_sub_nc_u32_e32 v145, 30, v145
	v_dual_cndmask_b32 v145, v163, v145 :: v_dual_lshlrev_b32 v150, v150, v14
	v_lshlrev_b32_e32 v14, 24, v14
	s_delay_alu instid0(VALU_DEP_2) | instskip(NEXT) | instid1(VALU_DEP_3)
	v_and_b32_e32 v150, 3, v150
	v_lshl_add_u32 v145, v145, 23, 0x37800000
	s_delay_alu instid0(VALU_DEP_3) | instskip(NEXT) | instid1(VALU_DEP_3)
	v_and_b32_e32 v14, 0x80000000, v14
	v_cndmask_b32_e32 v15, v15, v150, vcc_lo
	s_delay_alu instid0(VALU_DEP_1) | instskip(NEXT) | instid1(VALU_DEP_1)
	v_lshlrev_b32_e32 v15, 21, v15
	v_or3_b32 v15, v14, v145, v15
.LBB4_9954:                             ;   in Loop: Header=BB4_9504 Depth=3
	s_or_b32 exec_lo, exec_lo, s17
	s_delay_alu instid0(VALU_DEP_1) | instskip(NEXT) | instid1(VALU_DEP_1)
	v_add_f32_e32 v15, v69, v15
	v_and_b32_e32 v14, 0x7f800000, v15
	s_delay_alu instid0(VALU_DEP_1)
	v_cmp_ne_u32_e32 vcc_lo, 0x7f800000, v14
	v_mov_b32_e32 v14, 0x80
	s_and_saveexec_b32 s17, vcc_lo
	s_cbranch_execz .LBB4_9962
; %bb.9955:                             ;   in Loop: Header=BB4_9504 Depth=3
	v_mov_b32_e32 v14, 0
	s_mov_b32 s30, exec_lo
	v_cmpx_ne_u32_e32 0, v15
	s_cbranch_execz .LBB4_9961
; %bb.9956:                             ;   in Loop: Header=BB4_9504 Depth=3
	v_bfe_u32 v14, v15, 23, 8
	v_and_b32_e32 v69, 0x7fffff, v15
	s_delay_alu instid0(VALU_DEP_2) | instskip(SKIP_1) | instid1(VALU_DEP_3)
	v_sub_nc_u32_e32 v145, 0x70, v14
	v_cmp_gt_u32_e32 vcc_lo, 0x71, v14
	v_or_b32_e32 v150, 0x800000, v69
	s_delay_alu instid0(VALU_DEP_3) | instskip(SKIP_2) | instid1(VALU_DEP_3)
	v_cndmask_b32_e32 v145, 0, v145, vcc_lo
	v_cmp_eq_u32_e32 vcc_lo, 0, v14
	v_add_nc_u32_e32 v14, 0xffffff91, v14
	v_cndmask_b32_e64 v145, v145, 0x6f, vcc_lo
	v_cndmask_b32_e32 v69, v150, v69, vcc_lo
	s_delay_alu instid0(VALU_DEP_3) | instskip(NEXT) | instid1(VALU_DEP_3)
	v_cndmask_b32_e64 v14, v14, 0xffffff92, vcc_lo
	v_lshl_add_u32 v150, 0x200000, v145, -1
	s_delay_alu instid0(VALU_DEP_3) | instskip(SKIP_1) | instid1(VALU_DEP_4)
	v_lshrrev_b32_e32 v163, v145, v69
	v_lshlrev_b32_e64 v165, v145, 0x100000
	v_add_nc_u32_e32 v145, v145, v14
	s_delay_alu instid0(VALU_DEP_4) | instskip(NEXT) | instid1(VALU_DEP_4)
	v_and_b32_e32 v69, v150, v69
	v_bfe_u32 v164, v163, 21, 1
	s_delay_alu instid0(VALU_DEP_2) | instskip(NEXT) | instid1(VALU_DEP_2)
	v_cmp_eq_u32_e64 s13, v69, v165
	v_add_nc_u32_e32 v150, -1, v164
	s_delay_alu instid0(VALU_DEP_1) | instskip(SKIP_2) | instid1(VALU_DEP_2)
	v_cndmask_b32_e64 v69, 0, v150, s13
	v_lshrrev_b32_e32 v150, 23, v163
	s_mov_b32 s13, exec_lo
	v_add_nc_u32_e32 v69, v69, v163
	s_delay_alu instid0(VALU_DEP_2) | instskip(NEXT) | instid1(VALU_DEP_2)
	v_xor_b32_e32 v150, 1, v150
	v_and_b32_e32 v14, 0x1fffff, v69
	s_delay_alu instid0(VALU_DEP_1) | instskip(NEXT) | instid1(VALU_DEP_3)
	v_add_nc_u32_e32 v69, v14, v163
                                        ; implicit-def: $vgpr14
	v_cmpx_ne_u32_e64 v145, v150
	s_xor_b32 s13, exec_lo, s13
; %bb.9957:                             ;   in Loop: Header=BB4_9504 Depth=3
	s_delay_alu instid0(VALU_DEP_2) | instskip(SKIP_2) | instid1(VALU_DEP_2)
	v_cmp_lt_u32_e32 vcc_lo, 0xffffff, v69
	v_sub_nc_u32_e32 v14, v145, v150
	v_cndmask_b32_e64 v145, 0, 1, vcc_lo
	v_add_co_ci_u32_e32 v14, vcc_lo, 0, v14, vcc_lo
	s_delay_alu instid0(VALU_DEP_2)
	v_lshrrev_b32_e32 v69, v145, v69
; %bb.9958:                             ;   in Loop: Header=BB4_9504 Depth=3
	s_and_not1_saveexec_b32 s13, s13
; %bb.9959:                             ;   in Loop: Header=BB4_9504 Depth=3
	s_delay_alu instid0(VALU_DEP_1)
	v_bfe_u32 v14, v69, 23, 1
; %bb.9960:                             ;   in Loop: Header=BB4_9504 Depth=3
	s_or_b32 exec_lo, exec_lo, s13
	v_lshrrev_b32_e32 v69, 21, v69
	s_delay_alu instid0(VALU_DEP_2) | instskip(SKIP_2) | instid1(VALU_DEP_4)
	v_cmp_gt_i32_e32 vcc_lo, 32, v14
	v_lshrrev_b32_e32 v15, 24, v15
	v_min_i32_e32 v145, 31, v14
	v_cndmask_b32_e32 v69, 3, v69, vcc_lo
	s_delay_alu instid0(VALU_DEP_3) | instskip(NEXT) | instid1(VALU_DEP_3)
	v_and_b32_e32 v15, 0x80, v15
	v_lshlrev_b32_e32 v145, 2, v145
	s_delay_alu instid0(VALU_DEP_3) | instskip(SKIP_1) | instid1(VALU_DEP_2)
	v_and_b32_e32 v150, 3, v69
	v_or_b32_e32 v14, v14, v69
	v_or3_b32 v15, v145, v15, v150
	s_delay_alu instid0(VALU_DEP_2) | instskip(NEXT) | instid1(VALU_DEP_2)
	v_cmp_ne_u32_e32 vcc_lo, 0, v14
	v_cndmask_b32_e32 v14, 0, v15, vcc_lo
.LBB4_9961:                             ;   in Loop: Header=BB4_9504 Depth=3
	s_or_b32 exec_lo, exec_lo, s30
.LBB4_9962:                             ;   in Loop: Header=BB4_9504 Depth=3
	s_delay_alu instid0(SALU_CYCLE_1)
	s_or_b32 exec_lo, exec_lo, s17
	v_add_co_u32 v163, vcc_lo, 0xfffffe20, v12
	v_add_co_ci_u32_e32 v164, vcc_lo, -1, v13, vcc_lo
	v_add_co_u32 v165, vcc_lo, 0xfffffe40, v12
	v_add_co_ci_u32_e32 v166, vcc_lo, -1, v13, vcc_lo
	;; [unrolled: 2-line block ×5, first 2 shown]
	flat_store_b8 v[163:164], v66 glc slc dlc
	flat_store_b8 v[165:166], v134 glc slc dlc
	;; [unrolled: 1-line block ×5, first 2 shown]
	v_add_co_u32 v161, vcc_lo, 0xfffffec0, v12
	v_add_co_ci_u32_e32 v162, vcc_lo, -1, v13, vcc_lo
	v_add_co_u32 v163, vcc_lo, 0xfffffee0, v12
	v_add_co_ci_u32_e32 v164, vcc_lo, -1, v13, vcc_lo
	;; [unrolled: 2-line block ×5, first 2 shown]
	v_add_co_u32 v145, vcc_lo, 0xffffff60, v12
	flat_store_b8 v[161:162], v160 glc slc dlc
	flat_store_b8 v[163:164], v151 glc slc dlc
	;; [unrolled: 1-line block ×5, first 2 shown]
	v_add_co_ci_u32_e32 v146, vcc_lo, -1, v13, vcc_lo
	v_add_co_u32 v147, vcc_lo, 0xffffff80, v12
	v_add_co_ci_u32_e32 v148, vcc_lo, -1, v13, vcc_lo
	v_add_co_u32 v149, vcc_lo, 0xffffffa0, v12
	v_add_co_ci_u32_e32 v150, vcc_lo, -1, v13, vcc_lo
	v_add_co_u32 v160, vcc_lo, 0xffffffc0, v12
	v_add_co_ci_u32_e32 v161, vcc_lo, -1, v13, vcc_lo
	v_add_co_u32 v162, vcc_lo, 0xffffffe0, v12
	v_add_co_ci_u32_e32 v163, vcc_lo, -1, v13, vcc_lo
	v_add_co_u32 v8, vcc_lo, v8, v101
	v_sub_nc_u32_e32 v2, v2, v81
	v_add_co_ci_u32_e32 v9, vcc_lo, v9, v102, vcc_lo
	v_add_co_u32 v10, vcc_lo, v10, v101
	v_add_co_ci_u32_e32 v11, vcc_lo, v11, v102, vcc_lo
	flat_store_b8 v[145:146], v144 glc slc dlc
	flat_store_b8 v[147:148], v135 glc slc dlc
	flat_store_b8 v[149:150], v133 glc slc dlc
	flat_store_b8 v[160:161], v68 glc slc dlc
	flat_store_b8 v[162:163], v67 glc slc dlc
	flat_store_b8 v[12:13], v14 glc slc dlc
	v_cmp_gt_i32_e32 vcc_lo, 1, v2
	v_add_co_u32 v12, s13, v12, v101
	s_delay_alu instid0(VALU_DEP_1) | instskip(SKIP_1) | instid1(SALU_CYCLE_1)
	v_add_co_ci_u32_e64 v13, s13, v13, v102, s13
	s_or_b32 s16, vcc_lo, s16
	s_and_not1_b32 exec_lo, exec_lo, s16
	s_cbranch_execnz .LBB4_9504
	s_branch .LBB4_10155
.LBB4_9963:                             ;   in Loop: Header=BB4_9504 Depth=3
	s_mov_b32 s13, -1
	s_mov_b32 s31, exec_lo
                                        ; implicit-def: $sgpr17
	v_cmpx_eq_u16_e32 0x80, v14
; %bb.9964:                             ;   in Loop: Header=BB4_9504 Depth=3
	s_mov_b32 s17, 0x7f800001
	s_xor_b32 s13, exec_lo, -1
; %bb.9965:                             ;   in Loop: Header=BB4_9504 Depth=3
	s_or_b32 exec_lo, exec_lo, s31
	s_delay_alu instid0(SALU_CYCLE_1)
	s_and_b32 s13, s13, exec_lo
	s_or_saveexec_b32 s30, s30
	v_mov_b32_e32 v66, s17
	s_xor_b32 exec_lo, exec_lo, s30
	s_cbranch_execz .LBB4_9516
.LBB4_9966:                             ;   in Loop: Header=BB4_9504 Depth=3
	v_cmp_ne_u16_e32 vcc_lo, 0, v14
	v_mov_b32_e32 v66, 0
	s_and_not1_b32 s13, s13, exec_lo
	s_and_b32 s17, vcc_lo, exec_lo
	s_delay_alu instid0(SALU_CYCLE_1)
	s_or_b32 s13, s13, s17
	s_or_b32 exec_lo, exec_lo, s30
	s_and_saveexec_b32 s17, s13
	s_cbranch_execnz .LBB4_9517
	s_branch .LBB4_9518
.LBB4_9967:                             ;   in Loop: Header=BB4_9504 Depth=3
	s_mov_b32 s13, -1
	s_mov_b32 s31, exec_lo
                                        ; implicit-def: $sgpr17
	v_cmpx_eq_u16_e32 0x80, v14
; %bb.9968:                             ;   in Loop: Header=BB4_9504 Depth=3
	s_mov_b32 s17, 0x7f800001
	s_xor_b32 s13, exec_lo, -1
; %bb.9969:                             ;   in Loop: Header=BB4_9504 Depth=3
	s_or_b32 exec_lo, exec_lo, s31
	s_delay_alu instid0(SALU_CYCLE_1)
	s_and_b32 s13, s13, exec_lo
	s_or_saveexec_b32 s30, s30
	v_mov_b32_e32 v67, s17
	s_xor_b32 exec_lo, exec_lo, s30
	s_cbranch_execz .LBB4_9528
.LBB4_9970:                             ;   in Loop: Header=BB4_9504 Depth=3
	v_cmp_ne_u16_e32 vcc_lo, 0, v14
	v_mov_b32_e32 v67, 0
	s_and_not1_b32 s13, s13, exec_lo
	s_and_b32 s17, vcc_lo, exec_lo
	s_delay_alu instid0(SALU_CYCLE_1)
	s_or_b32 s13, s13, s17
	s_or_b32 exec_lo, exec_lo, s30
	s_and_saveexec_b32 s17, s13
	s_cbranch_execnz .LBB4_9529
	s_branch .LBB4_9530
.LBB4_9971:                             ;   in Loop: Header=BB4_9504 Depth=3
	s_mov_b32 s13, -1
	s_mov_b32 s31, exec_lo
                                        ; implicit-def: $sgpr17
	v_cmpx_eq_u16_e32 0x80, v14
; %bb.9972:                             ;   in Loop: Header=BB4_9504 Depth=3
	s_mov_b32 s17, 0x7f800001
	s_xor_b32 s13, exec_lo, -1
; %bb.9973:                             ;   in Loop: Header=BB4_9504 Depth=3
	s_or_b32 exec_lo, exec_lo, s31
	s_delay_alu instid0(SALU_CYCLE_1)
	s_and_b32 s13, s13, exec_lo
	s_or_saveexec_b32 s30, s30
	v_mov_b32_e32 v67, s17
	s_xor_b32 exec_lo, exec_lo, s30
	s_cbranch_execz .LBB4_9540
.LBB4_9974:                             ;   in Loop: Header=BB4_9504 Depth=3
	v_cmp_ne_u16_e32 vcc_lo, 0, v14
	v_mov_b32_e32 v67, 0
	s_and_not1_b32 s13, s13, exec_lo
	s_and_b32 s17, vcc_lo, exec_lo
	s_delay_alu instid0(SALU_CYCLE_1)
	s_or_b32 s13, s13, s17
	s_or_b32 exec_lo, exec_lo, s30
	s_and_saveexec_b32 s17, s13
	s_cbranch_execnz .LBB4_9541
	s_branch .LBB4_9542
.LBB4_9975:                             ;   in Loop: Header=BB4_9504 Depth=3
	s_mov_b32 s13, -1
	s_mov_b32 s31, exec_lo
                                        ; implicit-def: $sgpr17
	v_cmpx_eq_u16_e32 0x80, v14
; %bb.9976:                             ;   in Loop: Header=BB4_9504 Depth=3
	s_mov_b32 s17, 0x7f800001
	s_xor_b32 s13, exec_lo, -1
; %bb.9977:                             ;   in Loop: Header=BB4_9504 Depth=3
	s_or_b32 exec_lo, exec_lo, s31
	s_delay_alu instid0(SALU_CYCLE_1)
	s_and_b32 s13, s13, exec_lo
	s_or_saveexec_b32 s30, s30
	v_mov_b32_e32 v67, s17
	s_xor_b32 exec_lo, exec_lo, s30
	s_cbranch_execz .LBB4_9552
.LBB4_9978:                             ;   in Loop: Header=BB4_9504 Depth=3
	v_cmp_ne_u16_e32 vcc_lo, 0, v14
	v_mov_b32_e32 v67, 0
	s_and_not1_b32 s13, s13, exec_lo
	s_and_b32 s17, vcc_lo, exec_lo
	s_delay_alu instid0(SALU_CYCLE_1)
	s_or_b32 s13, s13, s17
	s_or_b32 exec_lo, exec_lo, s30
	s_and_saveexec_b32 s17, s13
	s_cbranch_execnz .LBB4_9553
	s_branch .LBB4_9554
.LBB4_9979:                             ;   in Loop: Header=BB4_9504 Depth=3
	s_mov_b32 s13, -1
	s_mov_b32 s31, exec_lo
                                        ; implicit-def: $sgpr17
	v_cmpx_eq_u16_e32 0x80, v14
; %bb.9980:                             ;   in Loop: Header=BB4_9504 Depth=3
	s_mov_b32 s17, 0x7f800001
	s_xor_b32 s13, exec_lo, -1
; %bb.9981:                             ;   in Loop: Header=BB4_9504 Depth=3
	s_or_b32 exec_lo, exec_lo, s31
	s_delay_alu instid0(SALU_CYCLE_1)
	s_and_b32 s13, s13, exec_lo
	s_or_saveexec_b32 s30, s30
	v_mov_b32_e32 v67, s17
	s_xor_b32 exec_lo, exec_lo, s30
	s_cbranch_execz .LBB4_9564
.LBB4_9982:                             ;   in Loop: Header=BB4_9504 Depth=3
	v_cmp_ne_u16_e32 vcc_lo, 0, v14
	v_mov_b32_e32 v67, 0
	s_and_not1_b32 s13, s13, exec_lo
	s_and_b32 s17, vcc_lo, exec_lo
	s_delay_alu instid0(SALU_CYCLE_1)
	s_or_b32 s13, s13, s17
	s_or_b32 exec_lo, exec_lo, s30
	s_and_saveexec_b32 s17, s13
	s_cbranch_execnz .LBB4_9565
	s_branch .LBB4_9566
.LBB4_9983:                             ;   in Loop: Header=BB4_9504 Depth=3
	s_mov_b32 s13, -1
	s_mov_b32 s31, exec_lo
                                        ; implicit-def: $sgpr17
	v_cmpx_eq_u16_e32 0x80, v14
; %bb.9984:                             ;   in Loop: Header=BB4_9504 Depth=3
	s_mov_b32 s17, 0x7f800001
	s_xor_b32 s13, exec_lo, -1
; %bb.9985:                             ;   in Loop: Header=BB4_9504 Depth=3
	s_or_b32 exec_lo, exec_lo, s31
	s_delay_alu instid0(SALU_CYCLE_1)
	s_and_b32 s13, s13, exec_lo
	s_or_saveexec_b32 s30, s30
	v_mov_b32_e32 v67, s17
	s_xor_b32 exec_lo, exec_lo, s30
	s_cbranch_execz .LBB4_9576
.LBB4_9986:                             ;   in Loop: Header=BB4_9504 Depth=3
	v_cmp_ne_u16_e32 vcc_lo, 0, v14
	v_mov_b32_e32 v67, 0
	s_and_not1_b32 s13, s13, exec_lo
	s_and_b32 s17, vcc_lo, exec_lo
	s_delay_alu instid0(SALU_CYCLE_1)
	s_or_b32 s13, s13, s17
	s_or_b32 exec_lo, exec_lo, s30
	s_and_saveexec_b32 s17, s13
	s_cbranch_execnz .LBB4_9577
	s_branch .LBB4_9578
.LBB4_9987:                             ;   in Loop: Header=BB4_9504 Depth=3
	s_mov_b32 s13, -1
	s_mov_b32 s31, exec_lo
                                        ; implicit-def: $sgpr17
	v_cmpx_eq_u16_e32 0x80, v14
; %bb.9988:                             ;   in Loop: Header=BB4_9504 Depth=3
	s_mov_b32 s17, 0x7f800001
	s_xor_b32 s13, exec_lo, -1
; %bb.9989:                             ;   in Loop: Header=BB4_9504 Depth=3
	s_or_b32 exec_lo, exec_lo, s31
	s_delay_alu instid0(SALU_CYCLE_1)
	s_and_b32 s13, s13, exec_lo
	s_or_saveexec_b32 s30, s30
	v_mov_b32_e32 v67, s17
	s_xor_b32 exec_lo, exec_lo, s30
	s_cbranch_execz .LBB4_9588
.LBB4_9990:                             ;   in Loop: Header=BB4_9504 Depth=3
	v_cmp_ne_u16_e32 vcc_lo, 0, v14
	v_mov_b32_e32 v67, 0
	s_and_not1_b32 s13, s13, exec_lo
	s_and_b32 s17, vcc_lo, exec_lo
	s_delay_alu instid0(SALU_CYCLE_1)
	s_or_b32 s13, s13, s17
	s_or_b32 exec_lo, exec_lo, s30
	s_and_saveexec_b32 s17, s13
	s_cbranch_execnz .LBB4_9589
	s_branch .LBB4_9590
.LBB4_9991:                             ;   in Loop: Header=BB4_9504 Depth=3
	s_mov_b32 s13, -1
	s_mov_b32 s31, exec_lo
                                        ; implicit-def: $sgpr17
	v_cmpx_eq_u16_e32 0x80, v14
; %bb.9992:                             ;   in Loop: Header=BB4_9504 Depth=3
	s_mov_b32 s17, 0x7f800001
	s_xor_b32 s13, exec_lo, -1
; %bb.9993:                             ;   in Loop: Header=BB4_9504 Depth=3
	s_or_b32 exec_lo, exec_lo, s31
	s_delay_alu instid0(SALU_CYCLE_1)
	s_and_b32 s13, s13, exec_lo
	s_or_saveexec_b32 s30, s30
	v_mov_b32_e32 v67, s17
	s_xor_b32 exec_lo, exec_lo, s30
	s_cbranch_execz .LBB4_9600
.LBB4_9994:                             ;   in Loop: Header=BB4_9504 Depth=3
	v_cmp_ne_u16_e32 vcc_lo, 0, v14
	v_mov_b32_e32 v67, 0
	s_and_not1_b32 s13, s13, exec_lo
	s_and_b32 s17, vcc_lo, exec_lo
	s_delay_alu instid0(SALU_CYCLE_1)
	s_or_b32 s13, s13, s17
	s_or_b32 exec_lo, exec_lo, s30
	s_and_saveexec_b32 s17, s13
	s_cbranch_execnz .LBB4_9601
	s_branch .LBB4_9602
.LBB4_9995:                             ;   in Loop: Header=BB4_9504 Depth=3
	s_mov_b32 s13, -1
	s_mov_b32 s31, exec_lo
                                        ; implicit-def: $sgpr17
	v_cmpx_eq_u16_e32 0x80, v14
; %bb.9996:                             ;   in Loop: Header=BB4_9504 Depth=3
	s_mov_b32 s17, 0x7f800001
	s_xor_b32 s13, exec_lo, -1
; %bb.9997:                             ;   in Loop: Header=BB4_9504 Depth=3
	s_or_b32 exec_lo, exec_lo, s31
	s_delay_alu instid0(SALU_CYCLE_1)
	s_and_b32 s13, s13, exec_lo
	s_or_saveexec_b32 s30, s30
	v_mov_b32_e32 v67, s17
	s_xor_b32 exec_lo, exec_lo, s30
	s_cbranch_execz .LBB4_9612
.LBB4_9998:                             ;   in Loop: Header=BB4_9504 Depth=3
	v_cmp_ne_u16_e32 vcc_lo, 0, v14
	v_mov_b32_e32 v67, 0
	s_and_not1_b32 s13, s13, exec_lo
	s_and_b32 s17, vcc_lo, exec_lo
	s_delay_alu instid0(SALU_CYCLE_1)
	s_or_b32 s13, s13, s17
	s_or_b32 exec_lo, exec_lo, s30
	s_and_saveexec_b32 s17, s13
	s_cbranch_execnz .LBB4_9613
	s_branch .LBB4_9614
.LBB4_9999:                             ;   in Loop: Header=BB4_9504 Depth=3
	s_mov_b32 s13, -1
	s_mov_b32 s31, exec_lo
                                        ; implicit-def: $sgpr17
	v_cmpx_eq_u16_e32 0x80, v14
; %bb.10000:                            ;   in Loop: Header=BB4_9504 Depth=3
	s_mov_b32 s17, 0x7f800001
	s_xor_b32 s13, exec_lo, -1
; %bb.10001:                            ;   in Loop: Header=BB4_9504 Depth=3
	s_or_b32 exec_lo, exec_lo, s31
	s_delay_alu instid0(SALU_CYCLE_1)
	s_and_b32 s13, s13, exec_lo
	s_or_saveexec_b32 s30, s30
	v_mov_b32_e32 v67, s17
	s_xor_b32 exec_lo, exec_lo, s30
	s_cbranch_execz .LBB4_9624
.LBB4_10002:                            ;   in Loop: Header=BB4_9504 Depth=3
	v_cmp_ne_u16_e32 vcc_lo, 0, v14
	v_mov_b32_e32 v67, 0
	s_and_not1_b32 s13, s13, exec_lo
	s_and_b32 s17, vcc_lo, exec_lo
	s_delay_alu instid0(SALU_CYCLE_1)
	s_or_b32 s13, s13, s17
	s_or_b32 exec_lo, exec_lo, s30
	s_and_saveexec_b32 s17, s13
	s_cbranch_execnz .LBB4_9625
	s_branch .LBB4_9626
.LBB4_10003:                            ;   in Loop: Header=BB4_9504 Depth=3
	s_mov_b32 s13, -1
	s_mov_b32 s31, exec_lo
                                        ; implicit-def: $sgpr17
	v_cmpx_eq_u16_e32 0x80, v14
; %bb.10004:                            ;   in Loop: Header=BB4_9504 Depth=3
	s_mov_b32 s17, 0x7f800001
	s_xor_b32 s13, exec_lo, -1
; %bb.10005:                            ;   in Loop: Header=BB4_9504 Depth=3
	s_or_b32 exec_lo, exec_lo, s31
	s_delay_alu instid0(SALU_CYCLE_1)
	s_and_b32 s13, s13, exec_lo
	s_or_saveexec_b32 s30, s30
	v_mov_b32_e32 v67, s17
	s_xor_b32 exec_lo, exec_lo, s30
	s_cbranch_execz .LBB4_9636
.LBB4_10006:                            ;   in Loop: Header=BB4_9504 Depth=3
	v_cmp_ne_u16_e32 vcc_lo, 0, v14
	v_mov_b32_e32 v67, 0
	s_and_not1_b32 s13, s13, exec_lo
	s_and_b32 s17, vcc_lo, exec_lo
	s_delay_alu instid0(SALU_CYCLE_1)
	s_or_b32 s13, s13, s17
	s_or_b32 exec_lo, exec_lo, s30
	s_and_saveexec_b32 s17, s13
	s_cbranch_execnz .LBB4_9637
	s_branch .LBB4_9638
.LBB4_10007:                            ;   in Loop: Header=BB4_9504 Depth=3
	s_mov_b32 s13, -1
	s_mov_b32 s31, exec_lo
                                        ; implicit-def: $sgpr17
	v_cmpx_eq_u16_e32 0x80, v14
; %bb.10008:                            ;   in Loop: Header=BB4_9504 Depth=3
	s_mov_b32 s17, 0x7f800001
	s_xor_b32 s13, exec_lo, -1
; %bb.10009:                            ;   in Loop: Header=BB4_9504 Depth=3
	s_or_b32 exec_lo, exec_lo, s31
	s_delay_alu instid0(SALU_CYCLE_1)
	s_and_b32 s13, s13, exec_lo
	s_or_saveexec_b32 s30, s30
	v_mov_b32_e32 v67, s17
	s_xor_b32 exec_lo, exec_lo, s30
	s_cbranch_execz .LBB4_9648
.LBB4_10010:                            ;   in Loop: Header=BB4_9504 Depth=3
	v_cmp_ne_u16_e32 vcc_lo, 0, v14
	v_mov_b32_e32 v67, 0
	s_and_not1_b32 s13, s13, exec_lo
	s_and_b32 s17, vcc_lo, exec_lo
	s_delay_alu instid0(SALU_CYCLE_1)
	s_or_b32 s13, s13, s17
	s_or_b32 exec_lo, exec_lo, s30
	s_and_saveexec_b32 s17, s13
	s_cbranch_execnz .LBB4_9649
	s_branch .LBB4_9650
.LBB4_10011:                            ;   in Loop: Header=BB4_9504 Depth=3
	s_mov_b32 s13, -1
	s_mov_b32 s31, exec_lo
                                        ; implicit-def: $sgpr17
	v_cmpx_eq_u16_e32 0x80, v14
; %bb.10012:                            ;   in Loop: Header=BB4_9504 Depth=3
	s_mov_b32 s17, 0x7f800001
	s_xor_b32 s13, exec_lo, -1
; %bb.10013:                            ;   in Loop: Header=BB4_9504 Depth=3
	s_or_b32 exec_lo, exec_lo, s31
	s_delay_alu instid0(SALU_CYCLE_1)
	s_and_b32 s13, s13, exec_lo
	s_or_saveexec_b32 s30, s30
	v_mov_b32_e32 v67, s17
	s_xor_b32 exec_lo, exec_lo, s30
	s_cbranch_execz .LBB4_9660
.LBB4_10014:                            ;   in Loop: Header=BB4_9504 Depth=3
	v_cmp_ne_u16_e32 vcc_lo, 0, v14
	v_mov_b32_e32 v67, 0
	s_and_not1_b32 s13, s13, exec_lo
	s_and_b32 s17, vcc_lo, exec_lo
	s_delay_alu instid0(SALU_CYCLE_1)
	s_or_b32 s13, s13, s17
	s_or_b32 exec_lo, exec_lo, s30
	s_and_saveexec_b32 s17, s13
	s_cbranch_execnz .LBB4_9661
	s_branch .LBB4_9662
.LBB4_10015:                            ;   in Loop: Header=BB4_9504 Depth=3
	s_mov_b32 s13, -1
	s_mov_b32 s31, exec_lo
                                        ; implicit-def: $sgpr17
	v_cmpx_eq_u16_e32 0x80, v14
; %bb.10016:                            ;   in Loop: Header=BB4_9504 Depth=3
	s_mov_b32 s17, 0x7f800001
	s_xor_b32 s13, exec_lo, -1
; %bb.10017:                            ;   in Loop: Header=BB4_9504 Depth=3
	s_or_b32 exec_lo, exec_lo, s31
	s_delay_alu instid0(SALU_CYCLE_1)
	s_and_b32 s13, s13, exec_lo
	s_or_saveexec_b32 s30, s30
	v_mov_b32_e32 v67, s17
	s_xor_b32 exec_lo, exec_lo, s30
	s_cbranch_execz .LBB4_9672
.LBB4_10018:                            ;   in Loop: Header=BB4_9504 Depth=3
	v_cmp_ne_u16_e32 vcc_lo, 0, v14
	v_mov_b32_e32 v67, 0
	s_and_not1_b32 s13, s13, exec_lo
	s_and_b32 s17, vcc_lo, exec_lo
	s_delay_alu instid0(SALU_CYCLE_1)
	s_or_b32 s13, s13, s17
	s_or_b32 exec_lo, exec_lo, s30
	s_and_saveexec_b32 s17, s13
	s_cbranch_execnz .LBB4_9673
	s_branch .LBB4_9674
.LBB4_10019:                            ;   in Loop: Header=BB4_9504 Depth=3
	s_mov_b32 s13, -1
	s_mov_b32 s31, exec_lo
                                        ; implicit-def: $sgpr17
	v_cmpx_eq_u16_e32 0x80, v14
; %bb.10020:                            ;   in Loop: Header=BB4_9504 Depth=3
	s_mov_b32 s17, 0x7f800001
	s_xor_b32 s13, exec_lo, -1
; %bb.10021:                            ;   in Loop: Header=BB4_9504 Depth=3
	s_or_b32 exec_lo, exec_lo, s31
	s_delay_alu instid0(SALU_CYCLE_1)
	s_and_b32 s13, s13, exec_lo
	s_or_saveexec_b32 s30, s30
	v_mov_b32_e32 v67, s17
	s_xor_b32 exec_lo, exec_lo, s30
	s_cbranch_execz .LBB4_9684
.LBB4_10022:                            ;   in Loop: Header=BB4_9504 Depth=3
	v_cmp_ne_u16_e32 vcc_lo, 0, v14
	v_mov_b32_e32 v67, 0
	s_and_not1_b32 s13, s13, exec_lo
	s_and_b32 s17, vcc_lo, exec_lo
	s_delay_alu instid0(SALU_CYCLE_1)
	s_or_b32 s13, s13, s17
	s_or_b32 exec_lo, exec_lo, s30
	s_and_saveexec_b32 s17, s13
	s_cbranch_execnz .LBB4_9685
	s_branch .LBB4_9686
.LBB4_10023:                            ;   in Loop: Header=BB4_9504 Depth=3
	s_mov_b32 s13, -1
	s_mov_b32 s31, exec_lo
                                        ; implicit-def: $sgpr17
	v_cmpx_eq_u16_e32 0x80, v14
; %bb.10024:                            ;   in Loop: Header=BB4_9504 Depth=3
	s_mov_b32 s17, 0x7f800001
	s_xor_b32 s13, exec_lo, -1
; %bb.10025:                            ;   in Loop: Header=BB4_9504 Depth=3
	s_or_b32 exec_lo, exec_lo, s31
	s_delay_alu instid0(SALU_CYCLE_1)
	s_and_b32 s13, s13, exec_lo
	s_or_saveexec_b32 s30, s30
	v_mov_b32_e32 v69, s17
	s_xor_b32 exec_lo, exec_lo, s30
	s_cbranch_execz .LBB4_9696
.LBB4_10026:                            ;   in Loop: Header=BB4_9504 Depth=3
	v_cmp_ne_u16_e32 vcc_lo, 0, v14
	v_mov_b32_e32 v69, 0
	s_and_not1_b32 s13, s13, exec_lo
	s_and_b32 s17, vcc_lo, exec_lo
	s_delay_alu instid0(SALU_CYCLE_1)
	s_or_b32 s13, s13, s17
	s_or_b32 exec_lo, exec_lo, s30
	s_and_saveexec_b32 s17, s13
	s_cbranch_execnz .LBB4_9697
	s_branch .LBB4_9698
.LBB4_10027:                            ;   in Loop: Header=BB4_9504 Depth=3
	s_mov_b32 s13, -1
	s_mov_b32 s31, exec_lo
                                        ; implicit-def: $sgpr17
	v_cmpx_eq_u16_e32 0x80, v40
; %bb.10028:                            ;   in Loop: Header=BB4_9504 Depth=3
	s_mov_b32 s17, 0x7f800001
	s_xor_b32 s13, exec_lo, -1
; %bb.10029:                            ;   in Loop: Header=BB4_9504 Depth=3
	s_or_b32 exec_lo, exec_lo, s31
	s_delay_alu instid0(SALU_CYCLE_1)
	s_and_b32 s13, s13, exec_lo
                                        ; implicit-def: $vgpr40
	s_or_saveexec_b32 s30, s30
	v_mov_b32_e32 v183, s17
	s_xor_b32 exec_lo, exec_lo, s30
	s_cbranch_execz .LBB4_9708
.LBB4_10030:                            ;   in Loop: Header=BB4_9504 Depth=3
	v_cmp_ne_u16_e32 vcc_lo, 0, v40
	v_mov_b32_e32 v183, 0
	s_and_not1_b32 s13, s13, exec_lo
	s_and_b32 s17, vcc_lo, exec_lo
	s_delay_alu instid0(SALU_CYCLE_1)
	s_or_b32 s13, s13, s17
	s_or_b32 exec_lo, exec_lo, s30
	s_and_saveexec_b32 s17, s13
	s_cbranch_execnz .LBB4_9709
	s_branch .LBB4_9710
.LBB4_10031:                            ;   in Loop: Header=BB4_9504 Depth=3
	s_mov_b32 s13, -1
	s_mov_b32 s31, exec_lo
                                        ; implicit-def: $sgpr17
	v_cmpx_eq_u16_e32 0x80, v40
; %bb.10032:                            ;   in Loop: Header=BB4_9504 Depth=3
	s_mov_b32 s17, 0x7f800001
	s_xor_b32 s13, exec_lo, -1
; %bb.10033:                            ;   in Loop: Header=BB4_9504 Depth=3
	s_or_b32 exec_lo, exec_lo, s31
	s_delay_alu instid0(SALU_CYCLE_1)
	s_and_b32 s13, s13, exec_lo
                                        ; implicit-def: $vgpr40
	s_or_saveexec_b32 s30, s30
	v_mov_b32_e32 v66, s17
	s_xor_b32 exec_lo, exec_lo, s30
	s_cbranch_execz .LBB4_9712
.LBB4_10034:                            ;   in Loop: Header=BB4_9504 Depth=3
	v_cmp_ne_u16_e32 vcc_lo, 0, v40
	v_mov_b32_e32 v66, 0
	s_and_not1_b32 s13, s13, exec_lo
	s_and_b32 s17, vcc_lo, exec_lo
	s_delay_alu instid0(SALU_CYCLE_1)
	s_or_b32 s13, s13, s17
	s_or_b32 exec_lo, exec_lo, s30
	s_and_saveexec_b32 s17, s13
	s_cbranch_execnz .LBB4_9713
	s_branch .LBB4_9714
.LBB4_10035:                            ;   in Loop: Header=BB4_9504 Depth=3
	s_mov_b32 s13, -1
	s_mov_b32 s31, exec_lo
                                        ; implicit-def: $sgpr17
	v_cmpx_eq_u16_e64 0x80, v183
; %bb.10036:                            ;   in Loop: Header=BB4_9504 Depth=3
	s_mov_b32 s17, 0x7f800001
	s_xor_b32 s13, exec_lo, -1
; %bb.10037:                            ;   in Loop: Header=BB4_9504 Depth=3
	s_or_b32 exec_lo, exec_lo, s31
	s_delay_alu instid0(SALU_CYCLE_1)
	s_and_b32 s13, s13, exec_lo
                                        ; implicit-def: $vgpr183
	s_or_saveexec_b32 s30, s30
	v_mov_b32_e32 v182, s17
	s_xor_b32 exec_lo, exec_lo, s30
	s_cbranch_execz .LBB4_9724
.LBB4_10038:                            ;   in Loop: Header=BB4_9504 Depth=3
	v_cmp_ne_u16_e64 vcc_lo, 0, v183
	v_mov_b32_e32 v182, 0
	s_and_not1_b32 s13, s13, exec_lo
	s_delay_alu instid0(VALU_DEP_2) | instskip(NEXT) | instid1(SALU_CYCLE_1)
	s_and_b32 s17, vcc_lo, exec_lo
	s_or_b32 s13, s13, s17
	s_or_b32 exec_lo, exec_lo, s30
	s_and_saveexec_b32 s17, s13
	s_cbranch_execnz .LBB4_9725
	s_branch .LBB4_9726
.LBB4_10039:                            ;   in Loop: Header=BB4_9504 Depth=3
	s_mov_b32 s13, -1
	s_mov_b32 s31, exec_lo
                                        ; implicit-def: $sgpr17
	v_cmpx_eq_u16_e64 0x80, v183
; %bb.10040:                            ;   in Loop: Header=BB4_9504 Depth=3
	s_mov_b32 s17, 0x7f800001
	s_xor_b32 s13, exec_lo, -1
; %bb.10041:                            ;   in Loop: Header=BB4_9504 Depth=3
	s_or_b32 exec_lo, exec_lo, s31
	s_delay_alu instid0(SALU_CYCLE_1)
	s_and_b32 s13, s13, exec_lo
                                        ; implicit-def: $vgpr183
	s_or_saveexec_b32 s30, s30
	v_mov_b32_e32 v134, s17
	s_xor_b32 exec_lo, exec_lo, s30
	s_cbranch_execz .LBB4_9728
.LBB4_10042:                            ;   in Loop: Header=BB4_9504 Depth=3
	v_cmp_ne_u16_e64 vcc_lo, 0, v183
	v_mov_b32_e32 v134, 0
	s_and_not1_b32 s13, s13, exec_lo
	s_delay_alu instid0(VALU_DEP_2) | instskip(NEXT) | instid1(SALU_CYCLE_1)
	s_and_b32 s17, vcc_lo, exec_lo
	s_or_b32 s13, s13, s17
	s_or_b32 exec_lo, exec_lo, s30
	s_and_saveexec_b32 s17, s13
	s_cbranch_execnz .LBB4_9729
	s_branch .LBB4_9730
.LBB4_10043:                            ;   in Loop: Header=BB4_9504 Depth=3
	s_mov_b32 s13, -1
	s_mov_b32 s31, exec_lo
                                        ; implicit-def: $sgpr17
	v_cmpx_eq_u16_e64 0x80, v182
; %bb.10044:                            ;   in Loop: Header=BB4_9504 Depth=3
	s_mov_b32 s17, 0x7f800001
	s_xor_b32 s13, exec_lo, -1
; %bb.10045:                            ;   in Loop: Header=BB4_9504 Depth=3
	s_or_b32 exec_lo, exec_lo, s31
	s_delay_alu instid0(SALU_CYCLE_1)
	s_and_b32 s13, s13, exec_lo
                                        ; implicit-def: $vgpr182
	s_or_saveexec_b32 s30, s30
	v_mov_b32_e32 v181, s17
	s_xor_b32 exec_lo, exec_lo, s30
	s_cbranch_execz .LBB4_9740
.LBB4_10046:                            ;   in Loop: Header=BB4_9504 Depth=3
	v_cmp_ne_u16_e64 vcc_lo, 0, v182
	v_mov_b32_e32 v181, 0
	s_and_not1_b32 s13, s13, exec_lo
	s_delay_alu instid0(VALU_DEP_2) | instskip(NEXT) | instid1(SALU_CYCLE_1)
	s_and_b32 s17, vcc_lo, exec_lo
	s_or_b32 s13, s13, s17
	s_or_b32 exec_lo, exec_lo, s30
	s_and_saveexec_b32 s17, s13
	s_cbranch_execnz .LBB4_9741
	s_branch .LBB4_9742
.LBB4_10047:                            ;   in Loop: Header=BB4_9504 Depth=3
	s_mov_b32 s13, -1
	s_mov_b32 s31, exec_lo
                                        ; implicit-def: $sgpr17
	v_cmpx_eq_u16_e64 0x80, v182
; %bb.10048:                            ;   in Loop: Header=BB4_9504 Depth=3
	s_mov_b32 s17, 0x7f800001
	s_xor_b32 s13, exec_lo, -1
; %bb.10049:                            ;   in Loop: Header=BB4_9504 Depth=3
	s_or_b32 exec_lo, exec_lo, s31
	s_delay_alu instid0(SALU_CYCLE_1)
	s_and_b32 s13, s13, exec_lo
                                        ; implicit-def: $vgpr182
	s_or_saveexec_b32 s30, s30
	v_mov_b32_e32 v148, s17
	s_xor_b32 exec_lo, exec_lo, s30
	s_cbranch_execz .LBB4_9744
.LBB4_10050:                            ;   in Loop: Header=BB4_9504 Depth=3
	v_cmp_ne_u16_e64 vcc_lo, 0, v182
	v_mov_b32_e32 v148, 0
	s_and_not1_b32 s13, s13, exec_lo
	s_delay_alu instid0(VALU_DEP_2) | instskip(NEXT) | instid1(SALU_CYCLE_1)
	s_and_b32 s17, vcc_lo, exec_lo
	s_or_b32 s13, s13, s17
	s_or_b32 exec_lo, exec_lo, s30
	s_and_saveexec_b32 s17, s13
	s_cbranch_execnz .LBB4_9745
	s_branch .LBB4_9746
.LBB4_10051:                            ;   in Loop: Header=BB4_9504 Depth=3
	s_mov_b32 s13, -1
	s_mov_b32 s31, exec_lo
                                        ; implicit-def: $sgpr17
	v_cmpx_eq_u16_e64 0x80, v181
; %bb.10052:                            ;   in Loop: Header=BB4_9504 Depth=3
	s_mov_b32 s17, 0x7f800001
	s_xor_b32 s13, exec_lo, -1
; %bb.10053:                            ;   in Loop: Header=BB4_9504 Depth=3
	s_or_b32 exec_lo, exec_lo, s31
	s_delay_alu instid0(SALU_CYCLE_1)
	s_and_b32 s13, s13, exec_lo
                                        ; implicit-def: $vgpr181
	s_or_saveexec_b32 s30, s30
	v_mov_b32_e32 v180, s17
	s_xor_b32 exec_lo, exec_lo, s30
	s_cbranch_execz .LBB4_9756
.LBB4_10054:                            ;   in Loop: Header=BB4_9504 Depth=3
	v_cmp_ne_u16_e64 vcc_lo, 0, v181
	v_mov_b32_e32 v180, 0
	s_and_not1_b32 s13, s13, exec_lo
	s_delay_alu instid0(VALU_DEP_2) | instskip(NEXT) | instid1(SALU_CYCLE_1)
	s_and_b32 s17, vcc_lo, exec_lo
	s_or_b32 s13, s13, s17
	s_or_b32 exec_lo, exec_lo, s30
	s_and_saveexec_b32 s17, s13
	s_cbranch_execnz .LBB4_9757
	s_branch .LBB4_9758
.LBB4_10055:                            ;   in Loop: Header=BB4_9504 Depth=3
	s_mov_b32 s13, -1
	s_mov_b32 s31, exec_lo
                                        ; implicit-def: $sgpr17
	v_cmpx_eq_u16_e64 0x80, v181
; %bb.10056:                            ;   in Loop: Header=BB4_9504 Depth=3
	s_mov_b32 s17, 0x7f800001
	s_xor_b32 s13, exec_lo, -1
; %bb.10057:                            ;   in Loop: Header=BB4_9504 Depth=3
	s_or_b32 exec_lo, exec_lo, s31
	s_delay_alu instid0(SALU_CYCLE_1)
	s_and_b32 s13, s13, exec_lo
                                        ; implicit-def: $vgpr181
	s_or_saveexec_b32 s30, s30
	v_mov_b32_e32 v161, s17
	s_xor_b32 exec_lo, exec_lo, s30
	s_cbranch_execz .LBB4_9760
.LBB4_10058:                            ;   in Loop: Header=BB4_9504 Depth=3
	v_cmp_ne_u16_e64 vcc_lo, 0, v181
	v_mov_b32_e32 v161, 0
	s_and_not1_b32 s13, s13, exec_lo
	s_delay_alu instid0(VALU_DEP_2) | instskip(NEXT) | instid1(SALU_CYCLE_1)
	s_and_b32 s17, vcc_lo, exec_lo
	s_or_b32 s13, s13, s17
	s_or_b32 exec_lo, exec_lo, s30
	s_and_saveexec_b32 s17, s13
	s_cbranch_execnz .LBB4_9761
	s_branch .LBB4_9762
.LBB4_10059:                            ;   in Loop: Header=BB4_9504 Depth=3
	s_mov_b32 s13, -1
	s_mov_b32 s31, exec_lo
                                        ; implicit-def: $sgpr17
	v_cmpx_eq_u16_e64 0x80, v180
; %bb.10060:                            ;   in Loop: Header=BB4_9504 Depth=3
	s_mov_b32 s17, 0x7f800001
	s_xor_b32 s13, exec_lo, -1
; %bb.10061:                            ;   in Loop: Header=BB4_9504 Depth=3
	s_or_b32 exec_lo, exec_lo, s31
	s_delay_alu instid0(SALU_CYCLE_1)
	s_and_b32 s13, s13, exec_lo
                                        ; implicit-def: $vgpr180
	s_or_saveexec_b32 s30, s30
	v_mov_b32_e32 v179, s17
	s_xor_b32 exec_lo, exec_lo, s30
	s_cbranch_execz .LBB4_9772
.LBB4_10062:                            ;   in Loop: Header=BB4_9504 Depth=3
	v_cmp_ne_u16_e64 vcc_lo, 0, v180
	v_mov_b32_e32 v179, 0
	s_and_not1_b32 s13, s13, exec_lo
	s_delay_alu instid0(VALU_DEP_2) | instskip(NEXT) | instid1(SALU_CYCLE_1)
	s_and_b32 s17, vcc_lo, exec_lo
	s_or_b32 s13, s13, s17
	s_or_b32 exec_lo, exec_lo, s30
	s_and_saveexec_b32 s17, s13
	s_cbranch_execnz .LBB4_9773
	s_branch .LBB4_9774
.LBB4_10063:                            ;   in Loop: Header=BB4_9504 Depth=3
	s_mov_b32 s13, -1
	s_mov_b32 s31, exec_lo
                                        ; implicit-def: $sgpr17
	v_cmpx_eq_u16_e64 0x80, v180
; %bb.10064:                            ;   in Loop: Header=BB4_9504 Depth=3
	s_mov_b32 s17, 0x7f800001
	s_xor_b32 s13, exec_lo, -1
; %bb.10065:                            ;   in Loop: Header=BB4_9504 Depth=3
	s_or_b32 exec_lo, exec_lo, s31
	s_delay_alu instid0(SALU_CYCLE_1)
	s_and_b32 s13, s13, exec_lo
                                        ; implicit-def: $vgpr180
	s_or_saveexec_b32 s30, s30
	v_mov_b32_e32 v162, s17
	s_xor_b32 exec_lo, exec_lo, s30
	s_cbranch_execz .LBB4_9776
.LBB4_10066:                            ;   in Loop: Header=BB4_9504 Depth=3
	v_cmp_ne_u16_e64 vcc_lo, 0, v180
	v_mov_b32_e32 v162, 0
	s_and_not1_b32 s13, s13, exec_lo
	s_delay_alu instid0(VALU_DEP_2) | instskip(NEXT) | instid1(SALU_CYCLE_1)
	s_and_b32 s17, vcc_lo, exec_lo
	s_or_b32 s13, s13, s17
	s_or_b32 exec_lo, exec_lo, s30
	s_and_saveexec_b32 s17, s13
	s_cbranch_execnz .LBB4_9777
	s_branch .LBB4_9778
.LBB4_10067:                            ;   in Loop: Header=BB4_9504 Depth=3
	s_mov_b32 s13, -1
	s_mov_b32 s31, exec_lo
                                        ; implicit-def: $sgpr17
	v_cmpx_eq_u16_e64 0x80, v179
; %bb.10068:                            ;   in Loop: Header=BB4_9504 Depth=3
	s_mov_b32 s17, 0x7f800001
	s_xor_b32 s13, exec_lo, -1
; %bb.10069:                            ;   in Loop: Header=BB4_9504 Depth=3
	s_or_b32 exec_lo, exec_lo, s31
	s_delay_alu instid0(SALU_CYCLE_1)
	s_and_b32 s13, s13, exec_lo
                                        ; implicit-def: $vgpr179
	s_or_saveexec_b32 s30, s30
	v_mov_b32_e32 v178, s17
	s_xor_b32 exec_lo, exec_lo, s30
	s_cbranch_execz .LBB4_9788
.LBB4_10070:                            ;   in Loop: Header=BB4_9504 Depth=3
	v_cmp_ne_u16_e64 vcc_lo, 0, v179
	v_mov_b32_e32 v178, 0
	s_and_not1_b32 s13, s13, exec_lo
	s_delay_alu instid0(VALU_DEP_2) | instskip(NEXT) | instid1(SALU_CYCLE_1)
	s_and_b32 s17, vcc_lo, exec_lo
	s_or_b32 s13, s13, s17
	s_or_b32 exec_lo, exec_lo, s30
	s_and_saveexec_b32 s17, s13
	s_cbranch_execnz .LBB4_9789
	s_branch .LBB4_9790
.LBB4_10071:                            ;   in Loop: Header=BB4_9504 Depth=3
	s_mov_b32 s13, -1
	s_mov_b32 s31, exec_lo
                                        ; implicit-def: $sgpr17
	v_cmpx_eq_u16_e64 0x80, v179
; %bb.10072:                            ;   in Loop: Header=BB4_9504 Depth=3
	s_mov_b32 s17, 0x7f800001
	s_xor_b32 s13, exec_lo, -1
; %bb.10073:                            ;   in Loop: Header=BB4_9504 Depth=3
	s_or_b32 exec_lo, exec_lo, s31
	s_delay_alu instid0(SALU_CYCLE_1)
	s_and_b32 s13, s13, exec_lo
                                        ; implicit-def: $vgpr179
	s_or_saveexec_b32 s30, s30
	v_mov_b32_e32 v160, s17
	s_xor_b32 exec_lo, exec_lo, s30
	s_cbranch_execz .LBB4_9792
.LBB4_10074:                            ;   in Loop: Header=BB4_9504 Depth=3
	v_cmp_ne_u16_e64 vcc_lo, 0, v179
	v_mov_b32_e32 v160, 0
	s_and_not1_b32 s13, s13, exec_lo
	s_delay_alu instid0(VALU_DEP_2) | instskip(NEXT) | instid1(SALU_CYCLE_1)
	s_and_b32 s17, vcc_lo, exec_lo
	s_or_b32 s13, s13, s17
	s_or_b32 exec_lo, exec_lo, s30
	s_and_saveexec_b32 s17, s13
	s_cbranch_execnz .LBB4_9793
	s_branch .LBB4_9794
.LBB4_10075:                            ;   in Loop: Header=BB4_9504 Depth=3
	s_mov_b32 s13, -1
	s_mov_b32 s31, exec_lo
                                        ; implicit-def: $sgpr17
	v_cmpx_eq_u16_e64 0x80, v178
; %bb.10076:                            ;   in Loop: Header=BB4_9504 Depth=3
	s_mov_b32 s17, 0x7f800001
	s_xor_b32 s13, exec_lo, -1
; %bb.10077:                            ;   in Loop: Header=BB4_9504 Depth=3
	s_or_b32 exec_lo, exec_lo, s31
	s_delay_alu instid0(SALU_CYCLE_1)
	s_and_b32 s13, s13, exec_lo
                                        ; implicit-def: $vgpr178
	s_or_saveexec_b32 s30, s30
	v_mov_b32_e32 v177, s17
	s_xor_b32 exec_lo, exec_lo, s30
	s_cbranch_execz .LBB4_9804
.LBB4_10078:                            ;   in Loop: Header=BB4_9504 Depth=3
	v_cmp_ne_u16_e64 vcc_lo, 0, v178
	v_mov_b32_e32 v177, 0
	s_and_not1_b32 s13, s13, exec_lo
	s_delay_alu instid0(VALU_DEP_2) | instskip(NEXT) | instid1(SALU_CYCLE_1)
	s_and_b32 s17, vcc_lo, exec_lo
	s_or_b32 s13, s13, s17
	s_or_b32 exec_lo, exec_lo, s30
	s_and_saveexec_b32 s17, s13
	s_cbranch_execnz .LBB4_9805
	s_branch .LBB4_9806
.LBB4_10079:                            ;   in Loop: Header=BB4_9504 Depth=3
	s_mov_b32 s13, -1
	s_mov_b32 s31, exec_lo
                                        ; implicit-def: $sgpr17
	v_cmpx_eq_u16_e64 0x80, v178
; %bb.10080:                            ;   in Loop: Header=BB4_9504 Depth=3
	s_mov_b32 s17, 0x7f800001
	s_xor_b32 s13, exec_lo, -1
; %bb.10081:                            ;   in Loop: Header=BB4_9504 Depth=3
	s_or_b32 exec_lo, exec_lo, s31
	s_delay_alu instid0(SALU_CYCLE_1)
	s_and_b32 s13, s13, exec_lo
                                        ; implicit-def: $vgpr178
	s_or_saveexec_b32 s30, s30
	v_mov_b32_e32 v151, s17
	s_xor_b32 exec_lo, exec_lo, s30
	s_cbranch_execz .LBB4_9808
.LBB4_10082:                            ;   in Loop: Header=BB4_9504 Depth=3
	v_cmp_ne_u16_e64 vcc_lo, 0, v178
	v_mov_b32_e32 v151, 0
	s_and_not1_b32 s13, s13, exec_lo
	s_delay_alu instid0(VALU_DEP_2) | instskip(NEXT) | instid1(SALU_CYCLE_1)
	s_and_b32 s17, vcc_lo, exec_lo
	s_or_b32 s13, s13, s17
	s_or_b32 exec_lo, exec_lo, s30
	s_and_saveexec_b32 s17, s13
	s_cbranch_execnz .LBB4_9809
	s_branch .LBB4_9810
.LBB4_10083:                            ;   in Loop: Header=BB4_9504 Depth=3
	s_mov_b32 s13, -1
	s_mov_b32 s31, exec_lo
                                        ; implicit-def: $sgpr17
	v_cmpx_eq_u16_e64 0x80, v177
; %bb.10084:                            ;   in Loop: Header=BB4_9504 Depth=3
	s_mov_b32 s17, 0x7f800001
	s_xor_b32 s13, exec_lo, -1
; %bb.10085:                            ;   in Loop: Header=BB4_9504 Depth=3
	s_or_b32 exec_lo, exec_lo, s31
	s_delay_alu instid0(SALU_CYCLE_1)
	s_and_b32 s13, s13, exec_lo
                                        ; implicit-def: $vgpr177
	s_or_saveexec_b32 s30, s30
	v_mov_b32_e32 v176, s17
	s_xor_b32 exec_lo, exec_lo, s30
	s_cbranch_execz .LBB4_9820
.LBB4_10086:                            ;   in Loop: Header=BB4_9504 Depth=3
	v_cmp_ne_u16_e64 vcc_lo, 0, v177
	v_mov_b32_e32 v176, 0
	s_and_not1_b32 s13, s13, exec_lo
	s_delay_alu instid0(VALU_DEP_2) | instskip(NEXT) | instid1(SALU_CYCLE_1)
	s_and_b32 s17, vcc_lo, exec_lo
	s_or_b32 s13, s13, s17
	s_or_b32 exec_lo, exec_lo, s30
	s_and_saveexec_b32 s17, s13
	s_cbranch_execnz .LBB4_9821
	s_branch .LBB4_9822
.LBB4_10087:                            ;   in Loop: Header=BB4_9504 Depth=3
	s_mov_b32 s13, -1
	s_mov_b32 s31, exec_lo
                                        ; implicit-def: $sgpr17
	v_cmpx_eq_u16_e64 0x80, v177
; %bb.10088:                            ;   in Loop: Header=BB4_9504 Depth=3
	s_mov_b32 s17, 0x7f800001
	s_xor_b32 s13, exec_lo, -1
; %bb.10089:                            ;   in Loop: Header=BB4_9504 Depth=3
	s_or_b32 exec_lo, exec_lo, s31
	s_delay_alu instid0(SALU_CYCLE_1)
	s_and_b32 s13, s13, exec_lo
                                        ; implicit-def: $vgpr177
	s_or_saveexec_b32 s30, s30
	v_mov_b32_e32 v149, s17
	s_xor_b32 exec_lo, exec_lo, s30
	s_cbranch_execz .LBB4_9824
.LBB4_10090:                            ;   in Loop: Header=BB4_9504 Depth=3
	v_cmp_ne_u16_e64 vcc_lo, 0, v177
	v_mov_b32_e32 v149, 0
	s_and_not1_b32 s13, s13, exec_lo
	s_delay_alu instid0(VALU_DEP_2) | instskip(NEXT) | instid1(SALU_CYCLE_1)
	s_and_b32 s17, vcc_lo, exec_lo
	s_or_b32 s13, s13, s17
	s_or_b32 exec_lo, exec_lo, s30
	s_and_saveexec_b32 s17, s13
	s_cbranch_execnz .LBB4_9825
	s_branch .LBB4_9826
.LBB4_10091:                            ;   in Loop: Header=BB4_9504 Depth=3
	s_mov_b32 s13, -1
	s_mov_b32 s31, exec_lo
                                        ; implicit-def: $sgpr17
	v_cmpx_eq_u16_e64 0x80, v176
; %bb.10092:                            ;   in Loop: Header=BB4_9504 Depth=3
	s_mov_b32 s17, 0x7f800001
	s_xor_b32 s13, exec_lo, -1
; %bb.10093:                            ;   in Loop: Header=BB4_9504 Depth=3
	s_or_b32 exec_lo, exec_lo, s31
	s_delay_alu instid0(SALU_CYCLE_1)
	s_and_b32 s13, s13, exec_lo
                                        ; implicit-def: $vgpr176
	s_or_saveexec_b32 s30, s30
	v_mov_b32_e32 v167, s17
	s_xor_b32 exec_lo, exec_lo, s30
	s_cbranch_execz .LBB4_9836
.LBB4_10094:                            ;   in Loop: Header=BB4_9504 Depth=3
	v_cmp_ne_u16_e64 vcc_lo, 0, v176
	v_mov_b32_e32 v167, 0
	s_and_not1_b32 s13, s13, exec_lo
	s_delay_alu instid0(VALU_DEP_2) | instskip(NEXT) | instid1(SALU_CYCLE_1)
	s_and_b32 s17, vcc_lo, exec_lo
	s_or_b32 s13, s13, s17
	s_or_b32 exec_lo, exec_lo, s30
	s_and_saveexec_b32 s17, s13
	s_cbranch_execnz .LBB4_9837
	s_branch .LBB4_9838
.LBB4_10095:                            ;   in Loop: Header=BB4_9504 Depth=3
	s_mov_b32 s13, -1
	s_mov_b32 s31, exec_lo
                                        ; implicit-def: $sgpr17
	v_cmpx_eq_u16_e64 0x80, v176
; %bb.10096:                            ;   in Loop: Header=BB4_9504 Depth=3
	s_mov_b32 s17, 0x7f800001
	s_xor_b32 s13, exec_lo, -1
; %bb.10097:                            ;   in Loop: Header=BB4_9504 Depth=3
	s_or_b32 exec_lo, exec_lo, s31
	s_delay_alu instid0(SALU_CYCLE_1)
	s_and_b32 s13, s13, exec_lo
                                        ; implicit-def: $vgpr176
	s_or_saveexec_b32 s30, s30
	v_mov_b32_e32 v147, s17
	s_xor_b32 exec_lo, exec_lo, s30
	s_cbranch_execz .LBB4_9840
.LBB4_10098:                            ;   in Loop: Header=BB4_9504 Depth=3
	v_cmp_ne_u16_e64 vcc_lo, 0, v176
	v_mov_b32_e32 v147, 0
	s_and_not1_b32 s13, s13, exec_lo
	s_delay_alu instid0(VALU_DEP_2) | instskip(NEXT) | instid1(SALU_CYCLE_1)
	s_and_b32 s17, vcc_lo, exec_lo
	s_or_b32 s13, s13, s17
	s_or_b32 exec_lo, exec_lo, s30
	s_and_saveexec_b32 s17, s13
	s_cbranch_execnz .LBB4_9841
	s_branch .LBB4_9842
.LBB4_10099:                            ;   in Loop: Header=BB4_9504 Depth=3
	s_mov_b32 s13, -1
	s_mov_b32 s31, exec_lo
                                        ; implicit-def: $sgpr17
	v_cmpx_eq_u16_e64 0x80, v167
; %bb.10100:                            ;   in Loop: Header=BB4_9504 Depth=3
	s_mov_b32 s17, 0x7f800001
	s_xor_b32 s13, exec_lo, -1
; %bb.10101:                            ;   in Loop: Header=BB4_9504 Depth=3
	s_or_b32 exec_lo, exec_lo, s31
	s_delay_alu instid0(SALU_CYCLE_1)
	s_and_b32 s13, s13, exec_lo
                                        ; implicit-def: $vgpr167
	s_or_saveexec_b32 s30, s30
	v_mov_b32_e32 v166, s17
	s_xor_b32 exec_lo, exec_lo, s30
	s_cbranch_execz .LBB4_9852
.LBB4_10102:                            ;   in Loop: Header=BB4_9504 Depth=3
	v_cmp_ne_u16_e64 vcc_lo, 0, v167
	v_mov_b32_e32 v166, 0
	s_and_not1_b32 s13, s13, exec_lo
	s_delay_alu instid0(VALU_DEP_2) | instskip(NEXT) | instid1(SALU_CYCLE_1)
	s_and_b32 s17, vcc_lo, exec_lo
	s_or_b32 s13, s13, s17
	s_or_b32 exec_lo, exec_lo, s30
	s_and_saveexec_b32 s17, s13
	s_cbranch_execnz .LBB4_9853
	s_branch .LBB4_9854
.LBB4_10103:                            ;   in Loop: Header=BB4_9504 Depth=3
	s_mov_b32 s13, -1
	s_mov_b32 s31, exec_lo
                                        ; implicit-def: $sgpr17
	v_cmpx_eq_u16_e64 0x80, v167
; %bb.10104:                            ;   in Loop: Header=BB4_9504 Depth=3
	s_mov_b32 s17, 0x7f800001
	s_xor_b32 s13, exec_lo, -1
; %bb.10105:                            ;   in Loop: Header=BB4_9504 Depth=3
	s_or_b32 exec_lo, exec_lo, s31
	s_delay_alu instid0(SALU_CYCLE_1)
	s_and_b32 s13, s13, exec_lo
                                        ; implicit-def: $vgpr167
	s_or_saveexec_b32 s30, s30
	v_mov_b32_e32 v146, s17
	s_xor_b32 exec_lo, exec_lo, s30
	s_cbranch_execz .LBB4_9856
.LBB4_10106:                            ;   in Loop: Header=BB4_9504 Depth=3
	v_cmp_ne_u16_e64 vcc_lo, 0, v167
	v_mov_b32_e32 v146, 0
	s_and_not1_b32 s13, s13, exec_lo
	s_delay_alu instid0(VALU_DEP_2) | instskip(NEXT) | instid1(SALU_CYCLE_1)
	s_and_b32 s17, vcc_lo, exec_lo
	s_or_b32 s13, s13, s17
	s_or_b32 exec_lo, exec_lo, s30
	s_and_saveexec_b32 s17, s13
	s_cbranch_execnz .LBB4_9857
	s_branch .LBB4_9858
.LBB4_10107:                            ;   in Loop: Header=BB4_9504 Depth=3
	s_mov_b32 s13, -1
	s_mov_b32 s31, exec_lo
                                        ; implicit-def: $sgpr17
	v_cmpx_eq_u16_e64 0x80, v166
; %bb.10108:                            ;   in Loop: Header=BB4_9504 Depth=3
	s_mov_b32 s17, 0x7f800001
	s_xor_b32 s13, exec_lo, -1
; %bb.10109:                            ;   in Loop: Header=BB4_9504 Depth=3
	s_or_b32 exec_lo, exec_lo, s31
	s_delay_alu instid0(SALU_CYCLE_1)
	s_and_b32 s13, s13, exec_lo
                                        ; implicit-def: $vgpr166
	s_or_saveexec_b32 s30, s30
	v_mov_b32_e32 v165, s17
	s_xor_b32 exec_lo, exec_lo, s30
	s_cbranch_execz .LBB4_9868
.LBB4_10110:                            ;   in Loop: Header=BB4_9504 Depth=3
	v_cmp_ne_u16_e64 vcc_lo, 0, v166
	v_mov_b32_e32 v165, 0
	s_and_not1_b32 s13, s13, exec_lo
	s_delay_alu instid0(VALU_DEP_2) | instskip(NEXT) | instid1(SALU_CYCLE_1)
	s_and_b32 s17, vcc_lo, exec_lo
	s_or_b32 s13, s13, s17
	s_or_b32 exec_lo, exec_lo, s30
	s_and_saveexec_b32 s17, s13
	s_cbranch_execnz .LBB4_9869
	s_branch .LBB4_9870
.LBB4_10111:                            ;   in Loop: Header=BB4_9504 Depth=3
	s_mov_b32 s13, -1
	s_mov_b32 s31, exec_lo
                                        ; implicit-def: $sgpr17
	v_cmpx_eq_u16_e64 0x80, v166
; %bb.10112:                            ;   in Loop: Header=BB4_9504 Depth=3
	s_mov_b32 s17, 0x7f800001
	s_xor_b32 s13, exec_lo, -1
; %bb.10113:                            ;   in Loop: Header=BB4_9504 Depth=3
	s_or_b32 exec_lo, exec_lo, s31
	s_delay_alu instid0(SALU_CYCLE_1)
	s_and_b32 s13, s13, exec_lo
                                        ; implicit-def: $vgpr166
	s_or_saveexec_b32 s30, s30
	v_mov_b32_e32 v144, s17
	s_xor_b32 exec_lo, exec_lo, s30
	s_cbranch_execz .LBB4_9872
.LBB4_10114:                            ;   in Loop: Header=BB4_9504 Depth=3
	v_cmp_ne_u16_e64 vcc_lo, 0, v166
	v_mov_b32_e32 v144, 0
	s_and_not1_b32 s13, s13, exec_lo
	s_delay_alu instid0(VALU_DEP_2) | instskip(NEXT) | instid1(SALU_CYCLE_1)
	s_and_b32 s17, vcc_lo, exec_lo
	s_or_b32 s13, s13, s17
	s_or_b32 exec_lo, exec_lo, s30
	s_and_saveexec_b32 s17, s13
	s_cbranch_execnz .LBB4_9873
	s_branch .LBB4_9874
.LBB4_10115:                            ;   in Loop: Header=BB4_9504 Depth=3
	s_mov_b32 s13, -1
	s_mov_b32 s31, exec_lo
                                        ; implicit-def: $sgpr17
	v_cmpx_eq_u16_e64 0x80, v165
; %bb.10116:                            ;   in Loop: Header=BB4_9504 Depth=3
	s_mov_b32 s17, 0x7f800001
	s_xor_b32 s13, exec_lo, -1
; %bb.10117:                            ;   in Loop: Header=BB4_9504 Depth=3
	s_or_b32 exec_lo, exec_lo, s31
	s_delay_alu instid0(SALU_CYCLE_1)
	s_and_b32 s13, s13, exec_lo
                                        ; implicit-def: $vgpr165
	s_or_saveexec_b32 s30, s30
	v_mov_b32_e32 v164, s17
	s_xor_b32 exec_lo, exec_lo, s30
	s_cbranch_execz .LBB4_9884
.LBB4_10118:                            ;   in Loop: Header=BB4_9504 Depth=3
	v_cmp_ne_u16_e64 vcc_lo, 0, v165
	v_mov_b32_e32 v164, 0
	s_and_not1_b32 s13, s13, exec_lo
	s_delay_alu instid0(VALU_DEP_2) | instskip(NEXT) | instid1(SALU_CYCLE_1)
	s_and_b32 s17, vcc_lo, exec_lo
	s_or_b32 s13, s13, s17
	s_or_b32 exec_lo, exec_lo, s30
	s_and_saveexec_b32 s17, s13
	s_cbranch_execnz .LBB4_9885
	s_branch .LBB4_9886
.LBB4_10119:                            ;   in Loop: Header=BB4_9504 Depth=3
	s_mov_b32 s13, -1
	s_mov_b32 s31, exec_lo
                                        ; implicit-def: $sgpr17
	v_cmpx_eq_u16_e64 0x80, v165
; %bb.10120:                            ;   in Loop: Header=BB4_9504 Depth=3
	s_mov_b32 s17, 0x7f800001
	s_xor_b32 s13, exec_lo, -1
; %bb.10121:                            ;   in Loop: Header=BB4_9504 Depth=3
	s_or_b32 exec_lo, exec_lo, s31
	s_delay_alu instid0(SALU_CYCLE_1)
	s_and_b32 s13, s13, exec_lo
                                        ; implicit-def: $vgpr165
	s_or_saveexec_b32 s30, s30
	v_mov_b32_e32 v135, s17
	s_xor_b32 exec_lo, exec_lo, s30
	s_cbranch_execz .LBB4_9888
.LBB4_10122:                            ;   in Loop: Header=BB4_9504 Depth=3
	v_cmp_ne_u16_e64 vcc_lo, 0, v165
	v_mov_b32_e32 v135, 0
	s_and_not1_b32 s13, s13, exec_lo
	s_delay_alu instid0(VALU_DEP_2) | instskip(NEXT) | instid1(SALU_CYCLE_1)
	s_and_b32 s17, vcc_lo, exec_lo
	s_or_b32 s13, s13, s17
	s_or_b32 exec_lo, exec_lo, s30
	s_and_saveexec_b32 s17, s13
	s_cbranch_execnz .LBB4_9889
	s_branch .LBB4_9890
.LBB4_10123:                            ;   in Loop: Header=BB4_9504 Depth=3
	s_mov_b32 s13, -1
	s_mov_b32 s31, exec_lo
                                        ; implicit-def: $sgpr17
	v_cmpx_eq_u16_e64 0x80, v164
; %bb.10124:                            ;   in Loop: Header=BB4_9504 Depth=3
	s_mov_b32 s17, 0x7f800001
	s_xor_b32 s13, exec_lo, -1
; %bb.10125:                            ;   in Loop: Header=BB4_9504 Depth=3
	s_or_b32 exec_lo, exec_lo, s31
	s_delay_alu instid0(SALU_CYCLE_1)
	s_and_b32 s13, s13, exec_lo
                                        ; implicit-def: $vgpr164
	s_or_saveexec_b32 s30, s30
	v_mov_b32_e32 v163, s17
	s_xor_b32 exec_lo, exec_lo, s30
	s_cbranch_execz .LBB4_9900
.LBB4_10126:                            ;   in Loop: Header=BB4_9504 Depth=3
	v_cmp_ne_u16_e64 vcc_lo, 0, v164
	v_mov_b32_e32 v163, 0
	s_and_not1_b32 s13, s13, exec_lo
	s_delay_alu instid0(VALU_DEP_2) | instskip(NEXT) | instid1(SALU_CYCLE_1)
	s_and_b32 s17, vcc_lo, exec_lo
	s_or_b32 s13, s13, s17
	s_or_b32 exec_lo, exec_lo, s30
	s_and_saveexec_b32 s17, s13
	s_cbranch_execnz .LBB4_9901
	s_branch .LBB4_9902
.LBB4_10127:                            ;   in Loop: Header=BB4_9504 Depth=3
	s_mov_b32 s13, -1
	s_mov_b32 s31, exec_lo
                                        ; implicit-def: $sgpr17
	v_cmpx_eq_u16_e64 0x80, v164
; %bb.10128:                            ;   in Loop: Header=BB4_9504 Depth=3
	s_mov_b32 s17, 0x7f800001
	s_xor_b32 s13, exec_lo, -1
; %bb.10129:                            ;   in Loop: Header=BB4_9504 Depth=3
	s_or_b32 exec_lo, exec_lo, s31
	s_delay_alu instid0(SALU_CYCLE_1)
	s_and_b32 s13, s13, exec_lo
                                        ; implicit-def: $vgpr164
	s_or_saveexec_b32 s30, s30
	v_mov_b32_e32 v133, s17
	s_xor_b32 exec_lo, exec_lo, s30
	s_cbranch_execz .LBB4_9904
.LBB4_10130:                            ;   in Loop: Header=BB4_9504 Depth=3
	v_cmp_ne_u16_e64 vcc_lo, 0, v164
	v_mov_b32_e32 v133, 0
	s_and_not1_b32 s13, s13, exec_lo
	s_delay_alu instid0(VALU_DEP_2) | instskip(NEXT) | instid1(SALU_CYCLE_1)
	s_and_b32 s17, vcc_lo, exec_lo
	s_or_b32 s13, s13, s17
	s_or_b32 exec_lo, exec_lo, s30
	s_and_saveexec_b32 s17, s13
	s_cbranch_execnz .LBB4_9905
	s_branch .LBB4_9906
.LBB4_10131:                            ;   in Loop: Header=BB4_9504 Depth=3
	s_mov_b32 s13, -1
	s_mov_b32 s31, exec_lo
                                        ; implicit-def: $sgpr17
	v_cmpx_eq_u16_e64 0x80, v163
; %bb.10132:                            ;   in Loop: Header=BB4_9504 Depth=3
	s_mov_b32 s17, 0x7f800001
	s_xor_b32 s13, exec_lo, -1
; %bb.10133:                            ;   in Loop: Header=BB4_9504 Depth=3
	s_or_b32 exec_lo, exec_lo, s31
	s_delay_alu instid0(SALU_CYCLE_1)
	s_and_b32 s13, s13, exec_lo
                                        ; implicit-def: $vgpr163
	s_or_saveexec_b32 s30, s30
	v_mov_b32_e32 v150, s17
	s_xor_b32 exec_lo, exec_lo, s30
	s_cbranch_execz .LBB4_9916
.LBB4_10134:                            ;   in Loop: Header=BB4_9504 Depth=3
	v_cmp_ne_u16_e64 vcc_lo, 0, v163
	v_mov_b32_e32 v150, 0
	s_and_not1_b32 s13, s13, exec_lo
	s_delay_alu instid0(VALU_DEP_2) | instskip(NEXT) | instid1(SALU_CYCLE_1)
	s_and_b32 s17, vcc_lo, exec_lo
	s_or_b32 s13, s13, s17
	s_or_b32 exec_lo, exec_lo, s30
	s_and_saveexec_b32 s17, s13
	s_cbranch_execnz .LBB4_9917
	s_branch .LBB4_9918
.LBB4_10135:                            ;   in Loop: Header=BB4_9504 Depth=3
	s_mov_b32 s13, -1
	s_mov_b32 s31, exec_lo
                                        ; implicit-def: $sgpr17
	v_cmpx_eq_u16_e64 0x80, v163
; %bb.10136:                            ;   in Loop: Header=BB4_9504 Depth=3
	s_mov_b32 s17, 0x7f800001
	s_xor_b32 s13, exec_lo, -1
; %bb.10137:                            ;   in Loop: Header=BB4_9504 Depth=3
	s_or_b32 exec_lo, exec_lo, s31
	s_delay_alu instid0(SALU_CYCLE_1)
	s_and_b32 s13, s13, exec_lo
                                        ; implicit-def: $vgpr163
	s_or_saveexec_b32 s30, s30
	v_mov_b32_e32 v68, s17
	s_xor_b32 exec_lo, exec_lo, s30
	s_cbranch_execz .LBB4_9920
.LBB4_10138:                            ;   in Loop: Header=BB4_9504 Depth=3
	v_cmp_ne_u16_e64 vcc_lo, 0, v163
	v_mov_b32_e32 v68, 0
	s_and_not1_b32 s13, s13, exec_lo
	s_delay_alu instid0(VALU_DEP_2) | instskip(NEXT) | instid1(SALU_CYCLE_1)
	s_and_b32 s17, vcc_lo, exec_lo
	s_or_b32 s13, s13, s17
	s_or_b32 exec_lo, exec_lo, s30
	s_and_saveexec_b32 s17, s13
	s_cbranch_execnz .LBB4_9921
	s_branch .LBB4_9922
.LBB4_10139:                            ;   in Loop: Header=BB4_9504 Depth=3
	s_mov_b32 s13, -1
	s_mov_b32 s31, exec_lo
                                        ; implicit-def: $sgpr17
	v_cmpx_eq_u16_e64 0x80, v150
; %bb.10140:                            ;   in Loop: Header=BB4_9504 Depth=3
	s_mov_b32 s17, 0x7f800001
	s_xor_b32 s13, exec_lo, -1
; %bb.10141:                            ;   in Loop: Header=BB4_9504 Depth=3
	s_or_b32 exec_lo, exec_lo, s31
	s_delay_alu instid0(SALU_CYCLE_1)
	s_and_b32 s13, s13, exec_lo
                                        ; implicit-def: $vgpr150
	s_or_saveexec_b32 s30, s30
	v_mov_b32_e32 v145, s17
	s_xor_b32 exec_lo, exec_lo, s30
	s_cbranch_execz .LBB4_9932
.LBB4_10142:                            ;   in Loop: Header=BB4_9504 Depth=3
	v_cmp_ne_u16_e64 vcc_lo, 0, v150
	v_mov_b32_e32 v145, 0
	s_and_not1_b32 s13, s13, exec_lo
	s_delay_alu instid0(VALU_DEP_2) | instskip(NEXT) | instid1(SALU_CYCLE_1)
	s_and_b32 s17, vcc_lo, exec_lo
	s_or_b32 s13, s13, s17
	s_or_b32 exec_lo, exec_lo, s30
	s_and_saveexec_b32 s17, s13
	s_cbranch_execnz .LBB4_9933
	s_branch .LBB4_9934
.LBB4_10143:                            ;   in Loop: Header=BB4_9504 Depth=3
	s_mov_b32 s13, -1
	s_mov_b32 s31, exec_lo
                                        ; implicit-def: $sgpr17
	v_cmpx_eq_u16_e64 0x80, v150
; %bb.10144:                            ;   in Loop: Header=BB4_9504 Depth=3
	s_mov_b32 s17, 0x7f800001
	s_xor_b32 s13, exec_lo, -1
; %bb.10145:                            ;   in Loop: Header=BB4_9504 Depth=3
	s_or_b32 exec_lo, exec_lo, s31
	s_delay_alu instid0(SALU_CYCLE_1)
	s_and_b32 s13, s13, exec_lo
                                        ; implicit-def: $vgpr150
	s_or_saveexec_b32 s30, s30
	v_mov_b32_e32 v67, s17
	s_xor_b32 exec_lo, exec_lo, s30
	s_cbranch_execz .LBB4_9936
.LBB4_10146:                            ;   in Loop: Header=BB4_9504 Depth=3
	v_cmp_ne_u16_e64 vcc_lo, 0, v150
	v_mov_b32_e32 v67, 0
	s_and_not1_b32 s13, s13, exec_lo
	s_delay_alu instid0(VALU_DEP_2) | instskip(NEXT) | instid1(SALU_CYCLE_1)
	s_and_b32 s17, vcc_lo, exec_lo
	s_or_b32 s13, s13, s17
	s_or_b32 exec_lo, exec_lo, s30
	s_and_saveexec_b32 s17, s13
	s_cbranch_execnz .LBB4_9937
	s_branch .LBB4_9938
.LBB4_10147:                            ;   in Loop: Header=BB4_9504 Depth=3
	s_mov_b32 s13, -1
	s_mov_b32 s31, exec_lo
                                        ; implicit-def: $sgpr17
	v_cmpx_eq_u16_e64 0x80, v145
; %bb.10148:                            ;   in Loop: Header=BB4_9504 Depth=3
	s_mov_b32 s17, 0x7f800001
	s_xor_b32 s13, exec_lo, -1
; %bb.10149:                            ;   in Loop: Header=BB4_9504 Depth=3
	s_or_b32 exec_lo, exec_lo, s31
	s_delay_alu instid0(SALU_CYCLE_1)
	s_and_b32 s13, s13, exec_lo
                                        ; implicit-def: $vgpr145
	s_or_saveexec_b32 s30, s30
	v_mov_b32_e32 v69, s17
	s_xor_b32 exec_lo, exec_lo, s30
	s_cbranch_execz .LBB4_9948
.LBB4_10150:                            ;   in Loop: Header=BB4_9504 Depth=3
	v_cmp_ne_u16_e64 vcc_lo, 0, v145
	v_mov_b32_e32 v69, 0
	s_and_not1_b32 s13, s13, exec_lo
	s_delay_alu instid0(VALU_DEP_2) | instskip(NEXT) | instid1(SALU_CYCLE_1)
	s_and_b32 s17, vcc_lo, exec_lo
	s_or_b32 s13, s13, s17
	s_or_b32 exec_lo, exec_lo, s30
	s_and_saveexec_b32 s17, s13
	s_cbranch_execnz .LBB4_9949
	s_branch .LBB4_9950
.LBB4_10151:                            ;   in Loop: Header=BB4_9504 Depth=3
	s_mov_b32 s13, -1
	s_mov_b32 s31, exec_lo
                                        ; implicit-def: $sgpr17
	v_cmpx_eq_u16_e64 0x80, v145
; %bb.10152:                            ;   in Loop: Header=BB4_9504 Depth=3
	s_mov_b32 s17, 0x7f800001
	s_xor_b32 s13, exec_lo, -1
; %bb.10153:                            ;   in Loop: Header=BB4_9504 Depth=3
	s_or_b32 exec_lo, exec_lo, s31
	s_delay_alu instid0(SALU_CYCLE_1)
	s_and_b32 s13, s13, exec_lo
                                        ; implicit-def: $vgpr145
	s_or_saveexec_b32 s30, s30
	v_mov_b32_e32 v15, s17
	s_xor_b32 exec_lo, exec_lo, s30
	s_cbranch_execz .LBB4_9952
.LBB4_10154:                            ;   in Loop: Header=BB4_9504 Depth=3
	v_cmp_ne_u16_e64 vcc_lo, 0, v145
	v_mov_b32_e32 v15, 0
	s_and_not1_b32 s13, s13, exec_lo
	s_delay_alu instid0(VALU_DEP_2) | instskip(NEXT) | instid1(SALU_CYCLE_1)
	s_and_b32 s17, vcc_lo, exec_lo
	s_or_b32 s13, s13, s17
	s_or_b32 exec_lo, exec_lo, s30
	s_and_saveexec_b32 s17, s13
	s_cbranch_execnz .LBB4_9953
	s_branch .LBB4_9954
.LBB4_10155:                            ;   in Loop: Header=BB4_4786 Depth=2
	s_or_b32 exec_lo, exec_lo, s16
.LBB4_10156:                            ;   in Loop: Header=BB4_4786 Depth=2
	s_delay_alu instid0(SALU_CYCLE_1) | instskip(SKIP_2) | instid1(VALU_DEP_1)
	s_or_b32 exec_lo, exec_lo, s15
	v_lshlrev_b32_e32 v8, 9, v65
	s_mov_b32 s15, exec_lo
	v_cmpx_ne_u32_e64 v54, v8
	s_cbranch_execz .LBB4_10211
; %bb.10157:                            ;   in Loop: Header=BB4_4786 Depth=2
	v_ashrrev_i32_e32 v9, 31, v64
	v_lshlrev_b32_e32 v2, 5, v2
	s_delay_alu instid0(VALU_DEP_2) | instskip(NEXT) | instid1(VALU_DEP_1)
	v_lshrrev_b32_e32 v9, 27, v9
	v_add_nc_u32_e32 v9, v64, v9
	s_delay_alu instid0(VALU_DEP_1) | instskip(NEXT) | instid1(VALU_DEP_1)
	v_and_b32_e32 v9, 0xffffffe0, v9
	v_sub_nc_u32_e32 v9, v64, v9
	s_delay_alu instid0(VALU_DEP_1) | instskip(NEXT) | instid1(VALU_DEP_1)
	v_sub_nc_u32_e32 v2, v9, v2
	v_add_nc_u32_e32 v8, v8, v2
	s_delay_alu instid0(VALU_DEP_1) | instskip(NEXT) | instid1(VALU_DEP_1)
	v_sub_nc_u32_e32 v2, v54, v8
	v_cmp_lt_i32_e32 vcc_lo, 0, v2
	s_and_b32 exec_lo, exec_lo, vcc_lo
	s_cbranch_execz .LBB4_10211
; %bb.10158:                            ;   in Loop: Header=BB4_4786 Depth=2
	s_cbranch_execnz .LBB4_11365
; %bb.10159:                            ;   in Loop: Header=BB4_4786 Depth=2
	ds_load_b128 v[9:12], v0
	ds_load_b64 v[13:14], v0
	v_add_nc_u32_e32 v15, v8, v53
	s_mov_b32 s16, 0
	s_delay_alu instid0(VALU_DEP_1) | instskip(SKIP_2) | instid1(VALU_DEP_2)
	v_ashrrev_i32_e32 v53, 31, v15
	s_waitcnt lgkmcnt(1)
	v_add_co_u32 v8, vcc_lo, v9, v15
	v_add_co_ci_u32_e32 v9, vcc_lo, v10, v53, vcc_lo
	v_add_co_u32 v10, vcc_lo, v11, v15
	v_add_co_ci_u32_e32 v11, vcc_lo, v12, v53, vcc_lo
	s_waitcnt lgkmcnt(0)
	v_add_co_u32 v12, vcc_lo, v13, v15
	v_add_co_ci_u32_e32 v13, vcc_lo, v14, v53, vcc_lo
.LBB4_10160:                            ;   Parent Loop BB4_51 Depth=1
                                        ;     Parent Loop BB4_4786 Depth=2
                                        ; =>    This Inner Loop Header: Depth=3
	s_cbranch_execnz .LBB4_11367
; %bb.10161:                            ;   in Loop: Header=BB4_10160 Depth=3
	ds_load_b64 v[14:15], v0
	s_waitcnt lgkmcnt(0)
	v_and_b32_e32 v15, 0xff, v14
	v_readfirstlane_b32 s13, v14
	s_delay_alu instid0(VALU_DEP_2)
	v_cmp_gt_i16_e32 vcc_lo, 0x80, v15
	s_cbranch_vccnz .LBB4_10165
; %bb.10162:                            ;   in Loop: Header=BB4_10160 Depth=3
	v_cmp_eq_u16_e32 vcc_lo, 0x80, v15
	s_mov_b32 s17, -1
                                        ; implicit-def: $sgpr30
	s_cbranch_vccz .LBB4_10164
; %bb.10163:                            ;   in Loop: Header=BB4_10160 Depth=3
	s_mov_b32 s17, 0
	s_mov_b32 s30, 0x7f800001
.LBB4_10164:                            ;   in Loop: Header=BB4_10160 Depth=3
	s_mov_b32 vcc_lo, 0
	s_branch .LBB4_10166
.LBB4_10165:                            ;   in Loop: Header=BB4_10160 Depth=3
	s_mov_b32 vcc_lo, -1
	s_mov_b32 s17, 0
                                        ; implicit-def: $sgpr30
.LBB4_10166:                            ;   in Loop: Header=BB4_10160 Depth=3
	s_and_b32 vcc_lo, exec_lo, vcc_lo
	s_cbranch_vccz .LBB4_10168
; %bb.10167:                            ;   in Loop: Header=BB4_10160 Depth=3
	v_cmp_ne_u16_e64 s17, 0, v15
	s_mov_b32 s30, 0
.LBB4_10168:                            ;   in Loop: Header=BB4_10160 Depth=3
	s_delay_alu instid0(SALU_CYCLE_1) | instskip(NEXT) | instid1(VALU_DEP_2)
	v_mov_b32_e32 v15, s30
	s_and_not1_b32 vcc_lo, exec_lo, s17
	s_cbranch_vccnz .LBB4_10170
; %bb.10169:                            ;   in Loop: Header=BB4_10160 Depth=3
	s_and_b32 s17, s13, 3
	s_bfe_u32 s30, s13, 0x50002
	s_clz_i32_u32 vcc_lo, s17
	v_lshlrev_b32_e32 v14, 24, v14
	s_min_u32 vcc_lo, vcc_lo, 32
	s_delay_alu instid0(SALU_CYCLE_1)
	s_sub_i32 s31, vcc_lo, 29
	s_sub_i32 vcc_lo, 30, vcc_lo
	s_lshl_b32 s13, s13, s31
	v_and_b32_e32 v14, 0x80000000, v14
	s_and_b32 s13, s13, 3
	s_cmp_eq_u32 s30, 0
	s_cselect_b32 vcc_lo, vcc_lo, s30
	s_cselect_b32 s13, s13, s17
	s_lshl_b32 s17, vcc_lo, 23
	s_lshl_b32 s13, s13, 21
	s_add_i32 s17, s17, 0x37800000
	s_delay_alu instid0(SALU_CYCLE_1) | instskip(NEXT) | instid1(VALU_DEP_1)
	v_or_b32_e32 v14, s17, v14
	v_or_b32_e32 v15, s13, v14
.LBB4_10170:                            ;   in Loop: Header=BB4_10160 Depth=3
	flat_load_u8 v14, v[8:9] slc dlc
	s_mov_b32 s13, 0
	s_mov_b32 s30, exec_lo
                                        ; implicit-def: $sgpr17
	s_waitcnt vmcnt(0) lgkmcnt(0)
	v_cmpx_lt_i16_e32 0x7f, v14
	s_xor_b32 s30, exec_lo, s30
	s_cbranch_execnz .LBB4_10199
; %bb.10171:                            ;   in Loop: Header=BB4_10160 Depth=3
	s_or_saveexec_b32 s30, s30
	v_mov_b32_e32 v53, s17
	s_xor_b32 exec_lo, exec_lo, s30
	s_cbranch_execnz .LBB4_10202
.LBB4_10172:                            ;   in Loop: Header=BB4_10160 Depth=3
	s_or_b32 exec_lo, exec_lo, s30
	s_and_saveexec_b32 s17, s13
	s_cbranch_execz .LBB4_10174
.LBB4_10173:                            ;   in Loop: Header=BB4_10160 Depth=3
	v_and_b32_e32 v53, 0xffff, v14
	v_lshlrev_b32_e32 v14, 24, v14
	s_delay_alu instid0(VALU_DEP_2) | instskip(NEXT) | instid1(VALU_DEP_2)
	v_and_b32_e32 v54, 3, v53
	v_and_b32_e32 v14, 0x80000000, v14
	s_delay_alu instid0(VALU_DEP_2) | instskip(NEXT) | instid1(VALU_DEP_1)
	v_clz_i32_u32_e32 v64, v54
	v_min_u32_e32 v64, 32, v64
	s_delay_alu instid0(VALU_DEP_1) | instskip(SKIP_1) | instid1(VALU_DEP_2)
	v_subrev_nc_u32_e32 v65, 29, v64
	v_sub_nc_u32_e32 v64, 30, v64
	v_lshlrev_b32_e32 v65, v65, v53
	v_bfe_u32 v53, v53, 2, 5
	s_delay_alu instid0(VALU_DEP_2) | instskip(NEXT) | instid1(VALU_DEP_2)
	v_and_b32_e32 v65, 3, v65
	v_cmp_eq_u32_e32 vcc_lo, 0, v53
	s_delay_alu instid0(VALU_DEP_2) | instskip(NEXT) | instid1(VALU_DEP_1)
	v_dual_cndmask_b32 v53, v53, v64 :: v_dual_cndmask_b32 v54, v54, v65
	v_lshl_add_u32 v53, v53, 23, 0x37800000
	s_delay_alu instid0(VALU_DEP_2) | instskip(NEXT) | instid1(VALU_DEP_1)
	v_lshlrev_b32_e32 v54, 21, v54
	v_or3_b32 v53, v14, v53, v54
.LBB4_10174:                            ;   in Loop: Header=BB4_10160 Depth=3
	s_or_b32 exec_lo, exec_lo, s17
	s_delay_alu instid0(VALU_DEP_1) | instskip(SKIP_1) | instid1(VALU_DEP_1)
	v_dual_mul_f32 v14, v15, v53 :: v_dual_mov_b32 v53, 0x80
	s_mov_b32 s17, exec_lo
	v_and_b32_e32 v15, 0x7f800000, v14
	s_delay_alu instid0(VALU_DEP_1)
	v_cmpx_ne_u32_e32 0x7f800000, v15
	s_cbranch_execz .LBB4_10182
; %bb.10175:                            ;   in Loop: Header=BB4_10160 Depth=3
	v_mov_b32_e32 v53, 0
	s_mov_b32 s30, exec_lo
	v_cmpx_ne_u32_e32 0, v14
	s_cbranch_execz .LBB4_10181
; %bb.10176:                            ;   in Loop: Header=BB4_10160 Depth=3
	v_bfe_u32 v15, v14, 23, 8
	v_and_b32_e32 v53, 0x7fffff, v14
	s_delay_alu instid0(VALU_DEP_2) | instskip(SKIP_1) | instid1(VALU_DEP_3)
	v_sub_nc_u32_e32 v54, 0x70, v15
	v_cmp_gt_u32_e32 vcc_lo, 0x71, v15
	v_or_b32_e32 v64, 0x800000, v53
	s_delay_alu instid0(VALU_DEP_3) | instskip(SKIP_2) | instid1(VALU_DEP_4)
	v_cndmask_b32_e32 v54, 0, v54, vcc_lo
	v_cmp_eq_u32_e32 vcc_lo, 0, v15
	v_add_nc_u32_e32 v15, 0xffffff91, v15
	v_cndmask_b32_e32 v53, v64, v53, vcc_lo
	s_delay_alu instid0(VALU_DEP_4) | instskip(NEXT) | instid1(VALU_DEP_3)
	v_cndmask_b32_e64 v54, v54, 0x6f, vcc_lo
	v_cndmask_b32_e64 v15, v15, 0xffffff92, vcc_lo
	s_delay_alu instid0(VALU_DEP_2) | instskip(SKIP_2) | instid1(VALU_DEP_4)
	v_lshrrev_b32_e32 v65, v54, v53
	v_lshl_add_u32 v64, 0x200000, v54, -1
	v_lshlrev_b32_e64 v67, v54, 0x100000
	v_add_nc_u32_e32 v54, v54, v15
	s_delay_alu instid0(VALU_DEP_4) | instskip(NEXT) | instid1(VALU_DEP_4)
	v_bfe_u32 v66, v65, 21, 1
	v_and_b32_e32 v53, v64, v53
	s_delay_alu instid0(VALU_DEP_2) | instskip(NEXT) | instid1(VALU_DEP_2)
	v_add_nc_u32_e32 v64, -1, v66
	v_cmp_eq_u32_e64 s13, v53, v67
	s_delay_alu instid0(VALU_DEP_1) | instskip(SKIP_2) | instid1(VALU_DEP_2)
	v_cndmask_b32_e64 v53, 0, v64, s13
	v_lshrrev_b32_e32 v64, 23, v65
	s_mov_b32 s13, exec_lo
	v_add_nc_u32_e32 v53, v53, v65
	s_delay_alu instid0(VALU_DEP_2) | instskip(NEXT) | instid1(VALU_DEP_2)
	v_xor_b32_e32 v64, 1, v64
	v_and_b32_e32 v15, 0x1fffff, v53
	s_delay_alu instid0(VALU_DEP_1) | instskip(NEXT) | instid1(VALU_DEP_3)
	v_add_nc_u32_e32 v53, v15, v65
                                        ; implicit-def: $vgpr15
	v_cmpx_ne_u32_e64 v54, v64
	s_xor_b32 s13, exec_lo, s13
; %bb.10177:                            ;   in Loop: Header=BB4_10160 Depth=3
	s_delay_alu instid0(VALU_DEP_2) | instskip(SKIP_2) | instid1(VALU_DEP_2)
	v_cmp_lt_u32_e32 vcc_lo, 0xffffff, v53
	v_sub_nc_u32_e32 v15, v54, v64
	v_cndmask_b32_e64 v54, 0, 1, vcc_lo
	v_add_co_ci_u32_e32 v15, vcc_lo, 0, v15, vcc_lo
	s_delay_alu instid0(VALU_DEP_2)
	v_lshrrev_b32_e32 v53, v54, v53
; %bb.10178:                            ;   in Loop: Header=BB4_10160 Depth=3
	s_and_not1_saveexec_b32 s13, s13
; %bb.10179:                            ;   in Loop: Header=BB4_10160 Depth=3
	s_delay_alu instid0(VALU_DEP_1)
	v_bfe_u32 v15, v53, 23, 1
; %bb.10180:                            ;   in Loop: Header=BB4_10160 Depth=3
	s_or_b32 exec_lo, exec_lo, s13
	v_lshrrev_b32_e32 v53, 21, v53
	s_delay_alu instid0(VALU_DEP_2) | instskip(SKIP_2) | instid1(VALU_DEP_2)
	v_cmp_gt_i32_e32 vcc_lo, 32, v15
	v_lshrrev_b32_e32 v14, 24, v14
	v_min_i32_e32 v54, 31, v15
	v_dual_cndmask_b32 v53, 3, v53 :: v_dual_and_b32 v14, 0x80, v14
	s_delay_alu instid0(VALU_DEP_2) | instskip(NEXT) | instid1(VALU_DEP_2)
	v_lshlrev_b32_e32 v54, 2, v54
	v_or_b32_e32 v15, v15, v53
	s_delay_alu instid0(VALU_DEP_1) | instskip(SKIP_1) | instid1(VALU_DEP_1)
	v_cmp_ne_u32_e32 vcc_lo, 0, v15
	v_and_b32_e32 v64, 3, v53
	v_or3_b32 v14, v54, v14, v64
	s_delay_alu instid0(VALU_DEP_1)
	v_cndmask_b32_e32 v53, 0, v14, vcc_lo
.LBB4_10181:                            ;   in Loop: Header=BB4_10160 Depth=3
	s_or_b32 exec_lo, exec_lo, s30
.LBB4_10182:                            ;   in Loop: Header=BB4_10160 Depth=3
	s_delay_alu instid0(SALU_CYCLE_1) | instskip(SKIP_4) | instid1(VALU_DEP_1)
	s_or_b32 exec_lo, exec_lo, s17
	flat_load_u8 v14, v[10:11] slc dlc
	v_and_b32_e32 v54, 0xff, v53
	s_mov_b32 s13, 0
	s_mov_b32 s30, exec_lo
                                        ; implicit-def: $sgpr17
	v_cmpx_lt_i16_e32 0x7f, v54
	s_xor_b32 s30, exec_lo, s30
	s_cbranch_execnz .LBB4_10203
; %bb.10183:                            ;   in Loop: Header=BB4_10160 Depth=3
	s_or_saveexec_b32 s30, s30
	v_mov_b32_e32 v15, s17
	s_xor_b32 exec_lo, exec_lo, s30
	s_cbranch_execnz .LBB4_10206
.LBB4_10184:                            ;   in Loop: Header=BB4_10160 Depth=3
	s_or_b32 exec_lo, exec_lo, s30
	s_and_saveexec_b32 s17, s13
	s_cbranch_execz .LBB4_10186
.LBB4_10185:                            ;   in Loop: Header=BB4_10160 Depth=3
	v_lshrrev_b16 v65, 2, v53
	s_delay_alu instid0(VALU_DEP_1) | instskip(NEXT) | instid1(VALU_DEP_1)
	v_and_b32_e32 v65, 31, v65
	v_cmp_eq_u32_e32 vcc_lo, 0, v65
	v_and_b32_e32 v15, 3, v53
	s_delay_alu instid0(VALU_DEP_1) | instskip(NEXT) | instid1(VALU_DEP_1)
	v_clz_i32_u32_e32 v54, v15
	v_min_u32_e32 v54, 32, v54
	s_delay_alu instid0(VALU_DEP_1) | instskip(SKIP_1) | instid1(VALU_DEP_2)
	v_subrev_nc_u32_e32 v64, 29, v54
	v_sub_nc_u32_e32 v54, 30, v54
	v_lshlrev_b32_e32 v64, v64, v53
	s_delay_alu instid0(VALU_DEP_2) | instskip(NEXT) | instid1(VALU_DEP_2)
	v_dual_cndmask_b32 v54, v65, v54 :: v_dual_lshlrev_b32 v53, 24, v53
	v_and_b32_e32 v64, 3, v64
	s_delay_alu instid0(VALU_DEP_2) | instskip(NEXT) | instid1(VALU_DEP_3)
	v_lshl_add_u32 v54, v54, 23, 0x37800000
	v_and_b32_e32 v53, 0x80000000, v53
	s_delay_alu instid0(VALU_DEP_3) | instskip(NEXT) | instid1(VALU_DEP_1)
	v_cndmask_b32_e32 v15, v15, v64, vcc_lo
	v_lshlrev_b32_e32 v15, 21, v15
	s_delay_alu instid0(VALU_DEP_1)
	v_or3_b32 v15, v53, v54, v15
.LBB4_10186:                            ;   in Loop: Header=BB4_10160 Depth=3
	s_or_b32 exec_lo, exec_lo, s17
	s_waitcnt vmcnt(0) lgkmcnt(0)
	v_and_b32_e32 v54, 0xff, v14
	s_mov_b32 s13, 0
	s_mov_b32 s30, exec_lo
                                        ; implicit-def: $sgpr17
	s_delay_alu instid0(VALU_DEP_1)
	v_cmpx_lt_i16_e32 0x7f, v54
	s_xor_b32 s30, exec_lo, s30
	s_cbranch_execnz .LBB4_10207
; %bb.10187:                            ;   in Loop: Header=BB4_10160 Depth=3
	s_or_saveexec_b32 s30, s30
	v_mov_b32_e32 v53, s17
	s_xor_b32 exec_lo, exec_lo, s30
	s_cbranch_execnz .LBB4_10210
.LBB4_10188:                            ;   in Loop: Header=BB4_10160 Depth=3
	s_or_b32 exec_lo, exec_lo, s30
	s_and_saveexec_b32 s17, s13
	s_cbranch_execz .LBB4_10190
.LBB4_10189:                            ;   in Loop: Header=BB4_10160 Depth=3
	v_and_b32_e32 v53, 3, v14
	v_lshrrev_b16 v65, 2, v14
	s_delay_alu instid0(VALU_DEP_2) | instskip(NEXT) | instid1(VALU_DEP_2)
	v_clz_i32_u32_e32 v54, v53
	v_and_b32_e32 v65, 31, v65
	s_delay_alu instid0(VALU_DEP_2) | instskip(NEXT) | instid1(VALU_DEP_2)
	v_min_u32_e32 v54, 32, v54
	v_cmp_eq_u32_e32 vcc_lo, 0, v65
	s_delay_alu instid0(VALU_DEP_2) | instskip(SKIP_1) | instid1(VALU_DEP_2)
	v_subrev_nc_u32_e32 v64, 29, v54
	v_sub_nc_u32_e32 v54, 30, v54
	v_lshlrev_b32_e32 v64, v64, v14
	s_delay_alu instid0(VALU_DEP_1) | instskip(NEXT) | instid1(VALU_DEP_1)
	v_and_b32_e32 v64, 3, v64
	v_dual_cndmask_b32 v53, v53, v64 :: v_dual_lshlrev_b32 v14, 24, v14
	s_delay_alu instid0(VALU_DEP_4) | instskip(NEXT) | instid1(VALU_DEP_2)
	v_cndmask_b32_e32 v54, v65, v54, vcc_lo
	v_and_b32_e32 v14, 0x80000000, v14
	s_delay_alu instid0(VALU_DEP_3) | instskip(NEXT) | instid1(VALU_DEP_3)
	v_lshlrev_b32_e32 v53, 21, v53
	v_lshl_add_u32 v54, v54, 23, 0x37800000
	s_delay_alu instid0(VALU_DEP_1)
	v_or3_b32 v53, v14, v54, v53
.LBB4_10190:                            ;   in Loop: Header=BB4_10160 Depth=3
	s_or_b32 exec_lo, exec_lo, s17
	s_delay_alu instid0(VALU_DEP_1) | instskip(NEXT) | instid1(VALU_DEP_1)
	v_add_f32_e32 v14, v15, v53
	v_and_b32_e32 v15, 0x7f800000, v14
	s_delay_alu instid0(VALU_DEP_1)
	v_cmp_ne_u32_e32 vcc_lo, 0x7f800000, v15
	v_mov_b32_e32 v15, 0x80
	s_and_saveexec_b32 s17, vcc_lo
	s_cbranch_execz .LBB4_10198
; %bb.10191:                            ;   in Loop: Header=BB4_10160 Depth=3
	v_mov_b32_e32 v15, 0
	s_mov_b32 s30, exec_lo
	v_cmpx_ne_u32_e32 0, v14
	s_cbranch_execz .LBB4_10197
; %bb.10192:                            ;   in Loop: Header=BB4_10160 Depth=3
	v_bfe_u32 v15, v14, 23, 8
	v_and_b32_e32 v53, 0x7fffff, v14
	s_delay_alu instid0(VALU_DEP_2) | instskip(SKIP_1) | instid1(VALU_DEP_3)
	v_sub_nc_u32_e32 v54, 0x70, v15
	v_cmp_gt_u32_e32 vcc_lo, 0x71, v15
	v_or_b32_e32 v64, 0x800000, v53
	s_delay_alu instid0(VALU_DEP_3) | instskip(SKIP_2) | instid1(VALU_DEP_4)
	v_cndmask_b32_e32 v54, 0, v54, vcc_lo
	v_cmp_eq_u32_e32 vcc_lo, 0, v15
	v_add_nc_u32_e32 v15, 0xffffff91, v15
	v_cndmask_b32_e32 v53, v64, v53, vcc_lo
	s_delay_alu instid0(VALU_DEP_4) | instskip(NEXT) | instid1(VALU_DEP_3)
	v_cndmask_b32_e64 v54, v54, 0x6f, vcc_lo
	v_cndmask_b32_e64 v15, v15, 0xffffff92, vcc_lo
	s_delay_alu instid0(VALU_DEP_2) | instskip(SKIP_2) | instid1(VALU_DEP_4)
	v_lshrrev_b32_e32 v65, v54, v53
	v_lshl_add_u32 v64, 0x200000, v54, -1
	v_lshlrev_b32_e64 v67, v54, 0x100000
	v_add_nc_u32_e32 v54, v54, v15
	s_delay_alu instid0(VALU_DEP_4) | instskip(NEXT) | instid1(VALU_DEP_4)
	v_bfe_u32 v66, v65, 21, 1
	v_and_b32_e32 v53, v64, v53
	s_delay_alu instid0(VALU_DEP_2) | instskip(NEXT) | instid1(VALU_DEP_2)
	v_add_nc_u32_e32 v64, -1, v66
	v_cmp_eq_u32_e64 s13, v53, v67
	s_delay_alu instid0(VALU_DEP_1) | instskip(SKIP_2) | instid1(VALU_DEP_2)
	v_cndmask_b32_e64 v53, 0, v64, s13
	v_lshrrev_b32_e32 v64, 23, v65
	s_mov_b32 s13, exec_lo
	v_add_nc_u32_e32 v53, v53, v65
	s_delay_alu instid0(VALU_DEP_2) | instskip(NEXT) | instid1(VALU_DEP_2)
	v_xor_b32_e32 v64, 1, v64
	v_and_b32_e32 v15, 0x1fffff, v53
	s_delay_alu instid0(VALU_DEP_1) | instskip(NEXT) | instid1(VALU_DEP_3)
	v_add_nc_u32_e32 v53, v15, v65
                                        ; implicit-def: $vgpr15
	v_cmpx_ne_u32_e64 v54, v64
	s_xor_b32 s13, exec_lo, s13
; %bb.10193:                            ;   in Loop: Header=BB4_10160 Depth=3
	s_delay_alu instid0(VALU_DEP_2) | instskip(SKIP_2) | instid1(VALU_DEP_2)
	v_cmp_lt_u32_e32 vcc_lo, 0xffffff, v53
	v_sub_nc_u32_e32 v15, v54, v64
	v_cndmask_b32_e64 v54, 0, 1, vcc_lo
	v_add_co_ci_u32_e32 v15, vcc_lo, 0, v15, vcc_lo
	s_delay_alu instid0(VALU_DEP_2)
	v_lshrrev_b32_e32 v53, v54, v53
; %bb.10194:                            ;   in Loop: Header=BB4_10160 Depth=3
	s_and_not1_saveexec_b32 s13, s13
; %bb.10195:                            ;   in Loop: Header=BB4_10160 Depth=3
	s_delay_alu instid0(VALU_DEP_1)
	v_bfe_u32 v15, v53, 23, 1
; %bb.10196:                            ;   in Loop: Header=BB4_10160 Depth=3
	s_or_b32 exec_lo, exec_lo, s13
	v_lshrrev_b32_e32 v53, 21, v53
	s_delay_alu instid0(VALU_DEP_2) | instskip(SKIP_2) | instid1(VALU_DEP_2)
	v_cmp_gt_i32_e32 vcc_lo, 32, v15
	v_lshrrev_b32_e32 v14, 24, v14
	v_min_i32_e32 v54, 31, v15
	v_dual_cndmask_b32 v53, 3, v53 :: v_dual_and_b32 v14, 0x80, v14
	s_delay_alu instid0(VALU_DEP_2) | instskip(NEXT) | instid1(VALU_DEP_2)
	v_lshlrev_b32_e32 v54, 2, v54
	v_or_b32_e32 v15, v15, v53
	s_delay_alu instid0(VALU_DEP_1) | instskip(SKIP_1) | instid1(VALU_DEP_1)
	v_cmp_ne_u32_e32 vcc_lo, 0, v15
	v_and_b32_e32 v64, 3, v53
	v_or3_b32 v14, v54, v14, v64
	s_delay_alu instid0(VALU_DEP_1)
	v_cndmask_b32_e32 v15, 0, v14, vcc_lo
.LBB4_10197:                            ;   in Loop: Header=BB4_10160 Depth=3
	s_or_b32 exec_lo, exec_lo, s30
.LBB4_10198:                            ;   in Loop: Header=BB4_10160 Depth=3
	s_delay_alu instid0(SALU_CYCLE_1)
	s_or_b32 exec_lo, exec_lo, s17
	v_add_co_u32 v8, vcc_lo, v8, v112
	v_sub_nc_u32_e32 v2, v2, v82
	v_add_co_ci_u32_e32 v9, vcc_lo, v9, v113, vcc_lo
	v_add_co_u32 v10, vcc_lo, v10, v112
	v_add_co_ci_u32_e32 v11, vcc_lo, v11, v113, vcc_lo
	flat_store_b8 v[12:13], v15 glc slc dlc
	v_cmp_gt_i32_e32 vcc_lo, 1, v2
	v_add_co_u32 v12, s13, v12, v112
	s_delay_alu instid0(VALU_DEP_1) | instskip(SKIP_1) | instid1(SALU_CYCLE_1)
	v_add_co_ci_u32_e64 v13, s13, v13, v113, s13
	s_or_b32 s16, vcc_lo, s16
	s_and_not1_b32 exec_lo, exec_lo, s16
	s_cbranch_execnz .LBB4_10160
	s_branch .LBB4_10211
.LBB4_10199:                            ;   in Loop: Header=BB4_10160 Depth=3
	s_mov_b32 s13, -1
	s_mov_b32 s31, exec_lo
                                        ; implicit-def: $sgpr17
	v_cmpx_eq_u16_e32 0x80, v14
; %bb.10200:                            ;   in Loop: Header=BB4_10160 Depth=3
	s_mov_b32 s17, 0x7f800001
	s_xor_b32 s13, exec_lo, -1
; %bb.10201:                            ;   in Loop: Header=BB4_10160 Depth=3
	s_or_b32 exec_lo, exec_lo, s31
	s_delay_alu instid0(SALU_CYCLE_1)
	s_and_b32 s13, s13, exec_lo
	s_or_saveexec_b32 s30, s30
	v_mov_b32_e32 v53, s17
	s_xor_b32 exec_lo, exec_lo, s30
	s_cbranch_execz .LBB4_10172
.LBB4_10202:                            ;   in Loop: Header=BB4_10160 Depth=3
	v_cmp_ne_u16_e32 vcc_lo, 0, v14
	v_mov_b32_e32 v53, 0
	s_and_not1_b32 s13, s13, exec_lo
	s_and_b32 s17, vcc_lo, exec_lo
	s_delay_alu instid0(SALU_CYCLE_1)
	s_or_b32 s13, s13, s17
	s_or_b32 exec_lo, exec_lo, s30
	s_and_saveexec_b32 s17, s13
	s_cbranch_execnz .LBB4_10173
	s_branch .LBB4_10174
.LBB4_10203:                            ;   in Loop: Header=BB4_10160 Depth=3
	s_mov_b32 s13, -1
	s_mov_b32 s31, exec_lo
                                        ; implicit-def: $sgpr17
	v_cmpx_eq_u16_e32 0x80, v54
; %bb.10204:                            ;   in Loop: Header=BB4_10160 Depth=3
	s_mov_b32 s17, 0x7f800001
	s_xor_b32 s13, exec_lo, -1
; %bb.10205:                            ;   in Loop: Header=BB4_10160 Depth=3
	s_or_b32 exec_lo, exec_lo, s31
	s_delay_alu instid0(SALU_CYCLE_1)
	s_and_b32 s13, s13, exec_lo
                                        ; implicit-def: $vgpr54
	s_or_saveexec_b32 s30, s30
	v_mov_b32_e32 v15, s17
	s_xor_b32 exec_lo, exec_lo, s30
	s_cbranch_execz .LBB4_10184
.LBB4_10206:                            ;   in Loop: Header=BB4_10160 Depth=3
	v_cmp_ne_u16_e32 vcc_lo, 0, v54
	v_mov_b32_e32 v15, 0
	s_and_not1_b32 s13, s13, exec_lo
	s_and_b32 s17, vcc_lo, exec_lo
	s_delay_alu instid0(SALU_CYCLE_1)
	s_or_b32 s13, s13, s17
	s_or_b32 exec_lo, exec_lo, s30
	s_and_saveexec_b32 s17, s13
	s_cbranch_execnz .LBB4_10185
	s_branch .LBB4_10186
.LBB4_10207:                            ;   in Loop: Header=BB4_10160 Depth=3
	s_mov_b32 s13, -1
	s_mov_b32 s31, exec_lo
                                        ; implicit-def: $sgpr17
	v_cmpx_eq_u16_e32 0x80, v54
; %bb.10208:                            ;   in Loop: Header=BB4_10160 Depth=3
	s_mov_b32 s17, 0x7f800001
	s_xor_b32 s13, exec_lo, -1
; %bb.10209:                            ;   in Loop: Header=BB4_10160 Depth=3
	s_or_b32 exec_lo, exec_lo, s31
	s_delay_alu instid0(SALU_CYCLE_1)
	s_and_b32 s13, s13, exec_lo
                                        ; implicit-def: $vgpr54
	s_or_saveexec_b32 s30, s30
	v_mov_b32_e32 v53, s17
	s_xor_b32 exec_lo, exec_lo, s30
	s_cbranch_execz .LBB4_10188
.LBB4_10210:                            ;   in Loop: Header=BB4_10160 Depth=3
	v_cmp_ne_u16_e32 vcc_lo, 0, v54
	v_mov_b32_e32 v53, 0
	s_and_not1_b32 s13, s13, exec_lo
	s_and_b32 s17, vcc_lo, exec_lo
	s_delay_alu instid0(SALU_CYCLE_1)
	s_or_b32 s13, s13, s17
	s_or_b32 exec_lo, exec_lo, s30
	s_and_saveexec_b32 s17, s13
	s_cbranch_execnz .LBB4_10189
	s_branch .LBB4_10190
.LBB4_10211:                            ;   in Loop: Header=BB4_4786 Depth=2
	s_or_b32 exec_lo, exec_lo, s15
.LBB4_10212:                            ;   in Loop: Header=BB4_4786 Depth=2
	s_delay_alu instid0(SALU_CYCLE_1)
	s_or_b32 exec_lo, exec_lo, s14
.LBB4_10213:                            ;   in Loop: Header=BB4_4786 Depth=2
	s_and_saveexec_b32 s13, s3
	s_cbranch_execz .LBB4_10235
; %bb.10214:                            ;   in Loop: Header=BB4_4786 Depth=2
	s_and_saveexec_b32 s14, s4
	s_delay_alu instid0(SALU_CYCLE_1)
	s_xor_b32 s14, exec_lo, s14
	s_cbranch_execz .LBB4_10232
; %bb.10215:                            ;   in Loop: Header=BB4_4786 Depth=2
	s_and_saveexec_b32 s15, s1
	s_cbranch_execz .LBB4_10231
; %bb.10216:                            ;   in Loop: Header=BB4_4786 Depth=2
	s_mov_b32 s17, exec_lo
	s_mov_b32 s16, exec_lo
	v_mbcnt_lo_u32_b32 v2, s17, 0
	s_waitcnt lgkmcnt(0)
	s_waitcnt_vscnt null, 0x0
	buffer_gl1_inv
	buffer_gl0_inv
	v_cmpx_eq_u32_e32 0, v2
	s_cbranch_execz .LBB4_10218
; %bb.10217:                            ;   in Loop: Header=BB4_4786 Depth=2
	s_bcnt1_i32_b32 s17, s17
	s_delay_alu instid0(SALU_CYCLE_1)
	v_mov_b32_e32 v2, s17
	ds_add_u64 v0, v[2:3]
	s_cbranch_execnz .LBB4_11245
.LBB4_10218:                            ;   in Loop: Header=BB4_4786 Depth=2
	s_or_b32 exec_lo, exec_lo, s16
	s_cbranch_execnz .LBB4_11219
; %bb.10219:                            ;   in Loop: Header=BB4_4786 Depth=2
	ds_load_b64 v[8:9], v0
	v_add_co_u32 v32, vcc_lo, v32, v81
	v_add_co_ci_u32_e32 v33, vcc_lo, 0, v33, vcc_lo
	s_mov_b32 s16, exec_lo
	s_waitcnt lgkmcnt(0)
	s_delay_alu instid0(VALU_DEP_1)
	v_cmpx_lt_u64_e64 v[8:9], v[32:33]
	s_cbranch_execz .LBB4_10230
; %bb.10220:                            ;   in Loop: Header=BB4_4786 Depth=2
	s_mov_b32 s17, 0
	s_mov_b32 s34, 0
                                        ; implicit-def: $sgpr30
                                        ; implicit-def: $sgpr31
	s_branch .LBB4_10222
.LBB4_10221:                            ;   in Loop: Header=BB4_10222 Depth=3
	s_or_b32 exec_lo, exec_lo, s36
	s_delay_alu instid0(SALU_CYCLE_1) | instskip(NEXT) | instid1(SALU_CYCLE_1)
	s_and_b32 vcc_lo, exec_lo, vcc_lo
	s_or_b32 s17, vcc_lo, s17
	s_and_not1_b32 vcc_lo, s30, exec_lo
	s_and_b32 s30, s31, exec_lo
	s_delay_alu instid0(SALU_CYCLE_1)
	s_or_b32 s30, vcc_lo, s30
	s_and_not1_b32 exec_lo, exec_lo, s17
	s_cbranch_execz .LBB4_10228
.LBB4_10222:                            ;   Parent Loop BB4_51 Depth=1
                                        ;     Parent Loop BB4_4786 Depth=2
                                        ; =>    This Inner Loop Header: Depth=3
	s_add_i32 s34, s34, 1
                                        ; implicit-def: $sgpr36
	s_delay_alu instid0(SALU_CYCLE_1) | instskip(SKIP_1) | instid1(SALU_CYCLE_1)
	s_cmpk_lg_i32 s34, 0x2710
	s_cselect_b32 s35, -1, 0
	s_and_b32 vcc_lo, exec_lo, s35
	s_cbranch_vccz .LBB4_10226
.LBB4_10223:                            ;   in Loop: Header=BB4_10222 Depth=3
	s_and_not1_b32 s31, s31, exec_lo
	s_and_b32 s36, s36, exec_lo
	s_mov_b32 vcc_lo, -1
	s_or_b32 s31, s31, s36
	s_and_saveexec_b32 s36, s35
	s_cbranch_execz .LBB4_10221
; %bb.10224:                            ;   in Loop: Header=BB4_10222 Depth=3
	s_sleep 1
	s_cbranch_execnz .LBB4_11311
; %bb.10225:                            ;   in Loop: Header=BB4_10222 Depth=3
	ds_load_b64 v[8:9], v0
	s_and_not1_b32 s31, s31, exec_lo
	s_waitcnt lgkmcnt(0)
	v_cmp_ge_u64_e32 vcc_lo, v[8:9], v[32:33]
	s_or_not1_b32 vcc_lo, vcc_lo, exec_lo
	s_branch .LBB4_10221
.LBB4_10226:                            ;   in Loop: Header=BB4_10222 Depth=3
	s_cbranch_execnz .LBB4_11325
; %bb.10227:                            ;   in Loop: Header=BB4_10222 Depth=3
	ds_load_b64 v[8:9], v0
	s_and_not1_b32 s35, s35, exec_lo
	s_mov_b32 s34, 0
	s_mov_b32 s36, -1
	s_waitcnt lgkmcnt(0)
	flat_load_b32 v2, v[8:9] glc
	s_waitcnt vmcnt(0) lgkmcnt(0)
	buffer_gl1_inv
	buffer_gl0_inv
	v_cmp_eq_u32_e32 vcc_lo, 0, v2
	s_and_b32 vcc_lo, vcc_lo, exec_lo
	s_delay_alu instid0(SALU_CYCLE_1)
	s_or_b32 s35, s35, vcc_lo
	s_branch .LBB4_10223
.LBB4_10228:                            ;   in Loop: Header=BB4_4786 Depth=2
	s_or_b32 exec_lo, exec_lo, s17
	s_and_saveexec_b32 s17, s30
	s_delay_alu instid0(SALU_CYCLE_1)
	s_xor_b32 s17, exec_lo, s17
	s_cbranch_execz .LBB4_10230
; %bb.10229:                            ;   in Loop: Header=BB4_4786 Depth=2
	ds_store_b32 v0, v118
	s_cbranch_execnz .LBB4_11433
.LBB4_10230:                            ;   in Loop: Header=BB4_4786 Depth=2
	s_or_b32 exec_lo, exec_lo, s16
	;;#ASMSTART
	s_wakeup
	;;#ASMEND
.LBB4_10231:                            ;   in Loop: Header=BB4_4786 Depth=2
	s_or_b32 exec_lo, exec_lo, s15
.LBB4_10232:                            ;   in Loop: Header=BB4_4786 Depth=2
	s_and_not1_saveexec_b32 s14, s14
	s_cbranch_execz .LBB4_10234
; %bb.10233:                            ;   in Loop: Header=BB4_4786 Depth=2
	s_waitcnt lgkmcnt(0)
	s_waitcnt_vscnt null, 0x0
	buffer_gl1_inv
	buffer_gl0_inv
	s_barrier
.LBB4_10234:                            ;   in Loop: Header=BB4_4786 Depth=2
	s_or_b32 exec_lo, exec_lo, s14
.LBB4_10235:                            ;   in Loop: Header=BB4_4786 Depth=2
	s_delay_alu instid0(SALU_CYCLE_1) | instskip(SKIP_1) | instid1(SALU_CYCLE_1)
	s_or_b32 exec_lo, exec_lo, s13
                                        ; implicit-def: $vgpr2
	s_and_saveexec_b32 s13, s7
	s_xor_b32 s14, exec_lo, s13
	s_cbranch_execz .LBB4_10239
; %bb.10236:                            ;   in Loop: Header=BB4_4786 Depth=2
	v_and_b32_e32 v2, 16, v30
	v_cmp_lt_i32_e32 vcc_lo, 0, v132
	s_delay_alu instid0(VALU_DEP_2) | instskip(SKIP_1) | instid1(VALU_DEP_2)
	v_cmp_ne_u32_e64 s13, 0, v2
	v_and_b32_e32 v2, 16, v30
	s_and_b32 s15, s13, vcc_lo
	s_delay_alu instid0(SALU_CYCLE_1)
	s_and_saveexec_b32 s13, s15
	s_cbranch_execz .LBB4_10238
; %bb.10237:                            ;   in Loop: Header=BB4_4786 Depth=2
	v_mov_b32_e32 v2, 1
	s_waitcnt lgkmcnt(0)
	s_waitcnt_vscnt null, 0x0
	buffer_gl1_inv
	buffer_gl0_inv
.LBB4_10238:                            ;   in Loop: Header=BB4_4786 Depth=2
	s_or_b32 exec_lo, exec_lo, s13
.LBB4_10239:                            ;   in Loop: Header=BB4_4786 Depth=2
	s_and_not1_saveexec_b32 s13, s14
	s_cbranch_execz .LBB4_10261
; %bb.10240:                            ;   in Loop: Header=BB4_4786 Depth=2
	s_and_saveexec_b32 s14, s4
	s_delay_alu instid0(SALU_CYCLE_1)
	s_xor_b32 s14, exec_lo, s14
	s_cbranch_execz .LBB4_10258
; %bb.10241:                            ;   in Loop: Header=BB4_4786 Depth=2
	s_and_saveexec_b32 s15, s1
	s_cbranch_execz .LBB4_10257
; %bb.10242:                            ;   in Loop: Header=BB4_4786 Depth=2
	s_mov_b32 s17, exec_lo
	s_mov_b32 s16, exec_lo
	v_mbcnt_lo_u32_b32 v2, s17, 0
	;;#ASMSTART
	s_waitcnt lgkmcnt(0) vmcnt(0)
	;;#ASMEND
	s_delay_alu instid0(VALU_DEP_1)
	v_cmpx_eq_u32_e32 0, v2
	s_cbranch_execz .LBB4_10244
; %bb.10243:                            ;   in Loop: Header=BB4_4786 Depth=2
	s_bcnt1_i32_b32 s17, s17
	s_delay_alu instid0(SALU_CYCLE_1)
	v_mov_b32_e32 v2, s17
	ds_add_u64 v0, v[2:3]
	s_cbranch_execnz .LBB4_11251
.LBB4_10244:                            ;   in Loop: Header=BB4_4786 Depth=2
	s_or_b32 exec_lo, exec_lo, s16
	s_cbranch_execnz .LBB4_11229
; %bb.10245:                            ;   in Loop: Header=BB4_4786 Depth=2
	ds_load_b64 v[8:9], v0
	v_add_co_u32 v32, vcc_lo, v32, v81
	v_add_co_ci_u32_e32 v33, vcc_lo, 0, v33, vcc_lo
	s_mov_b32 s16, exec_lo
	s_waitcnt lgkmcnt(0)
	s_delay_alu instid0(VALU_DEP_1)
	v_cmpx_lt_u64_e64 v[8:9], v[32:33]
	s_cbranch_execz .LBB4_10256
; %bb.10246:                            ;   in Loop: Header=BB4_4786 Depth=2
	s_mov_b32 s17, 0
	s_mov_b32 s34, 0
                                        ; implicit-def: $sgpr30
                                        ; implicit-def: $sgpr31
	s_branch .LBB4_10248
.LBB4_10247:                            ;   in Loop: Header=BB4_10248 Depth=3
	s_or_b32 exec_lo, exec_lo, s36
	s_delay_alu instid0(SALU_CYCLE_1) | instskip(NEXT) | instid1(SALU_CYCLE_1)
	s_and_b32 vcc_lo, exec_lo, vcc_lo
	s_or_b32 s17, vcc_lo, s17
	s_and_not1_b32 vcc_lo, s30, exec_lo
	s_and_b32 s30, s31, exec_lo
	s_delay_alu instid0(SALU_CYCLE_1)
	s_or_b32 s30, vcc_lo, s30
	s_and_not1_b32 exec_lo, exec_lo, s17
	s_cbranch_execz .LBB4_10254
.LBB4_10248:                            ;   Parent Loop BB4_51 Depth=1
                                        ;     Parent Loop BB4_4786 Depth=2
                                        ; =>    This Inner Loop Header: Depth=3
	s_add_i32 s34, s34, 1
                                        ; implicit-def: $sgpr36
	s_delay_alu instid0(SALU_CYCLE_1) | instskip(SKIP_1) | instid1(SALU_CYCLE_1)
	s_cmpk_lg_i32 s34, 0x2710
	s_cselect_b32 s35, -1, 0
	s_and_b32 vcc_lo, exec_lo, s35
	s_cbranch_vccz .LBB4_10252
.LBB4_10249:                            ;   in Loop: Header=BB4_10248 Depth=3
	s_and_not1_b32 s31, s31, exec_lo
	s_and_b32 s36, s36, exec_lo
	s_mov_b32 vcc_lo, -1
	s_or_b32 s31, s31, s36
	s_and_saveexec_b32 s36, s35
	s_cbranch_execz .LBB4_10247
; %bb.10250:                            ;   in Loop: Header=BB4_10248 Depth=3
	s_sleep 1
	s_cbranch_execnz .LBB4_11313
; %bb.10251:                            ;   in Loop: Header=BB4_10248 Depth=3
	ds_load_b64 v[8:9], v0
	s_and_not1_b32 s31, s31, exec_lo
	s_waitcnt lgkmcnt(0)
	v_cmp_ge_u64_e32 vcc_lo, v[8:9], v[32:33]
	s_or_not1_b32 vcc_lo, vcc_lo, exec_lo
	s_branch .LBB4_10247
.LBB4_10252:                            ;   in Loop: Header=BB4_10248 Depth=3
	s_cbranch_execnz .LBB4_11327
; %bb.10253:                            ;   in Loop: Header=BB4_10248 Depth=3
	ds_load_b64 v[8:9], v0
	s_and_not1_b32 s35, s35, exec_lo
	s_mov_b32 s34, 0
	s_mov_b32 s36, -1
	s_waitcnt lgkmcnt(0)
	s_waitcnt_vscnt null, 0x0
	flat_load_b32 v2, v[8:9] glc
	s_waitcnt vmcnt(0) lgkmcnt(0)
	buffer_gl1_inv
	buffer_gl0_inv
	v_cmp_eq_u32_e32 vcc_lo, 0, v2
	s_and_b32 vcc_lo, vcc_lo, exec_lo
	s_delay_alu instid0(SALU_CYCLE_1)
	s_or_b32 s35, s35, vcc_lo
	s_branch .LBB4_10249
.LBB4_10254:                            ;   in Loop: Header=BB4_4786 Depth=2
	s_or_b32 exec_lo, exec_lo, s17
	s_and_saveexec_b32 s17, s30
	s_delay_alu instid0(SALU_CYCLE_1)
	s_xor_b32 s17, exec_lo, s17
	s_cbranch_execz .LBB4_10256
; %bb.10255:                            ;   in Loop: Header=BB4_4786 Depth=2
	ds_store_b32 v0, v118
	s_cbranch_execnz .LBB4_11435
.LBB4_10256:                            ;   in Loop: Header=BB4_4786 Depth=2
	s_or_b32 exec_lo, exec_lo, s16
	;;#ASMSTART
	s_wakeup
	;;#ASMEND
.LBB4_10257:                            ;   in Loop: Header=BB4_4786 Depth=2
	s_or_b32 exec_lo, exec_lo, s15
.LBB4_10258:                            ;   in Loop: Header=BB4_4786 Depth=2
	s_and_not1_saveexec_b32 s14, s14
	s_cbranch_execz .LBB4_10260
; %bb.10259:                            ;   in Loop: Header=BB4_4786 Depth=2
	;;#ASMSTART
	s_waitcnt lgkmcnt(0) vmcnt(0)
	;;#ASMEND
	s_waitcnt lgkmcnt(0)
	s_waitcnt_vscnt null, 0x0
	s_barrier
.LBB4_10260:                            ;   in Loop: Header=BB4_4786 Depth=2
	s_or_b32 exec_lo, exec_lo, s14
	v_and_b32_e32 v2, 16, v30
.LBB4_10261:                            ;   in Loop: Header=BB4_4786 Depth=2
	s_or_b32 exec_lo, exec_lo, s13
	s_delay_alu instid0(VALU_DEP_1) | instskip(SKIP_1) | instid1(SALU_CYCLE_1)
	v_cmp_ne_u32_e32 vcc_lo, 0, v2
	s_xor_b32 s13, s10, -1
	s_and_b32 s14, vcc_lo, s13
	s_delay_alu instid0(SALU_CYCLE_1)
	s_and_saveexec_b32 s13, s14
	s_cbranch_execz .LBB4_10263
; %bb.10262:                            ;   in Loop: Header=BB4_4786 Depth=2
	s_waitcnt lgkmcnt(0)
	s_waitcnt_vscnt null, 0x0
	flat_store_b32 v[28:29], v118
.LBB4_10263:                            ;   in Loop: Header=BB4_4786 Depth=2
	s_or_b32 exec_lo, exec_lo, s13
	v_and_b32_e32 v2, 48, v30
	s_mov_b32 s13, exec_lo
	s_delay_alu instid0(VALU_DEP_1)
	v_cmpx_ne_u32_e32 0, v2
	s_cbranch_execz .LBB4_10265
; %bb.10264:                            ;   in Loop: Header=BB4_4786 Depth=2
	v_add_co_u32 v24, vcc_lo, v24, 2
	v_add_co_ci_u32_e32 v25, vcc_lo, 0, v25, vcc_lo
	s_waitcnt lgkmcnt(0)
	s_waitcnt_vscnt null, 0x0
	flat_store_b64 v[22:23], v[24:25]
.LBB4_10265:                            ;   in Loop: Header=BB4_4786 Depth=2
	s_or_b32 exec_lo, exec_lo, s13
	v_add_nc_u32_e32 v129, v52, v129
	v_readlane_b32 s13, v122, 7
	v_readlane_b32 s37, v122, 9
	;; [unrolled: 1-line block ×4, first 2 shown]
	v_cmp_ge_i32_e32 vcc_lo, v129, v55
	s_xor_b32 s13, s13, -1
	v_readlane_b32 s30, v122, 2
	v_readlane_b32 s31, v122, 1
	s_mov_b32 s16, 0
	s_or_b32 s13, s13, vcc_lo
	s_mov_b32 s17, 2
	s_and_b32 s14, exec_lo, s13
	v_readlane_b32 s13, v122, 8
	s_or_b32 s37, s14, s37
	v_readlane_b32 s14, v122, 3
	s_delay_alu instid0(VALU_DEP_2)
	v_mov_b32_e32 v2, s13
	s_and_not1_b32 exec_lo, exec_lo, s37
	s_cbranch_execz .LBB4_10266
; %bb.11721:                            ;   in Loop: Header=BB4_4786 Depth=2
	s_getpc_b64 s[48:49]
.Lpost_getpc269:
	s_add_u32 s48, s48, (.LBB4_4786-.Lpost_getpc269)&4294967295
	s_addc_u32 s49, s49, (.LBB4_4786-.Lpost_getpc269)>>32
	s_setpc_b64 s[48:49]
.LBB4_10266:                            ;   in Loop: Header=BB4_51 Depth=1
	s_or_b32 exec_lo, exec_lo, s37
	v_readlane_b32 s13, v122, 6
.LBB4_10267:                            ;   in Loop: Header=BB4_51 Depth=1
	s_delay_alu instid0(VALU_DEP_1) | instskip(NEXT) | instid1(SALU_CYCLE_1)
	s_or_b32 exec_lo, exec_lo, s13
	s_mov_b32 s15, exec_lo
	v_cmpx_gt_i32_e32 2, v2
	s_cbranch_execz .LBB4_10353
; %bb.10268:                            ;   in Loop: Header=BB4_51 Depth=1
	v_cmp_eq_u32_e64 s13, 0, v2
	s_mov_b32 s16, 0
.LBB4_10269:                            ;   Parent Loop BB4_51 Depth=1
                                        ; =>  This Loop Header: Depth=2
                                        ;       Child Loop BB4_10275 Depth 3
                                        ;       Child Loop BB4_10307 Depth 3
	;; [unrolled: 1-line block ×3, first 2 shown]
	v_and_b32_e32 v2, 12, v30
	s_mov_b32 s36, -1
	s_mov_b32 s17, exec_lo
	s_delay_alu instid0(VALU_DEP_1)
	v_cmpx_ne_u32_e32 0, v2
	s_cbranch_execz .LBB4_10283
; %bb.10270:                            ;   in Loop: Header=BB4_10269 Depth=2
	v_and_b32_e32 v2, 8, v30
	s_delay_alu instid0(VALU_DEP_1) | instskip(SKIP_3) | instid1(VALU_DEP_1)
	v_add_co_u32 v10, vcc_lo, v34, v2
	v_add_co_ci_u32_e32 v11, vcc_lo, 0, v35, vcc_lo
	v_add_co_u32 v8, vcc_lo, v24, 2
	v_add_co_ci_u32_e32 v9, vcc_lo, 0, v25, vcc_lo
	v_cmp_lt_u64_e32 vcc_lo, v[10:11], v[8:9]
	v_mov_b32_e32 v10, 1
	s_and_saveexec_b32 s36, vcc_lo
	s_cbranch_execz .LBB4_10282
; %bb.10271:                            ;   in Loop: Header=BB4_10269 Depth=2
	v_mov_b32_e32 v10, 0
	s_mov_b32 s37, 0
                                        ; implicit-def: $sgpr38
	s_branch .LBB4_10275
.LBB4_10272:                            ;   in Loop: Header=BB4_10275 Depth=3
	s_or_b32 exec_lo, exec_lo, s42
	v_mov_b32_e32 v11, 0
	s_or_not1_b32 s41, s41, exec_lo
.LBB4_10273:                            ;   in Loop: Header=BB4_10275 Depth=3
	s_or_b32 exec_lo, exec_lo, s40
	s_delay_alu instid0(VALU_DEP_1) | instskip(SKIP_2) | instid1(SALU_CYCLE_1)
	v_mov_b32_e32 v10, v11
	s_and_not1_b32 vcc_lo, s38, exec_lo
	s_and_b32 s38, s41, exec_lo
	s_or_b32 s38, vcc_lo, s38
.LBB4_10274:                            ;   in Loop: Header=BB4_10275 Depth=3
	s_or_b32 exec_lo, exec_lo, s39
	s_waitcnt vmcnt(0) lgkmcnt(0)
	v_add_co_u32 v11, vcc_lo, v34, v2
	v_add_co_ci_u32_e32 v12, vcc_lo, 0, v35, vcc_lo
	s_xor_b32 s39, s38, -1
	s_delay_alu instid0(VALU_DEP_1) | instskip(SKIP_1) | instid1(SALU_CYCLE_1)
	v_cmp_ge_u64_e32 vcc_lo, v[11:12], v[8:9]
	s_or_b32 vcc_lo, s39, vcc_lo
	s_and_b32 vcc_lo, exec_lo, vcc_lo
	s_delay_alu instid0(SALU_CYCLE_1) | instskip(NEXT) | instid1(SALU_CYCLE_1)
	s_or_b32 s37, vcc_lo, s37
	s_and_not1_b32 exec_lo, exec_lo, s37
	s_cbranch_execz .LBB4_10281
.LBB4_10275:                            ;   Parent Loop BB4_51 Depth=1
                                        ;     Parent Loop BB4_10269 Depth=2
                                        ; =>    This Inner Loop Header: Depth=3
	s_sleep 1
	flat_load_b64 v[34:35], v[22:23] glc
	v_and_b32_e32 v11, 64, v30
	s_and_not1_b32 s38, s38, exec_lo
	s_mov_b32 s39, exec_lo
	s_delay_alu instid0(VALU_DEP_1)
	v_cmpx_eq_u32_e32 0, v11
	s_cbranch_execz .LBB4_10274
; %bb.10276:                            ;   in Loop: Header=BB4_10275 Depth=3
	v_add_nc_u32_e32 v11, 1, v10
	s_mov_b32 s41, -1
	s_mov_b32 s40, exec_lo
	v_cmpx_lt_i32_e32 0x270e, v10
	s_cbranch_execz .LBB4_10273
; %bb.10277:                            ;   in Loop: Header=BB4_10275 Depth=3
	s_cbranch_execnz .LBB4_11015
; %bb.10278:                            ;   in Loop: Header=BB4_10275 Depth=3
	ds_load_b64 v[10:11], v0
	s_mov_b32 s42, exec_lo
	s_waitcnt vmcnt(0) lgkmcnt(0)
	s_waitcnt_vscnt null, 0x0
	flat_load_b32 v10, v[10:11] glc
	s_waitcnt vmcnt(0) lgkmcnt(0)
	buffer_gl1_inv
	buffer_gl0_inv
	v_cmpx_ne_u32_e32 0, v10
	s_cbranch_execz .LBB4_10272
; %bb.10279:                            ;   in Loop: Header=BB4_10275 Depth=3
	ds_store_b32 v0, v10
	s_cbranch_execnz .LBB4_11071
; %bb.10280:                            ;   in Loop: Header=BB4_10275 Depth=3
	v_or_b32_e32 v30, 64, v30
	s_xor_b32 s41, exec_lo, -1
	s_branch .LBB4_10272
.LBB4_10281:                            ;   in Loop: Header=BB4_10269 Depth=2
	s_or_b32 exec_lo, exec_lo, s37
	v_and_b32_e32 v10, 12, v30
.LBB4_10282:                            ;   in Loop: Header=BB4_10269 Depth=2
	s_or_b32 exec_lo, exec_lo, s36
	s_delay_alu instid0(VALU_DEP_1)
	v_cmp_eq_u32_e32 vcc_lo, 0, v10
	;;#ASMSTART
	s_wakeup
	;;#ASMEND
	s_or_not1_b32 s36, vcc_lo, exec_lo
.LBB4_10283:                            ;   in Loop: Header=BB4_10269 Depth=2
	s_or_b32 exec_lo, exec_lo, s17
	v_sub_nc_u32_e32 v2, v55, v129
	s_xor_b32 s13, s13, -1
	s_delay_alu instid0(SALU_CYCLE_1) | instskip(NEXT) | instid1(SALU_CYCLE_1)
	s_and_b32 s13, exec_lo, s13
	s_or_b32 s16, s13, s16
	s_delay_alu instid0(VALU_DEP_1) | instskip(SKIP_1) | instid1(SALU_CYCLE_1)
	v_min_i32_e32 v52, v52, v2
	s_xor_b32 s13, s36, -1
	s_and_saveexec_b32 s17, s13
	s_cbranch_execz .LBB4_10298
; %bb.10284:                            ;   in Loop: Header=BB4_10269 Depth=2
	v_and_b32_e32 v2, 0x108, v30
	s_mov_b32 s13, exec_lo
	s_delay_alu instid0(VALU_DEP_1)
	v_cmpx_ne_u32_e32 0x108, v2
	s_xor_b32 s13, exec_lo, s13
                                        ; implicit-def: $vgpr8_vgpr9
; %bb.10285:                            ;   in Loop: Header=BB4_10269 Depth=2
	v_and_b32_e32 v8, 7, v24
; %bb.10286:                            ;   in Loop: Header=BB4_10269 Depth=2
	s_and_not1_saveexec_b32 s13, s13
	s_cbranch_execz .LBB4_10288
; %bb.10287:                            ;   in Loop: Header=BB4_10269 Depth=2
	v_and_b32_e32 v8, 7, v24
	v_ashrrev_i32_e32 v53, 31, v52
	s_delay_alu instid0(VALU_DEP_2)
	v_mad_u64_u32 v[9:10], null, v8, 24, v[6:7]
	flat_store_b64 v[9:10], v[52:53] offset:8
.LBB4_10288:                            ;   in Loop: Header=BB4_10269 Depth=2
	s_or_b32 exec_lo, exec_lo, s13
	v_and_b32_e32 v2, 0x100, v30
	s_mov_b32 s13, -1
	s_mov_b32 s36, exec_lo
                                        ; implicit-def: $vgpr9_vgpr10
	s_delay_alu instid0(VALU_DEP_1)
	v_cmpx_ne_u32_e32 0, v2
	s_cbranch_execnz .LBB4_10291
; %bb.10289:                            ;   in Loop: Header=BB4_10269 Depth=2
	s_or_b32 exec_lo, exec_lo, s36
	s_and_saveexec_b32 vcc_lo, s13
	s_cbranch_execnz .LBB4_10294
.LBB4_10290:                            ;   in Loop: Header=BB4_10269 Depth=2
	s_or_b32 exec_lo, exec_lo, vcc_lo
	s_cbranch_execnz .LBB4_11011
	s_branch .LBB4_10295
.LBB4_10291:                            ;   in Loop: Header=BB4_10269 Depth=2
	v_mad_u64_u32 v[11:12], null, v8, 24, v[6:7]
	s_mov_b32 s37, exec_lo
	s_delay_alu instid0(VALU_DEP_1) | instskip(NEXT) | instid1(VALU_DEP_1)
	v_mov_b32_e32 v2, v12
	v_mad_u64_u32 v[9:10], null, v3, 24, v[2:3]
	s_delay_alu instid0(VALU_DEP_1)
	v_mov_b32_e32 v12, v9
                                        ; implicit-def: $vgpr9_vgpr10
	flat_load_b32 v2, v[11:12]
	s_waitcnt vmcnt(0) lgkmcnt(0)
	v_cmp_ne_u32_e32 vcc_lo, 1, v2
	v_cmpx_eq_u32_e32 1, v2
	s_cbranch_execz .LBB4_10293
; %bb.10292:                            ;   in Loop: Header=BB4_10269 Depth=2
	flat_load_b32 v9, v[11:12] offset:4 glc
	s_waitcnt vmcnt(0) lgkmcnt(0)
	v_ashrrev_i32_e32 v10, 31, v9
.LBB4_10293:                            ;   in Loop: Header=BB4_10269 Depth=2
	s_or_b32 exec_lo, exec_lo, s37
	s_delay_alu instid0(SALU_CYCLE_1)
	s_or_not1_b32 s13, vcc_lo, exec_lo
	s_or_b32 exec_lo, exec_lo, s36
	s_and_saveexec_b32 vcc_lo, s13
	s_cbranch_execz .LBB4_10290
.LBB4_10294:                            ;   in Loop: Header=BB4_10269 Depth=2
	v_mul_lo_u32 v2, v3, v70
	v_mul_lo_u32 v11, v8, v80
	v_mad_u64_u32 v[9:10], null, v8, v70, 0
	s_delay_alu instid0(VALU_DEP_1)
	v_add3_u32 v10, v10, v11, v2
	s_or_b32 exec_lo, exec_lo, vcc_lo
	s_cbranch_execnz .LBB4_11011
.LBB4_10295:                            ;   in Loop: Header=BB4_10269 Depth=2
	s_delay_alu instid0(VALU_DEP_2)
	v_add_co_u32 v8, vcc_lo, v26, v9
	v_and_b32_e32 v2, 0x2000, v30
	v_add_co_ci_u32_e32 v9, vcc_lo, v27, v10, vcc_lo
	s_mov_b32 s13, exec_lo
	ds_store_b64 v0, v[8:9]
	v_cmpx_ne_u32_e32 0, v2
	s_cbranch_execz .LBB4_10297
; %bb.10296:                            ;   in Loop: Header=BB4_10269 Depth=2
	ds_load_b64 v[8:9], v0 offset:584
	s_waitcnt lgkmcnt(0)
	v_add_co_u32 v8, vcc_lo, v8, 1
	v_add_co_ci_u32_e32 v9, vcc_lo, 0, v9, vcc_lo
	ds_store_b64 v0, v[8:9] offset:584
.LBB4_10297:                            ;   in Loop: Header=BB4_10269 Depth=2
	s_or_b32 exec_lo, exec_lo, s13
	v_add_co_u32 v24, vcc_lo, v24, 2
	v_add_co_ci_u32_e32 v25, vcc_lo, 0, v25, vcc_lo
.LBB4_10298:                            ;   in Loop: Header=BB4_10269 Depth=2
	s_or_b32 exec_lo, exec_lo, s17
	s_and_saveexec_b32 s13, s3
	s_cbranch_execz .LBB4_10320
; %bb.10299:                            ;   in Loop: Header=BB4_10269 Depth=2
	s_and_saveexec_b32 s17, s4
	s_delay_alu instid0(SALU_CYCLE_1)
	s_xor_b32 s17, exec_lo, s17
	s_cbranch_execz .LBB4_10317
; %bb.10300:                            ;   in Loop: Header=BB4_10269 Depth=2
	s_and_saveexec_b32 s36, s1
	s_cbranch_execz .LBB4_10316
; %bb.10301:                            ;   in Loop: Header=BB4_10269 Depth=2
	s_mov_b32 s38, exec_lo
	s_mov_b32 s37, exec_lo
	v_mbcnt_lo_u32_b32 v2, s38, 0
	s_waitcnt lgkmcnt(0)
	s_waitcnt_vscnt null, 0x0
	buffer_gl1_inv
	buffer_gl0_inv
	v_cmpx_eq_u32_e32 0, v2
	s_cbranch_execz .LBB4_10303
; %bb.10302:                            ;   in Loop: Header=BB4_10269 Depth=2
	s_bcnt1_i32_b32 vcc_lo, s38
	s_delay_alu instid0(SALU_CYCLE_1)
	v_mov_b32_e32 v2, vcc_lo
	ds_add_u64 v0, v[2:3]
	s_cbranch_execnz .LBB4_11125
.LBB4_10303:                            ;   in Loop: Header=BB4_10269 Depth=2
	s_or_b32 exec_lo, exec_lo, s37
	s_cbranch_execnz .LBB4_11101
; %bb.10304:                            ;   in Loop: Header=BB4_10269 Depth=2
	ds_load_b64 v[8:9], v0
	v_add_co_u32 v32, vcc_lo, v32, v81
	v_add_co_ci_u32_e32 v33, vcc_lo, 0, v33, vcc_lo
	s_mov_b32 s37, exec_lo
	s_waitcnt lgkmcnt(0)
	s_delay_alu instid0(VALU_DEP_1)
	v_cmpx_lt_u64_e64 v[8:9], v[32:33]
	s_cbranch_execz .LBB4_10315
; %bb.10305:                            ;   in Loop: Header=BB4_10269 Depth=2
	s_mov_b32 s38, 0
	s_mov_b32 s41, 0
                                        ; implicit-def: $sgpr39
                                        ; implicit-def: $sgpr40
	s_branch .LBB4_10307
.LBB4_10306:                            ;   in Loop: Header=BB4_10307 Depth=3
	s_or_b32 exec_lo, exec_lo, s43
	s_delay_alu instid0(SALU_CYCLE_1) | instskip(NEXT) | instid1(SALU_CYCLE_1)
	s_and_b32 vcc_lo, exec_lo, vcc_lo
	s_or_b32 s38, vcc_lo, s38
	s_and_not1_b32 vcc_lo, s39, exec_lo
	s_and_b32 s39, s40, exec_lo
	s_delay_alu instid0(SALU_CYCLE_1)
	s_or_b32 s39, vcc_lo, s39
	s_and_not1_b32 exec_lo, exec_lo, s38
	s_cbranch_execz .LBB4_10313
.LBB4_10307:                            ;   Parent Loop BB4_51 Depth=1
                                        ;     Parent Loop BB4_10269 Depth=2
                                        ; =>    This Inner Loop Header: Depth=3
	s_add_i32 s41, s41, 1
                                        ; implicit-def: $sgpr43
	s_delay_alu instid0(SALU_CYCLE_1) | instskip(SKIP_1) | instid1(SALU_CYCLE_1)
	s_cmpk_lg_i32 s41, 0x2710
	s_cselect_b32 s42, -1, 0
	s_and_b32 vcc_lo, exec_lo, s42
	s_cbranch_vccz .LBB4_10311
.LBB4_10308:                            ;   in Loop: Header=BB4_10307 Depth=3
	s_and_not1_b32 s40, s40, exec_lo
	s_and_b32 s43, s43, exec_lo
	s_mov_b32 vcc_lo, -1
	s_or_b32 s40, s40, s43
	s_and_saveexec_b32 s43, s42
	s_cbranch_execz .LBB4_10306
; %bb.10309:                            ;   in Loop: Header=BB4_10307 Depth=3
	s_sleep 1
	s_cbranch_execnz .LBB4_11179
; %bb.10310:                            ;   in Loop: Header=BB4_10307 Depth=3
	ds_load_b64 v[8:9], v0
	s_and_not1_b32 s40, s40, exec_lo
	s_waitcnt lgkmcnt(0)
	v_cmp_ge_u64_e32 vcc_lo, v[8:9], v[32:33]
	s_or_not1_b32 vcc_lo, vcc_lo, exec_lo
	s_branch .LBB4_10306
.LBB4_10311:                            ;   in Loop: Header=BB4_10307 Depth=3
	s_cbranch_execnz .LBB4_11193
; %bb.10312:                            ;   in Loop: Header=BB4_10307 Depth=3
	ds_load_b64 v[8:9], v0
	s_and_not1_b32 s42, s42, exec_lo
	s_mov_b32 s41, 0
	s_mov_b32 s43, -1
	s_waitcnt lgkmcnt(0)
	flat_load_b32 v2, v[8:9] glc
	s_waitcnt vmcnt(0) lgkmcnt(0)
	buffer_gl1_inv
	buffer_gl0_inv
	v_cmp_eq_u32_e32 vcc_lo, 0, v2
	s_and_b32 vcc_lo, vcc_lo, exec_lo
	s_delay_alu instid0(SALU_CYCLE_1)
	s_or_b32 s42, s42, vcc_lo
	s_branch .LBB4_10308
.LBB4_10313:                            ;   in Loop: Header=BB4_10269 Depth=2
	s_or_b32 exec_lo, exec_lo, s38
	s_and_saveexec_b32 vcc_lo, s39
	s_delay_alu instid0(SALU_CYCLE_1)
	s_xor_b32 vcc_lo, exec_lo, vcc_lo
	s_cbranch_execz .LBB4_10315
; %bb.10314:                            ;   in Loop: Header=BB4_10269 Depth=2
	ds_store_b32 v0, v118
	s_cbranch_execnz .LBB4_11395
.LBB4_10315:                            ;   in Loop: Header=BB4_10269 Depth=2
	s_or_b32 exec_lo, exec_lo, s37
	;;#ASMSTART
	s_wakeup
	;;#ASMEND
.LBB4_10316:                            ;   in Loop: Header=BB4_10269 Depth=2
	s_or_b32 exec_lo, exec_lo, s36
.LBB4_10317:                            ;   in Loop: Header=BB4_10269 Depth=2
	s_and_not1_saveexec_b32 s17, s17
	s_cbranch_execz .LBB4_10319
; %bb.10318:                            ;   in Loop: Header=BB4_10269 Depth=2
	s_waitcnt lgkmcnt(0)
	s_waitcnt_vscnt null, 0x0
	buffer_gl1_inv
	buffer_gl0_inv
	s_barrier
.LBB4_10319:                            ;   in Loop: Header=BB4_10269 Depth=2
	s_or_b32 exec_lo, exec_lo, s17
.LBB4_10320:                            ;   in Loop: Header=BB4_10269 Depth=2
	s_delay_alu instid0(SALU_CYCLE_1) | instskip(SKIP_1) | instid1(SALU_CYCLE_1)
	s_or_b32 exec_lo, exec_lo, s13
                                        ; implicit-def: $vgpr2
	s_and_saveexec_b32 s13, s7
	s_xor_b32 s17, exec_lo, s13
	s_cbranch_execz .LBB4_10325
; %bb.10321:                            ;   in Loop: Header=BB4_10269 Depth=2
	s_cbranch_execnz .LBB4_11025
; %bb.10322:                            ;   in Loop: Header=BB4_10269 Depth=2
	ds_load_b32 v2, v0
	v_cmp_lt_i32_e32 vcc_lo, 0, v52
	s_waitcnt lgkmcnt(0)
	v_readfirstlane_b32 s13, v2
	v_and_b32_e32 v2, 16, v30
	s_delay_alu instid0(VALU_DEP_2) | instskip(NEXT) | instid1(VALU_DEP_1)
	s_cmp_eq_u32 s13, 0
	v_cmp_ne_u32_e64 s13, 0, v2
	s_cselect_b32 s36, -1, 0
	v_and_b32_e32 v2, 16, v30
	s_and_b32 vcc_lo, vcc_lo, s36
	s_delay_alu instid0(VALU_DEP_2) | instid1(SALU_CYCLE_1)
	s_and_b32 vcc_lo, s13, vcc_lo
	s_delay_alu instid0(SALU_CYCLE_1)
	s_and_saveexec_b32 s13, vcc_lo
	s_cbranch_execz .LBB4_10324
; %bb.10323:                            ;   in Loop: Header=BB4_10269 Depth=2
	v_mov_b32_e32 v2, 1
	s_waitcnt_vscnt null, 0x0
	buffer_gl1_inv
	buffer_gl0_inv
.LBB4_10324:                            ;   in Loop: Header=BB4_10269 Depth=2
	s_or_b32 exec_lo, exec_lo, s13
.LBB4_10325:                            ;   in Loop: Header=BB4_10269 Depth=2
	s_and_not1_saveexec_b32 s13, s17
	s_cbranch_execz .LBB4_10347
; %bb.10326:                            ;   in Loop: Header=BB4_10269 Depth=2
	s_and_saveexec_b32 s17, s4
	s_delay_alu instid0(SALU_CYCLE_1)
	s_xor_b32 s17, exec_lo, s17
	s_cbranch_execz .LBB4_10344
; %bb.10327:                            ;   in Loop: Header=BB4_10269 Depth=2
	s_and_saveexec_b32 s36, s1
	s_cbranch_execz .LBB4_10343
; %bb.10328:                            ;   in Loop: Header=BB4_10269 Depth=2
	s_mov_b32 s38, exec_lo
	s_mov_b32 s37, exec_lo
	v_mbcnt_lo_u32_b32 v2, s38, 0
	;;#ASMSTART
	s_waitcnt lgkmcnt(0) vmcnt(0)
	;;#ASMEND
	s_delay_alu instid0(VALU_DEP_1)
	v_cmpx_eq_u32_e32 0, v2
	s_cbranch_execz .LBB4_10330
; %bb.10329:                            ;   in Loop: Header=BB4_10269 Depth=2
	s_bcnt1_i32_b32 vcc_lo, s38
	s_delay_alu instid0(SALU_CYCLE_1)
	v_mov_b32_e32 v2, vcc_lo
	ds_add_u64 v0, v[2:3]
	s_cbranch_execnz .LBB4_11137
.LBB4_10330:                            ;   in Loop: Header=BB4_10269 Depth=2
	s_or_b32 exec_lo, exec_lo, s37
	s_cbranch_execnz .LBB4_11123
; %bb.10331:                            ;   in Loop: Header=BB4_10269 Depth=2
	ds_load_b64 v[8:9], v0
	v_add_co_u32 v32, vcc_lo, v32, v81
	v_add_co_ci_u32_e32 v33, vcc_lo, 0, v33, vcc_lo
	s_mov_b32 s37, exec_lo
	s_waitcnt lgkmcnt(0)
	s_delay_alu instid0(VALU_DEP_1)
	v_cmpx_lt_u64_e64 v[8:9], v[32:33]
	s_cbranch_execz .LBB4_10342
; %bb.10332:                            ;   in Loop: Header=BB4_10269 Depth=2
	s_mov_b32 s38, 0
	s_mov_b32 s41, 0
                                        ; implicit-def: $sgpr39
                                        ; implicit-def: $sgpr40
	s_branch .LBB4_10334
.LBB4_10333:                            ;   in Loop: Header=BB4_10334 Depth=3
	s_or_b32 exec_lo, exec_lo, s43
	s_delay_alu instid0(SALU_CYCLE_1) | instskip(NEXT) | instid1(SALU_CYCLE_1)
	s_and_b32 vcc_lo, exec_lo, vcc_lo
	s_or_b32 s38, vcc_lo, s38
	s_and_not1_b32 vcc_lo, s39, exec_lo
	s_and_b32 s39, s40, exec_lo
	s_delay_alu instid0(SALU_CYCLE_1)
	s_or_b32 s39, vcc_lo, s39
	s_and_not1_b32 exec_lo, exec_lo, s38
	s_cbranch_execz .LBB4_10340
.LBB4_10334:                            ;   Parent Loop BB4_51 Depth=1
                                        ;     Parent Loop BB4_10269 Depth=2
                                        ; =>    This Inner Loop Header: Depth=3
	s_add_i32 s41, s41, 1
                                        ; implicit-def: $sgpr43
	s_delay_alu instid0(SALU_CYCLE_1) | instskip(SKIP_1) | instid1(SALU_CYCLE_1)
	s_cmpk_lg_i32 s41, 0x2710
	s_cselect_b32 s42, -1, 0
	s_and_b32 vcc_lo, exec_lo, s42
	s_cbranch_vccz .LBB4_10338
.LBB4_10335:                            ;   in Loop: Header=BB4_10334 Depth=3
	s_and_not1_b32 s40, s40, exec_lo
	s_and_b32 s43, s43, exec_lo
	s_mov_b32 vcc_lo, -1
	s_or_b32 s40, s40, s43
	s_and_saveexec_b32 s43, s42
	s_cbranch_execz .LBB4_10333
; %bb.10336:                            ;   in Loop: Header=BB4_10334 Depth=3
	s_sleep 1
	s_cbranch_execnz .LBB4_11203
; %bb.10337:                            ;   in Loop: Header=BB4_10334 Depth=3
	ds_load_b64 v[8:9], v0
	s_and_not1_b32 s40, s40, exec_lo
	s_waitcnt lgkmcnt(0)
	v_cmp_ge_u64_e32 vcc_lo, v[8:9], v[32:33]
	s_or_not1_b32 vcc_lo, vcc_lo, exec_lo
	s_branch .LBB4_10333
.LBB4_10338:                            ;   in Loop: Header=BB4_10334 Depth=3
	s_cbranch_execnz .LBB4_11213
; %bb.10339:                            ;   in Loop: Header=BB4_10334 Depth=3
	ds_load_b64 v[8:9], v0
	s_and_not1_b32 s42, s42, exec_lo
	s_mov_b32 s41, 0
	s_mov_b32 s43, -1
	s_waitcnt lgkmcnt(0)
	s_waitcnt_vscnt null, 0x0
	flat_load_b32 v2, v[8:9] glc
	s_waitcnt vmcnt(0) lgkmcnt(0)
	buffer_gl1_inv
	buffer_gl0_inv
	v_cmp_eq_u32_e32 vcc_lo, 0, v2
	s_and_b32 vcc_lo, vcc_lo, exec_lo
	s_delay_alu instid0(SALU_CYCLE_1)
	s_or_b32 s42, s42, vcc_lo
	s_branch .LBB4_10335
.LBB4_10340:                            ;   in Loop: Header=BB4_10269 Depth=2
	s_or_b32 exec_lo, exec_lo, s38
	s_and_saveexec_b32 vcc_lo, s39
	s_delay_alu instid0(SALU_CYCLE_1)
	s_xor_b32 vcc_lo, exec_lo, vcc_lo
	s_cbranch_execz .LBB4_10342
; %bb.10341:                            ;   in Loop: Header=BB4_10269 Depth=2
	ds_store_b32 v0, v118
	s_cbranch_execnz .LBB4_11407
.LBB4_10342:                            ;   in Loop: Header=BB4_10269 Depth=2
	s_or_b32 exec_lo, exec_lo, s37
	;;#ASMSTART
	s_wakeup
	;;#ASMEND
.LBB4_10343:                            ;   in Loop: Header=BB4_10269 Depth=2
	s_or_b32 exec_lo, exec_lo, s36
.LBB4_10344:                            ;   in Loop: Header=BB4_10269 Depth=2
	s_and_not1_saveexec_b32 s17, s17
	s_cbranch_execz .LBB4_10346
; %bb.10345:                            ;   in Loop: Header=BB4_10269 Depth=2
	;;#ASMSTART
	s_waitcnt lgkmcnt(0) vmcnt(0)
	;;#ASMEND
	s_waitcnt lgkmcnt(0)
	s_waitcnt_vscnt null, 0x0
	s_barrier
.LBB4_10346:                            ;   in Loop: Header=BB4_10269 Depth=2
	s_or_b32 exec_lo, exec_lo, s17
	v_and_b32_e32 v2, 16, v30
.LBB4_10347:                            ;   in Loop: Header=BB4_10269 Depth=2
	s_or_b32 exec_lo, exec_lo, s13
	s_delay_alu instid0(VALU_DEP_1) | instskip(SKIP_1) | instid1(SALU_CYCLE_1)
	v_cmp_ne_u32_e32 vcc_lo, 0, v2
	s_xor_b32 s13, s10, -1
	s_and_b32 s17, vcc_lo, s13
	s_delay_alu instid0(SALU_CYCLE_1)
	s_and_saveexec_b32 s13, s17
	s_cbranch_execz .LBB4_10349
; %bb.10348:                            ;   in Loop: Header=BB4_10269 Depth=2
	s_waitcnt lgkmcnt(0)
	s_waitcnt_vscnt null, 0x0
	flat_store_b32 v[28:29], v118
.LBB4_10349:                            ;   in Loop: Header=BB4_10269 Depth=2
	s_or_b32 exec_lo, exec_lo, s13
	v_and_b32_e32 v2, 48, v30
	s_mov_b32 s13, exec_lo
	s_delay_alu instid0(VALU_DEP_1)
	v_cmpx_ne_u32_e32 0, v2
	s_cbranch_execz .LBB4_10351
; %bb.10350:                            ;   in Loop: Header=BB4_10269 Depth=2
	v_add_co_u32 v24, vcc_lo, v24, 2
	v_add_co_ci_u32_e32 v25, vcc_lo, 0, v25, vcc_lo
	s_waitcnt lgkmcnt(0)
	s_waitcnt_vscnt null, 0x0
	flat_store_b64 v[22:23], v[24:25]
.LBB4_10351:                            ;   in Loop: Header=BB4_10269 Depth=2
	s_or_b32 exec_lo, exec_lo, s13
	v_add_nc_u32_e32 v129, v52, v129
	s_mov_b32 s13, 0
	s_and_not1_b32 exec_lo, exec_lo, s16
	s_cbranch_execnz .LBB4_10269
; %bb.10352:                            ;   in Loop: Header=BB4_51 Depth=1
	s_or_b32 exec_lo, exec_lo, s16
.LBB4_10353:                            ;   in Loop: Header=BB4_51 Depth=1
	v_writelane_b32 v122, s14, 3
	v_writelane_b32 v122, s31, 1
	s_or_b32 exec_lo, exec_lo, s15
	s_delay_alu instid0(SALU_CYCLE_1)
	s_and_not1_b32 vcc_lo, exec_lo, s29
	s_cbranch_vccnz .LBB4_10649
; %bb.10354:                            ;   in Loop: Header=BB4_51 Depth=1
	s_mov_b32 s13, 1
.LBB4_10355:                            ;   Parent Loop BB4_51 Depth=1
                                        ; =>  This Loop Header: Depth=2
                                        ;       Child Loop BB4_10357 Depth 3
                                        ;         Child Loop BB4_10366 Depth 4
                                        ;         Child Loop BB4_10398 Depth 4
	;; [unrolled: 1-line block ×5, first 2 shown]
                                        ;           Child Loop BB4_10453 Depth 5
                                        ;         Child Loop BB4_10464 Depth 4
                                        ;         Child Loop BB4_10470 Depth 4
                                        ;           Child Loop BB4_10471 Depth 5
                                        ;         Child Loop BB4_10485 Depth 4
                                        ;         Child Loop BB4_10491 Depth 4
	;; [unrolled: 1-line block ×6, first 2 shown]
                                        ;       Child Loop BB4_10566 Depth 3
                                        ;         Child Loop BB4_10572 Depth 4
                                        ;         Child Loop BB4_10602 Depth 4
	;; [unrolled: 1-line block ×3, first 2 shown]
	s_delay_alu instid0(SALU_CYCLE_1)
	s_mov_b32 s31, s13
	s_sub_i32 s13, s25, s13
	v_mov_b32_e32 v52, 0
	s_cmp_le_i32 s19, s13
	s_mov_b32 s37, 0
	s_cselect_b32 s14, s19, 0
	s_delay_alu instid0(SALU_CYCLE_1) | instskip(NEXT) | instid1(SALU_CYCLE_1)
	s_sub_i32 s13, s13, s14
	s_ashr_i32 s14, s13, 31
	v_mul_lo_u32 v2, v49, s13
	v_mad_u64_u32 v[8:9], null, v48, s13, 0
	v_mul_lo_u32 v10, v48, s14
	s_delay_alu instid0(VALU_DEP_1) | instskip(NEXT) | instid1(VALU_DEP_3)
	v_add3_u32 v9, v9, v10, v2
	v_sub_co_u32 v10, vcc_lo, v50, v8
	s_delay_alu instid0(VALU_DEP_2) | instskip(NEXT) | instid1(VALU_DEP_1)
	v_sub_co_ci_u32_e32 v11, vcc_lo, v51, v9, vcc_lo
	v_cmp_lt_i64_e32 vcc_lo, v[48:49], v[10:11]
	v_cndmask_b32_e32 v10, v10, v48, vcc_lo
	s_delay_alu instid0(VALU_DEP_1) | instskip(NEXT) | instid1(VALU_DEP_1)
	v_max_i32_e32 v15, 0, v10
	v_add_nc_u32_e32 v2, 31, v15
	s_delay_alu instid0(VALU_DEP_1) | instskip(NEXT) | instid1(VALU_DEP_1)
	v_lshrrev_b32_e32 v2, 1, v2
	v_and_b32_e32 v11, 0x3ffffff0, v2
	v_cmp_lt_i32_e32 vcc_lo, 0, v10
	v_mov_b32_e32 v2, 0
	s_delay_alu instid0(VALU_DEP_3) | instskip(SKIP_1) | instid1(SALU_CYCLE_1)
	v_max_i32_e32 v12, s28, v11
	s_and_b32 s13, s30, vcc_lo
	s_and_saveexec_b32 s36, s13
	s_cbranch_execz .LBB4_10564
; %bb.10356:                            ;   in Loop: Header=BB4_10355 Depth=2
	v_add_co_u32 v53, vcc_lo, v8, v119
	v_add_co_ci_u32_e32 v54, vcc_lo, v9, v128, vcc_lo
	v_mov_b32_e32 v52, 0
	s_mov_b32 s39, 1
	s_mov_b32 s38, -1
.LBB4_10357:                            ;   Parent Loop BB4_51 Depth=1
                                        ;     Parent Loop BB4_10355 Depth=2
                                        ; =>    This Loop Header: Depth=3
                                        ;         Child Loop BB4_10366 Depth 4
                                        ;         Child Loop BB4_10398 Depth 4
	;; [unrolled: 1-line block ×5, first 2 shown]
                                        ;           Child Loop BB4_10453 Depth 5
                                        ;         Child Loop BB4_10464 Depth 4
                                        ;         Child Loop BB4_10470 Depth 4
                                        ;           Child Loop BB4_10471 Depth 5
                                        ;         Child Loop BB4_10485 Depth 4
                                        ;         Child Loop BB4_10491 Depth 4
	;; [unrolled: 1-line block ×6, first 2 shown]
	s_and_saveexec_b32 s14, s0
	s_cbranch_execz .LBB4_10360
; %bb.10358:                            ;   in Loop: Header=BB4_10357 Depth=3
	s_cbranch_execnz .LBB4_11053
; %bb.10359:                            ;   in Loop: Header=BB4_10357 Depth=3
	ds_load_b128 v[8:11], v0
	v_ashrrev_i32_e32 v2, 31, v52
	s_waitcnt lgkmcnt(0)
	v_add_co_u32 v13, vcc_lo, v10, v53
	v_add_co_ci_u32_e32 v14, vcc_lo, v11, v54, vcc_lo
	v_add_co_u32 v8, vcc_lo, v8, v53
	v_add_co_ci_u32_e32 v9, vcc_lo, v9, v54, vcc_lo
	s_delay_alu instid0(VALU_DEP_4) | instskip(NEXT) | instid1(VALU_DEP_4)
	v_add_co_u32 v13, vcc_lo, v13, v52
	v_add_co_ci_u32_e32 v14, vcc_lo, v14, v2, vcc_lo
	v_cmp_ne_u64_e32 vcc_lo, 0, v[10:11]
	v_add_co_u32 v8, s13, v8, v52
	s_delay_alu instid0(VALU_DEP_1) | instskip(NEXT) | instid1(VALU_DEP_4)
	v_add_co_ci_u32_e64 v9, s13, v9, v2, s13
	v_dual_cndmask_b32 v11, 0, v14 :: v_dual_cndmask_b32 v10, 0, v13
	ds_store_b64 v0, v[8:9]
	ds_store_b64 v0, v[10:11]
.LBB4_10360:                            ;   in Loop: Header=BB4_10357 Depth=3
	s_or_b32 exec_lo, exec_lo, s14
	v_and_b32_e32 v2, 12, v30
	s_mov_b32 s14, -1
	s_mov_b32 s13, exec_lo
	s_delay_alu instid0(VALU_DEP_1)
	v_cmpx_ne_u32_e32 0, v2
	s_cbranch_execz .LBB4_10374
; %bb.10361:                            ;   in Loop: Header=BB4_10357 Depth=3
	v_and_b32_e32 v2, 8, v30
	s_delay_alu instid0(VALU_DEP_1) | instskip(SKIP_3) | instid1(VALU_DEP_1)
	v_add_co_u32 v10, vcc_lo, v34, v2
	v_add_co_ci_u32_e32 v11, vcc_lo, 0, v35, vcc_lo
	v_add_co_u32 v8, vcc_lo, v24, 2
	v_add_co_ci_u32_e32 v9, vcc_lo, 0, v25, vcc_lo
	v_cmp_lt_u64_e32 vcc_lo, v[10:11], v[8:9]
	v_mov_b32_e32 v10, 1
	s_and_saveexec_b32 s14, vcc_lo
	s_cbranch_execz .LBB4_10373
; %bb.10362:                            ;   in Loop: Header=BB4_10357 Depth=3
	v_mov_b32_e32 v10, 0
	s_mov_b32 s15, 0
                                        ; implicit-def: $sgpr16
	s_branch .LBB4_10366
.LBB4_10363:                            ;   in Loop: Header=BB4_10366 Depth=4
	s_or_b32 exec_lo, exec_lo, s42
	v_mov_b32_e32 v11, 0
	s_or_not1_b32 s41, s41, exec_lo
.LBB4_10364:                            ;   in Loop: Header=BB4_10366 Depth=4
	s_or_b32 exec_lo, exec_lo, s40
	s_delay_alu instid0(VALU_DEP_1) | instskip(SKIP_2) | instid1(SALU_CYCLE_1)
	v_mov_b32_e32 v10, v11
	s_and_not1_b32 s16, s16, exec_lo
	s_and_b32 vcc_lo, s41, exec_lo
	s_or_b32 s16, s16, vcc_lo
.LBB4_10365:                            ;   in Loop: Header=BB4_10366 Depth=4
	s_or_b32 exec_lo, exec_lo, s17
	s_waitcnt vmcnt(0) lgkmcnt(0)
	v_add_co_u32 v13, vcc_lo, v34, v2
	v_add_co_ci_u32_e32 v14, vcc_lo, 0, v35, vcc_lo
	s_xor_b32 s17, s16, -1
	s_delay_alu instid0(VALU_DEP_1) | instskip(SKIP_1) | instid1(SALU_CYCLE_1)
	v_cmp_ge_u64_e32 vcc_lo, v[13:14], v[8:9]
	s_or_b32 s17, s17, vcc_lo
	s_and_b32 s17, exec_lo, s17
	s_delay_alu instid0(SALU_CYCLE_1) | instskip(NEXT) | instid1(SALU_CYCLE_1)
	s_or_b32 s15, s17, s15
	s_and_not1_b32 exec_lo, exec_lo, s15
	s_cbranch_execz .LBB4_10372
.LBB4_10366:                            ;   Parent Loop BB4_51 Depth=1
                                        ;     Parent Loop BB4_10355 Depth=2
                                        ;       Parent Loop BB4_10357 Depth=3
                                        ; =>      This Inner Loop Header: Depth=4
	s_sleep 1
	flat_load_b64 v[34:35], v[22:23] glc
	v_and_b32_e32 v11, 64, v30
	s_and_not1_b32 s16, s16, exec_lo
	s_mov_b32 s17, exec_lo
	s_delay_alu instid0(VALU_DEP_1)
	v_cmpx_eq_u32_e32 0, v11
	s_cbranch_execz .LBB4_10365
; %bb.10367:                            ;   in Loop: Header=BB4_10366 Depth=4
	v_add_nc_u32_e32 v11, 1, v10
	s_mov_b32 s41, -1
	s_mov_b32 s40, exec_lo
	v_cmpx_lt_i32_e32 0x270e, v10
	s_cbranch_execz .LBB4_10364
; %bb.10368:                            ;   in Loop: Header=BB4_10366 Depth=4
	s_cbranch_execnz .LBB4_11089
; %bb.10369:                            ;   in Loop: Header=BB4_10366 Depth=4
	ds_load_b64 v[10:11], v0
	s_mov_b32 s42, exec_lo
	s_waitcnt vmcnt(0) lgkmcnt(0)
	s_waitcnt_vscnt null, 0x0
	flat_load_b32 v10, v[10:11] glc
	s_waitcnt vmcnt(0) lgkmcnt(0)
	buffer_gl1_inv
	buffer_gl0_inv
	v_cmpx_ne_u32_e32 0, v10
	s_cbranch_execz .LBB4_10363
; %bb.10370:                            ;   in Loop: Header=BB4_10366 Depth=4
	ds_store_b32 v0, v10
	s_cbranch_execnz .LBB4_11177
; %bb.10371:                            ;   in Loop: Header=BB4_10366 Depth=4
	v_or_b32_e32 v30, 64, v30
	s_xor_b32 s41, exec_lo, -1
	s_branch .LBB4_10363
.LBB4_10372:                            ;   in Loop: Header=BB4_10357 Depth=3
	s_or_b32 exec_lo, exec_lo, s15
	v_and_b32_e32 v10, 12, v30
.LBB4_10373:                            ;   in Loop: Header=BB4_10357 Depth=3
	s_or_b32 exec_lo, exec_lo, s14
	s_delay_alu instid0(VALU_DEP_1)
	v_cmp_eq_u32_e32 vcc_lo, 0, v10
	;;#ASMSTART
	s_wakeup
	;;#ASMEND
	s_or_not1_b32 s14, vcc_lo, exec_lo
.LBB4_10374:                            ;   in Loop: Header=BB4_10357 Depth=3
	s_or_b32 exec_lo, exec_lo, s13
	v_sub_nc_u32_e32 v2, v15, v52
	s_xor_b32 s13, s14, -1
	s_delay_alu instid0(VALU_DEP_1)
	v_min_i32_e32 v12, v12, v2
	s_and_saveexec_b32 s14, s13
	s_cbranch_execz .LBB4_10389
; %bb.10375:                            ;   in Loop: Header=BB4_10357 Depth=3
	v_and_b32_e32 v2, 0x108, v30
	s_mov_b32 s13, exec_lo
	s_delay_alu instid0(VALU_DEP_1)
	v_cmpx_ne_u32_e32 0x108, v2
	s_xor_b32 s13, exec_lo, s13
                                        ; implicit-def: $vgpr8_vgpr9
; %bb.10376:                            ;   in Loop: Header=BB4_10357 Depth=3
	v_and_b32_e32 v8, 7, v24
; %bb.10377:                            ;   in Loop: Header=BB4_10357 Depth=3
	s_and_not1_saveexec_b32 s13, s13
	s_cbranch_execz .LBB4_10379
; %bb.10378:                            ;   in Loop: Header=BB4_10357 Depth=3
	v_and_b32_e32 v8, 7, v24
	v_ashrrev_i32_e32 v13, 31, v12
	s_delay_alu instid0(VALU_DEP_2)
	v_mad_u64_u32 v[9:10], null, v8, 24, v[6:7]
	flat_store_b64 v[9:10], v[12:13] offset:8
.LBB4_10379:                            ;   in Loop: Header=BB4_10357 Depth=3
	s_or_b32 exec_lo, exec_lo, s13
	v_and_b32_e32 v2, 0x100, v30
	s_mov_b32 s13, -1
	s_mov_b32 s15, exec_lo
                                        ; implicit-def: $vgpr9_vgpr10
	s_delay_alu instid0(VALU_DEP_1)
	v_cmpx_ne_u32_e32 0, v2
	s_cbranch_execnz .LBB4_10382
; %bb.10380:                            ;   in Loop: Header=BB4_10357 Depth=3
	s_or_b32 exec_lo, exec_lo, s15
	s_and_saveexec_b32 s15, s13
	s_cbranch_execnz .LBB4_10385
.LBB4_10381:                            ;   in Loop: Header=BB4_10357 Depth=3
	s_or_b32 exec_lo, exec_lo, s15
	s_cbranch_execnz .LBB4_11079
	s_branch .LBB4_10386
.LBB4_10382:                            ;   in Loop: Header=BB4_10357 Depth=3
	v_mad_u64_u32 v[13:14], null, v8, 24, v[6:7]
	s_mov_b32 s16, exec_lo
	s_delay_alu instid0(VALU_DEP_1) | instskip(NEXT) | instid1(VALU_DEP_1)
	v_mov_b32_e32 v2, v14
	v_mad_u64_u32 v[9:10], null, v3, 24, v[2:3]
	s_delay_alu instid0(VALU_DEP_1)
	v_mov_b32_e32 v14, v9
                                        ; implicit-def: $vgpr9_vgpr10
	flat_load_b32 v2, v[13:14]
	s_waitcnt vmcnt(0) lgkmcnt(0)
	v_cmp_ne_u32_e32 vcc_lo, 1, v2
	v_cmpx_eq_u32_e32 1, v2
	s_cbranch_execz .LBB4_10384
; %bb.10383:                            ;   in Loop: Header=BB4_10357 Depth=3
	flat_load_b32 v9, v[13:14] offset:4 glc
	s_waitcnt vmcnt(0) lgkmcnt(0)
	v_ashrrev_i32_e32 v10, 31, v9
.LBB4_10384:                            ;   in Loop: Header=BB4_10357 Depth=3
	s_or_b32 exec_lo, exec_lo, s16
	s_delay_alu instid0(SALU_CYCLE_1)
	s_or_not1_b32 s13, vcc_lo, exec_lo
	s_or_b32 exec_lo, exec_lo, s15
	s_and_saveexec_b32 s15, s13
	s_cbranch_execz .LBB4_10381
.LBB4_10385:                            ;   in Loop: Header=BB4_10357 Depth=3
	v_mul_lo_u32 v2, v3, v70
	v_mul_lo_u32 v11, v8, v80
	v_mad_u64_u32 v[9:10], null, v8, v70, 0
	s_delay_alu instid0(VALU_DEP_1)
	v_add3_u32 v10, v10, v11, v2
	s_or_b32 exec_lo, exec_lo, s15
	s_cbranch_execnz .LBB4_11079
.LBB4_10386:                            ;   in Loop: Header=BB4_10357 Depth=3
	s_delay_alu instid0(VALU_DEP_2)
	v_add_co_u32 v8, vcc_lo, v26, v9
	v_and_b32_e32 v2, 0x2000, v30
	v_add_co_ci_u32_e32 v9, vcc_lo, v27, v10, vcc_lo
	s_mov_b32 s13, exec_lo
	ds_store_b64 v0, v[8:9]
	v_cmpx_ne_u32_e32 0, v2
	s_cbranch_execz .LBB4_10388
; %bb.10387:                            ;   in Loop: Header=BB4_10357 Depth=3
	ds_load_b64 v[8:9], v0 offset:584
	s_waitcnt lgkmcnt(0)
	v_add_co_u32 v8, vcc_lo, v8, 1
	v_add_co_ci_u32_e32 v9, vcc_lo, 0, v9, vcc_lo
	ds_store_b64 v0, v[8:9] offset:584
.LBB4_10388:                            ;   in Loop: Header=BB4_10357 Depth=3
	s_or_b32 exec_lo, exec_lo, s13
	v_add_co_u32 v24, vcc_lo, v24, 2
	v_add_co_ci_u32_e32 v25, vcc_lo, 0, v25, vcc_lo
.LBB4_10389:                            ;   in Loop: Header=BB4_10357 Depth=3
	s_or_b32 exec_lo, exec_lo, s14
	s_and_saveexec_b32 s13, s3
	s_cbranch_execz .LBB4_10411
; %bb.10390:                            ;   in Loop: Header=BB4_10357 Depth=3
	s_and_saveexec_b32 s14, s4
	s_delay_alu instid0(SALU_CYCLE_1)
	s_xor_b32 s14, exec_lo, s14
	s_cbranch_execz .LBB4_10408
; %bb.10391:                            ;   in Loop: Header=BB4_10357 Depth=3
	s_and_saveexec_b32 s15, s1
	s_cbranch_execz .LBB4_10407
; %bb.10392:                            ;   in Loop: Header=BB4_10357 Depth=3
	s_mov_b32 s17, exec_lo
	s_mov_b32 s16, exec_lo
	v_mbcnt_lo_u32_b32 v2, s17, 0
	s_waitcnt lgkmcnt(0)
	s_waitcnt_vscnt null, 0x0
	buffer_gl1_inv
	buffer_gl0_inv
	v_cmpx_eq_u32_e32 0, v2
	s_cbranch_execz .LBB4_10394
; %bb.10393:                            ;   in Loop: Header=BB4_10357 Depth=3
	s_bcnt1_i32_b32 s17, s17
	s_delay_alu instid0(SALU_CYCLE_1)
	v_mov_b32_e32 v2, s17
	ds_add_u64 v0, v[2:3]
	s_cbranch_execnz .LBB4_11231
.LBB4_10394:                            ;   in Loop: Header=BB4_10357 Depth=3
	s_or_b32 exec_lo, exec_lo, s16
	s_cbranch_execnz .LBB4_11205
; %bb.10395:                            ;   in Loop: Header=BB4_10357 Depth=3
	ds_load_b64 v[8:9], v0
	v_add_co_u32 v32, vcc_lo, v32, v81
	v_add_co_ci_u32_e32 v33, vcc_lo, 0, v33, vcc_lo
	s_mov_b32 s16, exec_lo
	s_waitcnt lgkmcnt(0)
	s_delay_alu instid0(VALU_DEP_1)
	v_cmpx_lt_u64_e64 v[8:9], v[32:33]
	s_cbranch_execz .LBB4_10406
; %bb.10396:                            ;   in Loop: Header=BB4_10357 Depth=3
	s_mov_b32 s17, 0
	s_mov_b32 s42, 0
                                        ; implicit-def: $sgpr40
                                        ; implicit-def: $sgpr41
	s_branch .LBB4_10398
.LBB4_10397:                            ;   in Loop: Header=BB4_10398 Depth=4
	s_or_b32 exec_lo, exec_lo, s44
	s_delay_alu instid0(SALU_CYCLE_1) | instskip(NEXT) | instid1(SALU_CYCLE_1)
	s_and_b32 vcc_lo, exec_lo, vcc_lo
	s_or_b32 s17, vcc_lo, s17
	s_and_not1_b32 vcc_lo, s40, exec_lo
	s_and_b32 s40, s41, exec_lo
	s_delay_alu instid0(SALU_CYCLE_1)
	s_or_b32 s40, vcc_lo, s40
	s_and_not1_b32 exec_lo, exec_lo, s17
	s_cbranch_execz .LBB4_10404
.LBB4_10398:                            ;   Parent Loop BB4_51 Depth=1
                                        ;     Parent Loop BB4_10355 Depth=2
                                        ;       Parent Loop BB4_10357 Depth=3
                                        ; =>      This Inner Loop Header: Depth=4
	s_add_i32 s42, s42, 1
                                        ; implicit-def: $sgpr44
	s_delay_alu instid0(SALU_CYCLE_1) | instskip(SKIP_1) | instid1(SALU_CYCLE_1)
	s_cmpk_lg_i32 s42, 0x2710
	s_cselect_b32 s43, -1, 0
	s_and_b32 vcc_lo, exec_lo, s43
	s_cbranch_vccz .LBB4_10402
.LBB4_10399:                            ;   in Loop: Header=BB4_10398 Depth=4
	s_and_not1_b32 s41, s41, exec_lo
	s_and_b32 s44, s44, exec_lo
	s_mov_b32 vcc_lo, -1
	s_or_b32 s41, s41, s44
	s_and_saveexec_b32 s44, s43
	s_cbranch_execz .LBB4_10397
; %bb.10400:                            ;   in Loop: Header=BB4_10398 Depth=4
	s_sleep 1
	s_cbranch_execnz .LBB4_11285
; %bb.10401:                            ;   in Loop: Header=BB4_10398 Depth=4
	ds_load_b64 v[8:9], v0
	s_and_not1_b32 s41, s41, exec_lo
	s_waitcnt lgkmcnt(0)
	v_cmp_ge_u64_e32 vcc_lo, v[8:9], v[32:33]
	s_or_not1_b32 vcc_lo, vcc_lo, exec_lo
	s_branch .LBB4_10397
.LBB4_10402:                            ;   in Loop: Header=BB4_10398 Depth=4
	s_cbranch_execnz .LBB4_11307
; %bb.10403:                            ;   in Loop: Header=BB4_10398 Depth=4
	ds_load_b64 v[8:9], v0
	s_and_not1_b32 s43, s43, exec_lo
	s_mov_b32 s42, 0
	s_mov_b32 s44, -1
	s_waitcnt lgkmcnt(0)
	flat_load_b32 v2, v[8:9] glc
	s_waitcnt vmcnt(0) lgkmcnt(0)
	buffer_gl1_inv
	buffer_gl0_inv
	v_cmp_eq_u32_e32 vcc_lo, 0, v2
	s_and_b32 vcc_lo, vcc_lo, exec_lo
	s_delay_alu instid0(SALU_CYCLE_1)
	s_or_b32 s43, s43, vcc_lo
	s_branch .LBB4_10399
.LBB4_10404:                            ;   in Loop: Header=BB4_10357 Depth=3
	s_or_b32 exec_lo, exec_lo, s17
	s_and_saveexec_b32 s17, s40
	s_delay_alu instid0(SALU_CYCLE_1)
	s_xor_b32 s17, exec_lo, s17
	s_cbranch_execz .LBB4_10406
; %bb.10405:                            ;   in Loop: Header=BB4_10357 Depth=3
	ds_store_b32 v0, v118
	s_cbranch_execnz .LBB4_11427
.LBB4_10406:                            ;   in Loop: Header=BB4_10357 Depth=3
	s_or_b32 exec_lo, exec_lo, s16
	;;#ASMSTART
	s_wakeup
	;;#ASMEND
.LBB4_10407:                            ;   in Loop: Header=BB4_10357 Depth=3
	s_or_b32 exec_lo, exec_lo, s15
.LBB4_10408:                            ;   in Loop: Header=BB4_10357 Depth=3
	s_and_not1_saveexec_b32 s14, s14
	s_cbranch_execz .LBB4_10410
; %bb.10409:                            ;   in Loop: Header=BB4_10357 Depth=3
	s_waitcnt lgkmcnt(0)
	s_waitcnt_vscnt null, 0x0
	buffer_gl1_inv
	buffer_gl0_inv
	s_barrier
.LBB4_10410:                            ;   in Loop: Header=BB4_10357 Depth=3
	s_or_b32 exec_lo, exec_lo, s14
.LBB4_10411:                            ;   in Loop: Header=BB4_10357 Depth=3
	s_delay_alu instid0(SALU_CYCLE_1)
	s_or_b32 exec_lo, exec_lo, s13
	s_cbranch_execnz .LBB4_11063
; %bb.10412:                            ;   in Loop: Header=BB4_10357 Depth=3
	ds_load_b32 v8, v0
	v_and_b32_e32 v2, 0x4000, v30
	s_xor_b32 s13, s2, -1
	s_delay_alu instid0(VALU_DEP_1) | instskip(SKIP_1) | instid1(SALU_CYCLE_1)
	v_cmp_ne_u32_e32 vcc_lo, 0, v2
	s_and_b32 s14, s13, vcc_lo
	s_and_saveexec_b32 s13, s14
	s_cbranch_execz .LBB4_10434
; %bb.10413:                            ;   in Loop: Header=BB4_10357 Depth=3
	s_and_saveexec_b32 s14, s4
	s_delay_alu instid0(SALU_CYCLE_1)
	s_xor_b32 s14, exec_lo, s14
	s_cbranch_execz .LBB4_10431
; %bb.10414:                            ;   in Loop: Header=BB4_10357 Depth=3
	s_and_saveexec_b32 s15, s1
	s_cbranch_execz .LBB4_10430
; %bb.10415:                            ;   in Loop: Header=BB4_10357 Depth=3
	s_mov_b32 s17, exec_lo
	s_mov_b32 s16, exec_lo
	v_mbcnt_lo_u32_b32 v2, s17, 0
	s_waitcnt lgkmcnt(0)
	s_waitcnt_vscnt null, 0x0
	buffer_gl1_inv
	buffer_gl0_inv
	v_cmpx_eq_u32_e32 0, v2
	s_cbranch_execz .LBB4_10417
; %bb.10416:                            ;   in Loop: Header=BB4_10357 Depth=3
	s_bcnt1_i32_b32 s17, s17
	s_delay_alu instid0(SALU_CYCLE_1)
	v_mov_b32_e32 v2, s17
	ds_add_u64 v0, v[2:3]
	s_cbranch_execnz .LBB4_11277
.LBB4_10417:                            ;   in Loop: Header=BB4_10357 Depth=3
	s_or_b32 exec_lo, exec_lo, s16
	s_cbranch_execnz .LBB4_11255
; %bb.10418:                            ;   in Loop: Header=BB4_10357 Depth=3
	ds_load_b64 v[9:10], v0
	v_add_co_u32 v32, vcc_lo, v32, v81
	v_add_co_ci_u32_e32 v33, vcc_lo, 0, v33, vcc_lo
	s_mov_b32 s16, exec_lo
	s_waitcnt lgkmcnt(0)
	s_delay_alu instid0(VALU_DEP_1)
	v_cmpx_lt_u64_e64 v[9:10], v[32:33]
	s_cbranch_execz .LBB4_10429
; %bb.10419:                            ;   in Loop: Header=BB4_10357 Depth=3
	s_mov_b32 s17, 0
	s_mov_b32 s42, 0
                                        ; implicit-def: $sgpr40
                                        ; implicit-def: $sgpr41
	s_branch .LBB4_10421
.LBB4_10420:                            ;   in Loop: Header=BB4_10421 Depth=4
	s_or_b32 exec_lo, exec_lo, s44
	s_delay_alu instid0(SALU_CYCLE_1) | instskip(NEXT) | instid1(SALU_CYCLE_1)
	s_and_b32 vcc_lo, exec_lo, vcc_lo
	s_or_b32 s17, vcc_lo, s17
	s_and_not1_b32 vcc_lo, s40, exec_lo
	s_and_b32 s40, s41, exec_lo
	s_delay_alu instid0(SALU_CYCLE_1)
	s_or_b32 s40, vcc_lo, s40
	s_and_not1_b32 exec_lo, exec_lo, s17
	s_cbranch_execz .LBB4_10427
.LBB4_10421:                            ;   Parent Loop BB4_51 Depth=1
                                        ;     Parent Loop BB4_10355 Depth=2
                                        ;       Parent Loop BB4_10357 Depth=3
                                        ; =>      This Inner Loop Header: Depth=4
	s_add_i32 s42, s42, 1
                                        ; implicit-def: $sgpr44
	s_delay_alu instid0(SALU_CYCLE_1) | instskip(SKIP_1) | instid1(SALU_CYCLE_1)
	s_cmpk_lg_i32 s42, 0x2710
	s_cselect_b32 s43, -1, 0
	s_and_b32 vcc_lo, exec_lo, s43
	s_cbranch_vccz .LBB4_10425
.LBB4_10422:                            ;   in Loop: Header=BB4_10421 Depth=4
	s_and_not1_b32 s41, s41, exec_lo
	s_and_b32 s44, s44, exec_lo
	s_mov_b32 vcc_lo, -1
	s_or_b32 s41, s41, s44
	s_and_saveexec_b32 s44, s43
	s_cbranch_execz .LBB4_10420
; %bb.10423:                            ;   in Loop: Header=BB4_10421 Depth=4
	s_sleep 1
	s_cbranch_execnz .LBB4_11341
; %bb.10424:                            ;   in Loop: Header=BB4_10421 Depth=4
	ds_load_b64 v[9:10], v0
	s_and_not1_b32 s41, s41, exec_lo
	s_waitcnt lgkmcnt(0)
	v_cmp_ge_u64_e32 vcc_lo, v[9:10], v[32:33]
	s_or_not1_b32 vcc_lo, vcc_lo, exec_lo
	s_branch .LBB4_10420
.LBB4_10425:                            ;   in Loop: Header=BB4_10421 Depth=4
	s_cbranch_execnz .LBB4_11351
; %bb.10426:                            ;   in Loop: Header=BB4_10421 Depth=4
	ds_load_b64 v[9:10], v0
	s_and_not1_b32 s43, s43, exec_lo
	s_mov_b32 s42, 0
	s_mov_b32 s44, -1
	s_waitcnt lgkmcnt(0)
	flat_load_b32 v2, v[9:10] glc
	s_waitcnt vmcnt(0) lgkmcnt(0)
	buffer_gl1_inv
	buffer_gl0_inv
	v_cmp_eq_u32_e32 vcc_lo, 0, v2
	s_and_b32 vcc_lo, vcc_lo, exec_lo
	s_delay_alu instid0(SALU_CYCLE_1)
	s_or_b32 s43, s43, vcc_lo
	s_branch .LBB4_10422
.LBB4_10427:                            ;   in Loop: Header=BB4_10357 Depth=3
	s_or_b32 exec_lo, exec_lo, s17
	s_and_saveexec_b32 s17, s40
	s_delay_alu instid0(SALU_CYCLE_1)
	s_xor_b32 s17, exec_lo, s17
	s_cbranch_execz .LBB4_10429
; %bb.10428:                            ;   in Loop: Header=BB4_10357 Depth=3
	ds_store_b32 v0, v118
	s_cbranch_execnz .LBB4_11441
.LBB4_10429:                            ;   in Loop: Header=BB4_10357 Depth=3
	s_or_b32 exec_lo, exec_lo, s16
	;;#ASMSTART
	s_wakeup
	;;#ASMEND
.LBB4_10430:                            ;   in Loop: Header=BB4_10357 Depth=3
	s_or_b32 exec_lo, exec_lo, s15
.LBB4_10431:                            ;   in Loop: Header=BB4_10357 Depth=3
	s_and_not1_saveexec_b32 s14, s14
	s_cbranch_execz .LBB4_10433
; %bb.10432:                            ;   in Loop: Header=BB4_10357 Depth=3
	s_waitcnt lgkmcnt(0)
	s_waitcnt_vscnt null, 0x0
	buffer_gl1_inv
	buffer_gl0_inv
	s_barrier
.LBB4_10433:                            ;   in Loop: Header=BB4_10357 Depth=3
	s_or_b32 exec_lo, exec_lo, s14
.LBB4_10434:                            ;   in Loop: Header=BB4_10357 Depth=3
	s_delay_alu instid0(SALU_CYCLE_1)
	s_or_b32 exec_lo, exec_lo, s13
	s_cbranch_execnz .LBB4_11119
; %bb.10435:                            ;   in Loop: Header=BB4_10357 Depth=3
	ds_load_b64 v[9:10], v0
	v_mov_b32_e32 v55, 0
	s_waitcnt lgkmcnt(0)
	v_cmp_eq_u64_e32 vcc_lo, 0, v[9:10]
	s_or_b32 s13, vcc_lo, vcc_lo
	s_delay_alu instid0(SALU_CYCLE_1)
	s_and_b32 vcc_lo, exec_lo, s13
	s_cbranch_vccnz .LBB4_10510
; %bb.10436:                            ;   in Loop: Header=BB4_10357 Depth=3
	v_cmp_eq_u32_e32 vcc_lo, 0, v8
	s_cbranch_execnz .LBB4_11199
; %bb.10437:                            ;   in Loop: Header=BB4_10357 Depth=3
	ds_load_b64 v[8:9], v0
	v_cndmask_b32_e32 v55, 0, v12, vcc_lo
	s_waitcnt lgkmcnt(0)
	v_cmp_ne_u64_e64 s13, 0, v[8:9]
	s_delay_alu instid0(VALU_DEP_1)
	s_and_b32 vcc_lo, exec_lo, s13
	s_cbranch_vccz .LBB4_10475
; %bb.10438:                            ;   in Loop: Header=BB4_10357 Depth=3
	s_mov_b32 s13, -1
	s_and_saveexec_b32 s14, s6
	s_cbranch_execz .LBB4_10440
; %bb.10439:                            ;   in Loop: Header=BB4_10357 Depth=3
	ds_load_b32 v2, v0 offset:720
	s_waitcnt lgkmcnt(0)
	v_and_b32_e32 v2, 15, v2
	s_delay_alu instid0(VALU_DEP_1)
	v_cmp_eq_u32_e32 vcc_lo, 0, v2
	s_or_not1_b32 s13, vcc_lo, exec_lo
.LBB4_10440:                            ;   in Loop: Header=BB4_10357 Depth=3
	s_or_b32 exec_lo, exec_lo, s14
	s_and_saveexec_b32 s14, s12
	s_cbranch_execz .LBB4_10442
; %bb.10441:                            ;   in Loop: Header=BB4_10357 Depth=3
	ds_load_b32 v2, v0 offset:784
	s_waitcnt lgkmcnt(0)
	v_and_b32_e32 v2, 15, v2
	s_delay_alu instid0(VALU_DEP_1) | instskip(SKIP_3) | instid1(SALU_CYCLE_1)
	v_cmp_eq_u32_e32 vcc_lo, 0, v2
	s_and_b32 s15, s13, vcc_lo
	s_and_not1_b32 s13, s13, exec_lo
	s_and_b32 s15, s15, exec_lo
	s_or_b32 s13, s13, s15
.LBB4_10442:                            ;   in Loop: Header=BB4_10357 Depth=3
	s_or_b32 exec_lo, exec_lo, s14
	s_xor_b32 s13, s13, -1
	v_mov_b32_e32 v64, v55
	v_cndmask_b32_e64 v2, 0, 1, s13
	;;#ASMSTART
	;;#ASMEND
	s_delay_alu instid0(VALU_DEP_1)
	v_cmp_ne_u32_e32 vcc_lo, 0, v2
	v_dual_mov_b32 v2, 0 :: v_dual_mov_b32 v65, v0
	v_mov_b32_e32 v8, v83
	s_mov_b32 s13, -1
	s_cbranch_vccnz .LBB4_10460
; %bb.10443:                            ;   in Loop: Header=BB4_10357 Depth=3
	v_ashrrev_i32_e32 v2, 31, v55
	s_mov_b32 s14, exec_lo
	s_delay_alu instid0(VALU_DEP_1) | instskip(NEXT) | instid1(VALU_DEP_1)
	v_lshrrev_b32_e32 v2, 22, v2
	v_add_nc_u32_e32 v2, v55, v2
	s_delay_alu instid0(VALU_DEP_1) | instskip(NEXT) | instid1(VALU_DEP_1)
	v_ashrrev_i32_e32 v2, 10, v2
	v_sub_nc_u32_e32 v67, v2, v83
	s_delay_alu instid0(VALU_DEP_1)
	v_cmpx_lt_i32_e32 0, v67
	s_cbranch_execz .LBB4_10448
; %bb.10444:                            ;   in Loop: Header=BB4_10357 Depth=3
	s_cbranch_execnz .LBB4_11369
; %bb.10445:                            ;   in Loop: Header=BB4_10357 Depth=3
	ds_load_b64 v[8:9], v0
	ds_load_b128 v[129:132], v0
	s_mov_b32 s15, 0
	s_waitcnt lgkmcnt(1)
	v_add_co_u32 v8, vcc_lo, v8, v114
	v_add_co_ci_u32_e32 v9, vcc_lo, v9, v115, vcc_lo
	s_waitcnt lgkmcnt(0)
	v_add_co_u32 v10, vcc_lo, v129, v114
	v_add_co_ci_u32_e32 v11, vcc_lo, v130, v115, vcc_lo
	v_add_co_u32 v13, vcc_lo, v131, v114
	v_add_co_ci_u32_e32 v14, vcc_lo, v132, v115, vcc_lo
.LBB4_10446:                            ;   Parent Loop BB4_51 Depth=1
                                        ;     Parent Loop BB4_10355 Depth=2
                                        ;       Parent Loop BB4_10357 Depth=3
                                        ; =>      This Inner Loop Header: Depth=4
	s_clause 0x1
	global_load_b128 v[129:132], v[8:9], off slc dlc
	global_load_b128 v[144:147], v[8:9], off offset:512 slc dlc
	v_sub_nc_u32_e32 v67, v67, v81
	v_add_co_u32 v8, vcc_lo, v8, v116
	v_add_co_ci_u32_e32 v9, vcc_lo, v9, v117, vcc_lo
	s_delay_alu instid0(VALU_DEP_3)
	v_cmp_gt_i32_e32 vcc_lo, 1, v67
	s_waitcnt vmcnt(1)
	global_store_b128 v[10:11], v[129:132], off glc slc dlc
	s_waitcnt vmcnt(0)
	global_store_b128 v[10:11], v[144:147], off offset:512 glc slc dlc
	s_clause 0x1
	global_store_b128 v[13:14], v[129:132], off glc slc dlc
	global_store_b128 v[13:14], v[144:147], off offset:512 glc slc dlc
	v_add_co_u32 v10, s13, v10, v116
	s_delay_alu instid0(VALU_DEP_1) | instskip(SKIP_1) | instid1(VALU_DEP_1)
	v_add_co_ci_u32_e64 v11, s13, v11, v117, s13
	v_add_co_u32 v13, s13, v13, v116
	v_add_co_ci_u32_e64 v14, s13, v14, v117, s13
	s_or_b32 s15, vcc_lo, s15
	s_delay_alu instid0(SALU_CYCLE_1)
	s_and_not1_b32 exec_lo, exec_lo, s15
	s_cbranch_execnz .LBB4_10446
; %bb.10447:                            ;   in Loop: Header=BB4_10357 Depth=3
	s_or_b32 exec_lo, exec_lo, s15
.LBB4_10448:                            ;   in Loop: Header=BB4_10357 Depth=3
	s_delay_alu instid0(SALU_CYCLE_1) | instskip(SKIP_4) | instid1(VALU_DEP_2)
	s_or_b32 exec_lo, exec_lo, s14
	v_lshlrev_b32_e32 v66, 10, v2
	v_mov_b32_e32 v2, 0
	s_mov_b32 s13, 0
	s_mov_b32 s16, exec_lo
                                        ; implicit-def: $vgpr64
                                        ; implicit-def: $vgpr65
                                        ; implicit-def: $vgpr8
	v_cmpx_ne_u32_e64 v55, v66
	s_cbranch_execz .LBB4_10459
; %bb.10449:                            ;   in Loop: Header=BB4_10357 Depth=3
	v_lshlrev_b32_e32 v2, 5, v67
	v_sub_nc_u32_e32 v9, v55, v66
	s_mov_b32 s17, exec_lo
	s_delay_alu instid0(VALU_DEP_2) | instskip(NEXT) | instid1(VALU_DEP_2)
	v_sub_nc_u32_e32 v2, v84, v2
	v_ashrrev_i32_e32 v10, 31, v9
	s_delay_alu instid0(VALU_DEP_2) | instskip(NEXT) | instid1(VALU_DEP_2)
	v_ashrrev_i32_e32 v8, 31, v2
	v_lshrrev_b32_e32 v10, 23, v10
	s_delay_alu instid0(VALU_DEP_2) | instskip(NEXT) | instid1(VALU_DEP_2)
	v_lshrrev_b32_e32 v8, 27, v8
	v_add_nc_u32_e32 v10, v9, v10
	s_delay_alu instid0(VALU_DEP_2) | instskip(NEXT) | instid1(VALU_DEP_2)
	v_add_nc_u32_e32 v8, v2, v8
	v_and_b32_e32 v67, 0xfffffe00, v10
	v_ashrrev_i32_e32 v10, 9, v10
	s_delay_alu instid0(VALU_DEP_3) | instskip(NEXT) | instid1(VALU_DEP_3)
	v_and_b32_e32 v11, 0xffffffe0, v8
	v_sub_nc_u32_e32 v69, v9, v67
	s_delay_alu instid0(VALU_DEP_2) | instskip(SKIP_1) | instid1(VALU_DEP_3)
	v_sub_nc_u32_e32 v68, v2, v11
	v_ashrrev_i32_e32 v11, 5, v8
	v_cmp_lt_i32_e64 s13, 15, v69
	s_delay_alu instid0(VALU_DEP_3) | instskip(NEXT) | instid1(VALU_DEP_2)
	v_lshlrev_b32_e32 v2, 4, v68
	v_add_co_ci_u32_e64 v10, vcc_lo, 0, v10, s13
	s_delay_alu instid0(VALU_DEP_2) | instskip(NEXT) | instid1(VALU_DEP_2)
	v_lshl_add_u32 v8, v11, 9, v2
	v_sub_nc_u32_e32 v129, v10, v11
	s_delay_alu instid0(VALU_DEP_2) | instskip(NEXT) | instid1(VALU_DEP_1)
	v_sub_nc_u32_e32 v2, v9, v8
	v_cmpx_lt_i32_e32 15, v2
	s_cbranch_execz .LBB4_10456
; %bb.10450:                            ;   in Loop: Header=BB4_10357 Depth=3
	s_cbranch_execnz .LBB4_11409
; %bb.10451:                            ;   in Loop: Header=BB4_10357 Depth=3
	ds_load_b64 v[9:10], v0
	ds_load_b128 v[130:133], v0
	v_add_nc_u32_e32 v8, v8, v66
	s_mov_b32 s40, 0
	s_delay_alu instid0(VALU_DEP_1) | instskip(SKIP_2) | instid1(VALU_DEP_2)
	v_ashrrev_i32_e32 v11, 31, v8
	s_waitcnt lgkmcnt(1)
	v_add_co_u32 v13, vcc_lo, v9, v8
	v_add_co_ci_u32_e32 v14, vcc_lo, v10, v11, vcc_lo
	s_waitcnt lgkmcnt(0)
	v_add_co_u32 v64, vcc_lo, v130, v8
	v_add_co_ci_u32_e32 v65, vcc_lo, v131, v11, vcc_lo
	v_add_co_u32 v130, vcc_lo, v132, v8
	v_add_co_ci_u32_e32 v131, vcc_lo, v133, v11, vcc_lo
.LBB4_10452:                            ;   Parent Loop BB4_51 Depth=1
                                        ;     Parent Loop BB4_10355 Depth=2
                                        ;       Parent Loop BB4_10357 Depth=3
                                        ; =>      This Loop Header: Depth=4
                                        ;           Child Loop BB4_10453 Depth 5
	global_load_b128 v[8:11], v[13:14], off slc dlc
	s_mov_b64 s[14:15], 0
	s_mov_b32 s41, -1
.LBB4_10453:                            ;   Parent Loop BB4_51 Depth=1
                                        ;     Parent Loop BB4_10355 Depth=2
                                        ;       Parent Loop BB4_10357 Depth=3
                                        ;         Parent Loop BB4_10452 Depth=4
                                        ; =>        This Inner Loop Header: Depth=5
	s_cmp_eq_u32 s14, 0
	v_cndmask_b32_e64 v134, 0, 1, s41
	s_cselect_b32 vcc_lo, -1, 0
	s_cmp_eq_u32 s14, 1
	s_mov_b32 s41, 0
	s_cselect_b32 s14, -1, 0
	s_delay_alu instid0(SALU_CYCLE_1) | instskip(SKIP_1) | instid1(VALU_DEP_2)
	v_cndmask_b32_e64 v132, v64, v130, s14
	v_cndmask_b32_e64 v133, v65, v131, s14
	v_add_co_u32 v135, s15, 0x200, v132
	s_delay_alu instid0(VALU_DEP_1) | instskip(SKIP_1) | instid1(VALU_DEP_3)
	v_add_co_ci_u32_e64 v144, s15, 0, v133, s15
	v_cmp_ne_u32_e64 s15, 1, v134
	v_cndmask_b32_e64 v130, v130, v135, s14
	v_cndmask_b32_e32 v64, v64, v135, vcc_lo
	s_delay_alu instid0(VALU_DEP_4)
	v_cndmask_b32_e64 v131, v131, v144, s14
	v_cndmask_b32_e32 v65, v65, v144, vcc_lo
	s_and_b32 vcc_lo, exec_lo, s15
	s_mov_b64 s[14:15], 1
	s_waitcnt vmcnt(0)
	global_store_b128 v[132:133], v[8:11], off glc slc dlc
	s_cbranch_vccz .LBB4_10453
; %bb.10454:                            ;   in Loop: Header=BB4_10452 Depth=4
	v_add_co_u32 v64, vcc_lo, v64, v87
	v_sub_nc_u32_e32 v2, v2, v85
	v_add_co_ci_u32_e32 v65, vcc_lo, v65, v99, vcc_lo
	v_add_co_u32 v130, vcc_lo, v130, v87
	v_add_co_ci_u32_e32 v131, vcc_lo, v131, v99, vcc_lo
	s_delay_alu instid0(VALU_DEP_4) | instskip(SKIP_1) | instid1(VALU_DEP_1)
	v_cmp_gt_i32_e32 vcc_lo, 16, v2
	v_add_co_u32 v13, s14, v101, v13
	v_add_co_ci_u32_e64 v14, s14, v102, v14, s14
	v_sub_nc_u32_e32 v129, v129, v81
	s_or_b32 s40, vcc_lo, s40
	s_delay_alu instid0(SALU_CYCLE_1)
	s_and_not1_b32 exec_lo, exec_lo, s40
	s_cbranch_execnz .LBB4_10452
; %bb.10455:                            ;   in Loop: Header=BB4_10357 Depth=3
	s_or_b32 exec_lo, exec_lo, s40
.LBB4_10456:                            ;   in Loop: Header=BB4_10357 Depth=3
	s_delay_alu instid0(SALU_CYCLE_1) | instskip(SKIP_3) | instid1(VALU_DEP_1)
	s_or_b32 exec_lo, exec_lo, s17
	v_dual_mov_b32 v2, 0 :: v_dual_and_b32 v9, 15, v55
	s_mov_b32 s14, 0
	s_mov_b32 s15, exec_lo
                                        ; implicit-def: $vgpr65
                                        ; implicit-def: $vgpr8
	v_cndmask_b32_e64 v64, v69, v9, s13
	s_delay_alu instid0(VALU_DEP_1)
	v_cmpx_ne_u32_e32 0, v64
	s_cbranch_execz .LBB4_10458
; %bb.10457:                            ;   in Loop: Header=BB4_10357 Depth=3
	v_cmp_lt_i32_e32 vcc_lo, 0, v129
	v_sub_nc_u32_e32 v8, v69, v9
	s_mov_b32 s14, exec_lo
	v_cndmask_b32_e32 v2, 0, v81, vcc_lo
	s_delay_alu instid0(VALU_DEP_2) | instskip(NEXT) | instid1(VALU_DEP_2)
	v_cndmask_b32_e64 v8, 0, v8, s13
	v_sub_nc_u32_e32 v2, v2, v129
	s_delay_alu instid0(VALU_DEP_1) | instskip(NEXT) | instid1(VALU_DEP_1)
	v_lshl_add_u32 v65, v2, 5, v68
	v_ashrrev_i32_e32 v2, 31, v65
	s_delay_alu instid0(VALU_DEP_1) | instskip(NEXT) | instid1(VALU_DEP_1)
	v_lshrrev_b32_e32 v2, 27, v2
	v_add_nc_u32_e32 v9, v65, v2
	v_add3_u32 v2, v67, v66, v8
	s_delay_alu instid0(VALU_DEP_2)
	v_ashrrev_i32_e32 v8, 5, v9
.LBB4_10458:                            ;   in Loop: Header=BB4_10357 Depth=3
	s_or_b32 exec_lo, exec_lo, s15
	s_delay_alu instid0(SALU_CYCLE_1)
	s_and_b32 s13, s14, exec_lo
.LBB4_10459:                            ;   in Loop: Header=BB4_10357 Depth=3
	s_or_b32 exec_lo, exec_lo, s16
.LBB4_10460:                            ;   in Loop: Header=BB4_10357 Depth=3
	s_and_saveexec_b32 s15, s13
	s_cbranch_execz .LBB4_10474
; %bb.10461:                            ;   in Loop: Header=BB4_10357 Depth=3
	v_ashrrev_i32_e32 v9, 31, v64
	s_mov_b32 s14, exec_lo
	s_delay_alu instid0(VALU_DEP_1) | instskip(NEXT) | instid1(VALU_DEP_1)
	v_lshrrev_b32_e32 v9, 23, v9
	v_add_nc_u32_e32 v9, v64, v9
	s_delay_alu instid0(VALU_DEP_1) | instskip(NEXT) | instid1(VALU_DEP_1)
	v_ashrrev_i32_e32 v67, 9, v9
	v_sub_nc_u32_e32 v66, v67, v8
	s_delay_alu instid0(VALU_DEP_1)
	v_cmpx_lt_i32_e32 0, v66
	s_cbranch_execz .LBB4_10466
; %bb.10462:                            ;   in Loop: Header=BB4_10357 Depth=3
	s_cbranch_execnz .LBB4_11363
; %bb.10463:                            ;   in Loop: Header=BB4_10357 Depth=3
	v_ashrrev_i32_e32 v9, 31, v65
	v_lshlrev_b32_e32 v8, 9, v8
	s_mov_b32 s16, 0
	ds_load_b128 v[129:132], v0
	v_lshrrev_b32_e32 v9, 27, v9
	s_delay_alu instid0(VALU_DEP_1) | instskip(SKIP_2) | instid1(VALU_DEP_1)
	v_add_nc_u32_e32 v11, v65, v9
	ds_load_b64 v[9:10], v0
	v_and_b32_e32 v11, 0xffffffe0, v11
	v_sub_nc_u32_e32 v11, v65, v11
	s_delay_alu instid0(VALU_DEP_1) | instskip(NEXT) | instid1(VALU_DEP_1)
	v_add3_u32 v13, v2, v11, v8
	v_ashrrev_i32_e32 v14, 31, v13
	s_waitcnt lgkmcnt(0)
	v_add_co_u32 v68, vcc_lo, 0x1e0, v9
	v_add_co_ci_u32_e32 v69, vcc_lo, 0, v10, vcc_lo
	v_add_co_u32 v8, vcc_lo, v129, v13
	v_add_co_ci_u32_e32 v9, vcc_lo, v130, v14, vcc_lo
	;; [unrolled: 2-line block ×4, first 2 shown]
.LBB4_10464:                            ;   Parent Loop BB4_51 Depth=1
                                        ;     Parent Loop BB4_10355 Depth=2
                                        ;       Parent Loop BB4_10357 Depth=3
                                        ; =>      This Inner Loop Header: Depth=4
	s_delay_alu instid0(VALU_DEP_2) | instskip(NEXT) | instid1(VALU_DEP_2)
	v_add_co_u32 v68, vcc_lo, 0xfffffe20, v13
	v_add_co_ci_u32_e32 v69, vcc_lo, -1, v14, vcc_lo
	v_add_co_u32 v129, vcc_lo, 0xfffffe40, v13
	v_add_co_ci_u32_e32 v130, vcc_lo, -1, v14, vcc_lo
	;; [unrolled: 2-line block ×15, first 2 shown]
	flat_load_u8 v135, v[13:14] slc dlc
	flat_load_u8 v68, v[68:69] slc dlc
	;; [unrolled: 1-line block ×16, first 2 shown]
	v_sub_nc_u32_e32 v66, v66, v81
	v_add_co_u32 v13, vcc_lo, v13, v101
	v_add_co_ci_u32_e32 v14, vcc_lo, v14, v102, vcc_lo
	s_delay_alu instid0(VALU_DEP_3)
	v_cmp_gt_i32_e32 vcc_lo, 1, v66
	s_waitcnt vmcnt(14) lgkmcnt(14)
	flat_store_b8 v[8:9], v68 glc slc dlc
	s_waitcnt vmcnt(13) lgkmcnt(14)
	flat_store_b8 v[8:9], v69 offset:32 glc slc dlc
	s_waitcnt vmcnt(12) lgkmcnt(14)
	flat_store_b8 v[8:9], v129 offset:64 glc slc dlc
	;; [unrolled: 2-line block ×13, first 2 shown]
	s_waitcnt vmcnt(0) lgkmcnt(14)
	s_clause 0x1
	flat_store_b8 v[8:9], v150 offset:448 glc slc dlc
	flat_store_b8 v[8:9], v135 offset:480 glc slc dlc
	s_clause 0xf
	flat_store_b8 v[10:11], v68 glc slc dlc
	flat_store_b8 v[10:11], v69 offset:32 glc slc dlc
	flat_store_b8 v[10:11], v129 offset:64 glc slc dlc
	;; [unrolled: 1-line block ×15, first 2 shown]
	v_add_co_u32 v8, s13, v8, v101
	s_delay_alu instid0(VALU_DEP_1) | instskip(SKIP_1) | instid1(VALU_DEP_1)
	v_add_co_ci_u32_e64 v9, s13, v9, v102, s13
	v_add_co_u32 v10, s13, v10, v101
	v_add_co_ci_u32_e64 v11, s13, v11, v102, s13
	s_or_b32 s16, vcc_lo, s16
	s_delay_alu instid0(SALU_CYCLE_1)
	s_and_not1_b32 exec_lo, exec_lo, s16
	s_cbranch_execnz .LBB4_10464
; %bb.10465:                            ;   in Loop: Header=BB4_10357 Depth=3
	s_or_b32 exec_lo, exec_lo, s16
.LBB4_10466:                            ;   in Loop: Header=BB4_10357 Depth=3
	s_delay_alu instid0(SALU_CYCLE_1) | instskip(SKIP_2) | instid1(VALU_DEP_1)
	s_or_b32 exec_lo, exec_lo, s14
	v_lshlrev_b32_e32 v8, 9, v67
	s_mov_b32 s40, exec_lo
	v_cmpx_ne_u32_e64 v64, v8
	s_cbranch_execz .LBB4_10473
; %bb.10467:                            ;   in Loop: Header=BB4_10357 Depth=3
	v_ashrrev_i32_e32 v9, 31, v65
	v_lshlrev_b32_e32 v10, 5, v66
	s_delay_alu instid0(VALU_DEP_2) | instskip(NEXT) | instid1(VALU_DEP_1)
	v_lshrrev_b32_e32 v9, 27, v9
	v_add_nc_u32_e32 v9, v65, v9
	s_delay_alu instid0(VALU_DEP_1) | instskip(NEXT) | instid1(VALU_DEP_1)
	v_and_b32_e32 v9, 0xffffffe0, v9
	v_sub_nc_u32_e32 v9, v65, v9
	s_delay_alu instid0(VALU_DEP_1) | instskip(NEXT) | instid1(VALU_DEP_1)
	v_sub_nc_u32_e32 v9, v9, v10
	v_add_nc_u32_e32 v8, v8, v9
	s_delay_alu instid0(VALU_DEP_1) | instskip(NEXT) | instid1(VALU_DEP_1)
	v_sub_nc_u32_e32 v10, v64, v8
	v_cmp_lt_i32_e32 vcc_lo, 0, v10
	s_and_b32 exec_lo, exec_lo, vcc_lo
	s_cbranch_execz .LBB4_10473
; %bb.10468:                            ;   in Loop: Header=BB4_10357 Depth=3
	s_cbranch_execnz .LBB4_11403
; %bb.10469:                            ;   in Loop: Header=BB4_10357 Depth=3
	ds_load_b64 v[13:14], v0
	ds_load_b128 v[64:67], v0
	v_add_nc_u32_e32 v68, v8, v2
	s_mov_b32 s41, 0
	s_delay_alu instid0(VALU_DEP_1) | instskip(SKIP_2) | instid1(VALU_DEP_2)
	v_ashrrev_i32_e32 v69, 31, v68
	s_waitcnt lgkmcnt(1)
	v_add_co_u32 v8, vcc_lo, v13, v68
	v_add_co_ci_u32_e32 v9, vcc_lo, v14, v69, vcc_lo
	s_waitcnt lgkmcnt(0)
	v_add_co_u32 v2, vcc_lo, v64, v68
	v_add_co_ci_u32_e32 v11, vcc_lo, v65, v69, vcc_lo
	v_add_co_u32 v13, vcc_lo, v66, v68
	v_add_co_ci_u32_e32 v14, vcc_lo, v67, v69, vcc_lo
	s_set_inst_prefetch_distance 0x1
.LBB4_10470:                            ;   Parent Loop BB4_51 Depth=1
                                        ;     Parent Loop BB4_10355 Depth=2
                                        ;       Parent Loop BB4_10357 Depth=3
                                        ; =>      This Loop Header: Depth=4
                                        ;           Child Loop BB4_10471 Depth 5
	flat_load_u8 v64, v[8:9] slc dlc
	s_mov_b64 s[16:17], 0
	s_mov_b32 s42, -1
.LBB4_10471:                            ;   Parent Loop BB4_51 Depth=1
                                        ;     Parent Loop BB4_10355 Depth=2
                                        ;       Parent Loop BB4_10357 Depth=3
                                        ;         Parent Loop BB4_10470 Depth=4
                                        ; =>        This Inner Loop Header: Depth=5
	s_cmp_eq_u32 s16, 1
	s_cselect_b32 vcc_lo, -1, 0
	s_cmp_eq_u32 s16, 0
	v_dual_cndmask_b32 v66, v11, v14 :: v_dual_cndmask_b32 v65, v2, v13
	s_mov_b64 s[16:17], 1
	s_delay_alu instid0(VALU_DEP_1) | instskip(NEXT) | instid1(VALU_DEP_1)
	v_add_co_u32 v67, s13, v65, 32
	v_add_co_ci_u32_e64 v68, s13, 0, v66, s13
	s_cselect_b32 s13, -1, 0
	s_and_b32 s14, exec_lo, s42
	s_delay_alu instid0(VALU_DEP_1)
	v_dual_cndmask_b32 v13, v13, v67 :: v_dual_cndmask_b32 v14, v14, v68
	v_cndmask_b32_e64 v11, v11, v68, s13
	v_cndmask_b32_e64 v2, v2, v67, s13
	s_mov_b32 s42, 0
	s_mov_b32 vcc_lo, s14
	s_waitcnt vmcnt(0) lgkmcnt(0)
	flat_store_b8 v[65:66], v64 glc slc dlc
	s_cbranch_vccnz .LBB4_10471
; %bb.10472:                            ;   in Loop: Header=BB4_10470 Depth=4
	v_add_co_u32 v2, vcc_lo, v2, v100
	v_sub_nc_u32_e32 v10, v10, v82
	v_add_co_ci_u32_e32 v11, vcc_lo, v11, v103, vcc_lo
	v_add_co_u32 v13, vcc_lo, v13, v100
	v_add_co_ci_u32_e32 v14, vcc_lo, v14, v103, vcc_lo
	s_delay_alu instid0(VALU_DEP_4) | instskip(SKIP_1) | instid1(VALU_DEP_1)
	v_cmp_gt_i32_e32 vcc_lo, 1, v10
	v_add_co_u32 v8, s13, v112, v8
	v_add_co_ci_u32_e64 v9, s13, v113, v9, s13
	s_or_b32 s41, vcc_lo, s41
	s_delay_alu instid0(SALU_CYCLE_1)
	s_and_not1_b32 exec_lo, exec_lo, s41
	s_cbranch_execnz .LBB4_10470
.LBB4_10473:                            ;   in Loop: Header=BB4_10357 Depth=3
	s_set_inst_prefetch_distance 0x2
	s_or_b32 exec_lo, exec_lo, s40
.LBB4_10474:                            ;   in Loop: Header=BB4_10357 Depth=3
	s_delay_alu instid0(SALU_CYCLE_1)
	s_or_b32 exec_lo, exec_lo, s15
	s_mov_b32 s13, 0
	s_branch .LBB4_10476
.LBB4_10475:                            ;   in Loop: Header=BB4_10357 Depth=3
	s_mov_b32 s13, -1
.LBB4_10476:                            ;   in Loop: Header=BB4_10357 Depth=3
	s_delay_alu instid0(SALU_CYCLE_1)
	s_and_b32 vcc_lo, exec_lo, s13
	s_cbranch_vccz .LBB4_10510
; %bb.10477:                            ;   in Loop: Header=BB4_10357 Depth=3
	s_mov_b32 s13, -1
	s_and_saveexec_b32 s14, s6
	s_cbranch_execz .LBB4_10479
; %bb.10478:                            ;   in Loop: Header=BB4_10357 Depth=3
	ds_load_b32 v2, v0 offset:720
	s_waitcnt lgkmcnt(0)
	v_and_b32_e32 v2, 15, v2
	s_delay_alu instid0(VALU_DEP_1)
	v_cmp_eq_u32_e32 vcc_lo, 0, v2
	s_or_not1_b32 s13, vcc_lo, exec_lo
.LBB4_10479:                            ;   in Loop: Header=BB4_10357 Depth=3
	s_or_b32 exec_lo, exec_lo, s14
	s_and_saveexec_b32 s14, s5
	s_cbranch_execz .LBB4_10481
; %bb.10480:                            ;   in Loop: Header=BB4_10357 Depth=3
	ds_load_b32 v2, v0 offset:784
	s_waitcnt lgkmcnt(0)
	v_and_b32_e32 v2, 15, v2
	s_delay_alu instid0(VALU_DEP_1) | instskip(SKIP_3) | instid1(SALU_CYCLE_1)
	v_cmp_eq_u32_e32 vcc_lo, 0, v2
	s_and_b32 s15, s13, vcc_lo
	s_and_not1_b32 s13, s13, exec_lo
	s_and_b32 s15, s15, exec_lo
	s_or_b32 s13, s13, s15
.LBB4_10481:                            ;   in Loop: Header=BB4_10357 Depth=3
	s_or_b32 exec_lo, exec_lo, s14
	s_xor_b32 s13, s13, -1
	v_mov_b32_e32 v14, v0
	v_cndmask_b32_e64 v2, 0, 1, s13
	;;#ASMSTART
	;;#ASMEND
	s_delay_alu instid0(VALU_DEP_1)
	v_cmp_ne_u32_e32 vcc_lo, 0, v2
	v_dual_mov_b32 v2, 0 :: v_dual_mov_b32 v13, v55
	v_mov_b32_e32 v66, v83
	s_mov_b32 s13, -1
	s_cbranch_vccnz .LBB4_10497
; %bb.10482:                            ;   in Loop: Header=BB4_10357 Depth=3
	v_ashrrev_i32_e32 v2, 31, v55
	s_mov_b32 s14, exec_lo
	s_delay_alu instid0(VALU_DEP_1) | instskip(NEXT) | instid1(VALU_DEP_1)
	v_lshrrev_b32_e32 v2, 21, v2
	v_add_nc_u32_e32 v2, v55, v2
	s_delay_alu instid0(VALU_DEP_1) | instskip(NEXT) | instid1(VALU_DEP_1)
	v_ashrrev_i32_e32 v2, 11, v2
	v_sub_nc_u32_e32 v64, v2, v83
	s_delay_alu instid0(VALU_DEP_1)
	v_cmpx_lt_i32_e32 0, v64
	s_cbranch_execz .LBB4_10487
; %bb.10483:                            ;   in Loop: Header=BB4_10357 Depth=3
	s_cbranch_execnz .LBB4_11387
; %bb.10484:                            ;   in Loop: Header=BB4_10357 Depth=3
	ds_load_b64 v[8:9], v0
	s_mov_b32 s15, 0
	s_waitcnt lgkmcnt(0)
	v_dual_mov_b32 v11, v9 :: v_dual_mov_b32 v10, v8
	s_set_inst_prefetch_distance 0x1
.LBB4_10485:                            ;   Parent Loop BB4_51 Depth=1
                                        ;     Parent Loop BB4_10355 Depth=2
                                        ;       Parent Loop BB4_10357 Depth=3
                                        ; =>      This Inner Loop Header: Depth=4
	s_delay_alu instid0(VALU_DEP_1) | instskip(NEXT) | instid1(VALU_DEP_2)
	v_add_co_u32 v13, vcc_lo, v86, v10
	v_add_co_ci_u32_e32 v14, vcc_lo, v96, v11, vcc_lo
	v_sub_nc_u32_e32 v64, v64, v81
	s_clause 0x3
	global_load_b128 v[65:68], v[13:14], off slc dlc
	global_load_b128 v[129:132], v[13:14], off offset:512 slc dlc
	global_load_b128 v[144:147], v[13:14], off offset:1024 slc dlc
	;; [unrolled: 1-line block ×3, first 2 shown]
	v_add_co_u32 v13, vcc_lo, v86, v8
	v_add_co_ci_u32_e32 v14, vcc_lo, v96, v9, vcc_lo
	v_add_co_u32 v10, vcc_lo, v10, v97
	v_add_co_ci_u32_e32 v11, vcc_lo, v11, v98, vcc_lo
	v_add_co_u32 v8, vcc_lo, v8, v97
	v_cmp_gt_i32_e64 s13, 1, v64
	v_add_co_ci_u32_e32 v9, vcc_lo, v9, v98, vcc_lo
	s_waitcnt vmcnt(3)
	global_store_b128 v[13:14], v[65:68], off glc slc dlc
	s_waitcnt vmcnt(2)
	global_store_b128 v[13:14], v[129:132], off offset:512 glc slc dlc
	s_waitcnt vmcnt(1)
	global_store_b128 v[13:14], v[144:147], off offset:1024 glc slc dlc
	;; [unrolled: 2-line block ×3, first 2 shown]
	s_or_b32 s15, s13, s15
	s_delay_alu instid0(SALU_CYCLE_1)
	s_and_not1_b32 exec_lo, exec_lo, s15
	s_cbranch_execnz .LBB4_10485
; %bb.10486:                            ;   in Loop: Header=BB4_10357 Depth=3
	s_set_inst_prefetch_distance 0x2
	s_or_b32 exec_lo, exec_lo, s15
.LBB4_10487:                            ;   in Loop: Header=BB4_10357 Depth=3
	s_delay_alu instid0(SALU_CYCLE_1) | instskip(SKIP_4) | instid1(VALU_DEP_2)
	s_or_b32 exec_lo, exec_lo, s14
	v_lshlrev_b32_e32 v10, 11, v2
	v_mov_b32_e32 v2, 0
	s_mov_b32 s13, 0
	s_mov_b32 s15, exec_lo
                                        ; implicit-def: $vgpr13
                                        ; implicit-def: $vgpr14
                                        ; implicit-def: $vgpr66
	v_cmpx_ne_u32_e64 v55, v10
	s_cbranch_execz .LBB4_10496
; %bb.10488:                            ;   in Loop: Header=BB4_10357 Depth=3
	v_lshlrev_b32_e32 v2, 5, v64
	v_sub_nc_u32_e32 v9, v55, v10
	s_mov_b32 s16, exec_lo
	s_delay_alu instid0(VALU_DEP_2) | instskip(NEXT) | instid1(VALU_DEP_2)
	v_sub_nc_u32_e32 v2, v84, v2
	v_ashrrev_i32_e32 v11, 31, v9
	s_delay_alu instid0(VALU_DEP_2) | instskip(NEXT) | instid1(VALU_DEP_2)
	v_ashrrev_i32_e32 v8, 31, v2
	v_lshrrev_b32_e32 v11, 23, v11
	s_delay_alu instid0(VALU_DEP_2) | instskip(NEXT) | instid1(VALU_DEP_2)
	v_lshrrev_b32_e32 v8, 27, v8
	v_add_nc_u32_e32 v14, v9, v11
	s_delay_alu instid0(VALU_DEP_2) | instskip(NEXT) | instid1(VALU_DEP_2)
	v_add_nc_u32_e32 v8, v2, v8
	v_and_b32_e32 v11, 0xfffffe00, v14
	v_ashrrev_i32_e32 v14, 9, v14
	s_delay_alu instid0(VALU_DEP_3) | instskip(NEXT) | instid1(VALU_DEP_3)
	v_and_b32_e32 v13, 0xffffffe0, v8
	v_sub_nc_u32_e32 v65, v9, v11
	v_ashrrev_i32_e32 v8, 5, v8
	s_delay_alu instid0(VALU_DEP_3) | instskip(NEXT) | instid1(VALU_DEP_3)
	v_sub_nc_u32_e32 v64, v2, v13
	v_cmp_lt_i32_e32 vcc_lo, 15, v65
	s_delay_alu instid0(VALU_DEP_2) | instskip(SKIP_1) | instid1(VALU_DEP_2)
	v_lshlrev_b32_e32 v2, 4, v64
	v_add_co_ci_u32_e64 v14, s13, 0, v14, vcc_lo
	v_lshl_add_u32 v13, v8, 9, v2
	s_delay_alu instid0(VALU_DEP_2) | instskip(NEXT) | instid1(VALU_DEP_2)
	v_sub_nc_u32_e32 v67, v14, v8
	v_sub_nc_u32_e32 v2, v9, v13
	s_delay_alu instid0(VALU_DEP_1)
	v_cmpx_lt_i32_e32 15, v2
	s_cbranch_execz .LBB4_10493
; %bb.10489:                            ;   in Loop: Header=BB4_10357 Depth=3
	s_cbranch_execnz .LBB4_11417
; %bb.10490:                            ;   in Loop: Header=BB4_10357 Depth=3
	ds_load_b64 v[8:9], v0
	v_add_nc_u32_e32 v13, v13, v10
	s_mov_b32 s17, 0
	s_delay_alu instid0(VALU_DEP_1)
	v_ashrrev_i32_e32 v14, 31, v13
.LBB4_10491:                            ;   Parent Loop BB4_51 Depth=1
                                        ;     Parent Loop BB4_10355 Depth=2
                                        ;       Parent Loop BB4_10357 Depth=3
                                        ; =>      This Inner Loop Header: Depth=4
	s_waitcnt lgkmcnt(0)
	v_add_co_u32 v68, s13, v8, v13
	s_delay_alu instid0(VALU_DEP_1)
	v_add_co_ci_u32_e64 v69, s13, v9, v14, s13
	v_sub_nc_u32_e32 v2, v2, v85
	v_add_co_u32 v13, s14, v13, v101
	global_load_b128 v[129:132], v[68:69], off slc dlc
	v_sub_nc_u32_e32 v67, v67, v81
	v_cmp_gt_i32_e64 s13, 16, v2
	v_add_co_ci_u32_e64 v14, s14, v14, v102, s14
	s_delay_alu instid0(VALU_DEP_2)
	s_or_b32 s17, s13, s17
	s_waitcnt vmcnt(0)
	global_store_b128 v[68:69], v[129:132], off glc slc dlc
	s_and_not1_b32 exec_lo, exec_lo, s17
	s_cbranch_execnz .LBB4_10491
; %bb.10492:                            ;   in Loop: Header=BB4_10357 Depth=3
	s_or_b32 exec_lo, exec_lo, s17
.LBB4_10493:                            ;   in Loop: Header=BB4_10357 Depth=3
	s_delay_alu instid0(SALU_CYCLE_1) | instskip(SKIP_3) | instid1(VALU_DEP_1)
	s_or_b32 exec_lo, exec_lo, s16
	v_and_b32_e32 v8, 15, v55
	s_mov_b32 s14, 0
	s_mov_b32 s16, exec_lo
                                        ; implicit-def: $vgpr14
                                        ; implicit-def: $vgpr66
	v_dual_mov_b32 v2, 0 :: v_dual_cndmask_b32 v13, v65, v8
	s_delay_alu instid0(VALU_DEP_1)
	v_cmpx_ne_u32_e32 0, v13
; %bb.10494:                            ;   in Loop: Header=BB4_10357 Depth=3
	v_cmp_lt_i32_e64 s13, 0, v67
	v_sub_nc_u32_e32 v8, v65, v8
	s_mov_b32 s14, exec_lo
	s_delay_alu instid0(VALU_DEP_2) | instskip(NEXT) | instid1(VALU_DEP_1)
	v_cndmask_b32_e64 v2, 0, v81, s13
	v_sub_nc_u32_e32 v2, v2, v67
	s_delay_alu instid0(VALU_DEP_1) | instskip(NEXT) | instid1(VALU_DEP_1)
	v_lshl_add_u32 v14, v2, 5, v64
	v_ashrrev_i32_e32 v2, 31, v14
	s_delay_alu instid0(VALU_DEP_1) | instskip(NEXT) | instid1(VALU_DEP_1)
	v_lshrrev_b32_e32 v2, 27, v2
	v_dual_cndmask_b32 v8, 0, v8 :: v_dual_add_nc_u32 v9, v14, v2
	s_delay_alu instid0(VALU_DEP_1) | instskip(NEXT) | instid1(VALU_DEP_2)
	v_add3_u32 v2, v11, v10, v8
	v_ashrrev_i32_e32 v66, 5, v9
; %bb.10495:                            ;   in Loop: Header=BB4_10357 Depth=3
	s_or_b32 exec_lo, exec_lo, s16
	s_delay_alu instid0(SALU_CYCLE_1)
	s_and_b32 s13, s14, exec_lo
.LBB4_10496:                            ;   in Loop: Header=BB4_10357 Depth=3
	s_or_b32 exec_lo, exec_lo, s15
.LBB4_10497:                            ;   in Loop: Header=BB4_10357 Depth=3
	s_and_saveexec_b32 s14, s13
	s_cbranch_execz .LBB4_10509
; %bb.10498:                            ;   in Loop: Header=BB4_10357 Depth=3
	v_ashrrev_i32_e32 v8, 31, v13
	s_mov_b32 s13, exec_lo
	s_delay_alu instid0(VALU_DEP_1) | instskip(NEXT) | instid1(VALU_DEP_1)
	v_lshrrev_b32_e32 v8, 23, v8
	v_add_nc_u32_e32 v8, v13, v8
	s_delay_alu instid0(VALU_DEP_1) | instskip(NEXT) | instid1(VALU_DEP_1)
	v_ashrrev_i32_e32 v65, 9, v8
	v_sub_nc_u32_e32 v64, v65, v66
	s_delay_alu instid0(VALU_DEP_1)
	v_cmpx_lt_i32_e32 0, v64
	s_cbranch_execz .LBB4_10503
; %bb.10499:                            ;   in Loop: Header=BB4_10357 Depth=3
	s_cbranch_execnz .LBB4_11377
; %bb.10500:                            ;   in Loop: Header=BB4_10357 Depth=3
	v_ashrrev_i32_e32 v8, 31, v14
	s_mov_b32 s15, 0
	s_delay_alu instid0(VALU_DEP_1) | instskip(NEXT) | instid1(VALU_DEP_1)
	v_lshrrev_b32_e32 v8, 27, v8
	v_add_nc_u32_e32 v10, v14, v8
	ds_load_b64 v[8:9], v0
	v_lshlrev_b32_e32 v11, 9, v66
	v_and_b32_e32 v10, 0xffffffe0, v10
	s_delay_alu instid0(VALU_DEP_1) | instskip(NEXT) | instid1(VALU_DEP_1)
	v_sub_nc_u32_e32 v10, v14, v10
	v_add3_u32 v66, v2, v10, v11
	s_delay_alu instid0(VALU_DEP_1)
	v_ashrrev_i32_e32 v67, 31, v66
	s_waitcnt lgkmcnt(0)
	v_dual_mov_b32 v11, v9 :: v_dual_mov_b32 v10, v8
.LBB4_10501:                            ;   Parent Loop BB4_51 Depth=1
                                        ;     Parent Loop BB4_10355 Depth=2
                                        ;       Parent Loop BB4_10357 Depth=3
                                        ; =>      This Inner Loop Header: Depth=4
	s_delay_alu instid0(VALU_DEP_1) | instskip(NEXT) | instid1(VALU_DEP_2)
	v_add_co_u32 v68, vcc_lo, v66, v10
	v_add_co_ci_u32_e32 v69, vcc_lo, v67, v11, vcc_lo
	v_sub_nc_u32_e32 v64, v64, v81
	s_clause 0xf
	flat_load_u8 v129, v[68:69] slc dlc
	flat_load_u8 v130, v[68:69] offset:32 slc dlc
	flat_load_u8 v131, v[68:69] offset:64 slc dlc
	flat_load_u8 v132, v[68:69] offset:96 slc dlc
	flat_load_u8 v133, v[68:69] offset:128 slc dlc
	flat_load_u8 v134, v[68:69] offset:160 slc dlc
	flat_load_u8 v135, v[68:69] offset:192 slc dlc
	flat_load_u8 v144, v[68:69] offset:224 slc dlc
	flat_load_u8 v145, v[68:69] offset:256 slc dlc
	flat_load_u8 v146, v[68:69] offset:288 slc dlc
	flat_load_u8 v147, v[68:69] offset:320 slc dlc
	flat_load_u8 v148, v[68:69] offset:352 slc dlc
	flat_load_u8 v149, v[68:69] offset:384 slc dlc
	flat_load_u8 v150, v[68:69] offset:416 slc dlc
	flat_load_u8 v151, v[68:69] offset:448 slc dlc
	flat_load_u8 v160, v[68:69] offset:480 slc dlc
	v_add_co_u32 v68, vcc_lo, v66, v8
	v_add_co_ci_u32_e32 v69, vcc_lo, v67, v9, vcc_lo
	v_add_co_u32 v10, vcc_lo, v10, v101
	v_add_co_ci_u32_e32 v11, vcc_lo, v11, v102, vcc_lo
	v_add_co_u32 v8, vcc_lo, v8, v101
	v_add_co_ci_u32_e32 v9, vcc_lo, v9, v102, vcc_lo
	v_cmp_gt_i32_e32 vcc_lo, 1, v64
	s_waitcnt vmcnt(15) lgkmcnt(15)
	flat_store_b8 v[68:69], v129 glc slc dlc
	s_waitcnt vmcnt(14) lgkmcnt(15)
	flat_store_b8 v[68:69], v130 offset:32 glc slc dlc
	s_waitcnt vmcnt(13) lgkmcnt(15)
	flat_store_b8 v[68:69], v131 offset:64 glc slc dlc
	s_waitcnt vmcnt(12) lgkmcnt(15)
	flat_store_b8 v[68:69], v132 offset:96 glc slc dlc
	s_waitcnt vmcnt(11) lgkmcnt(15)
	flat_store_b8 v[68:69], v133 offset:128 glc slc dlc
	s_waitcnt vmcnt(10) lgkmcnt(15)
	flat_store_b8 v[68:69], v134 offset:160 glc slc dlc
	s_waitcnt vmcnt(9) lgkmcnt(15)
	flat_store_b8 v[68:69], v135 offset:192 glc slc dlc
	s_waitcnt vmcnt(8) lgkmcnt(15)
	flat_store_b8 v[68:69], v144 offset:224 glc slc dlc
	s_waitcnt vmcnt(7) lgkmcnt(15)
	flat_store_b8 v[68:69], v145 offset:256 glc slc dlc
	s_waitcnt vmcnt(6) lgkmcnt(15)
	flat_store_b8 v[68:69], v146 offset:288 glc slc dlc
	s_waitcnt vmcnt(5) lgkmcnt(15)
	flat_store_b8 v[68:69], v147 offset:320 glc slc dlc
	s_waitcnt vmcnt(4) lgkmcnt(15)
	flat_store_b8 v[68:69], v148 offset:352 glc slc dlc
	s_waitcnt vmcnt(3) lgkmcnt(15)
	flat_store_b8 v[68:69], v149 offset:384 glc slc dlc
	s_waitcnt vmcnt(2) lgkmcnt(15)
	flat_store_b8 v[68:69], v150 offset:416 glc slc dlc
	s_waitcnt vmcnt(1) lgkmcnt(15)
	flat_store_b8 v[68:69], v151 offset:448 glc slc dlc
	s_waitcnt vmcnt(0) lgkmcnt(15)
	flat_store_b8 v[68:69], v160 offset:480 glc slc dlc
	s_or_b32 s15, vcc_lo, s15
	s_delay_alu instid0(SALU_CYCLE_1)
	s_and_not1_b32 exec_lo, exec_lo, s15
	s_cbranch_execnz .LBB4_10501
; %bb.10502:                            ;   in Loop: Header=BB4_10357 Depth=3
	s_or_b32 exec_lo, exec_lo, s15
.LBB4_10503:                            ;   in Loop: Header=BB4_10357 Depth=3
	s_delay_alu instid0(SALU_CYCLE_1) | instskip(SKIP_2) | instid1(VALU_DEP_1)
	s_or_b32 exec_lo, exec_lo, s13
	v_lshlrev_b32_e32 v8, 9, v65
	s_mov_b32 s15, exec_lo
	v_cmpx_ne_u32_e64 v13, v8
	s_cbranch_execz .LBB4_10508
; %bb.10504:                            ;   in Loop: Header=BB4_10357 Depth=3
	v_ashrrev_i32_e32 v9, 31, v14
	v_lshlrev_b32_e32 v10, 5, v64
	s_delay_alu instid0(VALU_DEP_2) | instskip(NEXT) | instid1(VALU_DEP_1)
	v_lshrrev_b32_e32 v9, 27, v9
	v_add_nc_u32_e32 v9, v14, v9
	s_delay_alu instid0(VALU_DEP_1) | instskip(NEXT) | instid1(VALU_DEP_1)
	v_and_b32_e32 v9, 0xffffffe0, v9
	v_sub_nc_u32_e32 v9, v14, v9
	s_delay_alu instid0(VALU_DEP_1) | instskip(NEXT) | instid1(VALU_DEP_1)
	v_sub_nc_u32_e32 v9, v9, v10
	v_add_nc_u32_e32 v11, v8, v9
	s_delay_alu instid0(VALU_DEP_1) | instskip(NEXT) | instid1(VALU_DEP_1)
	v_sub_nc_u32_e32 v10, v13, v11
	v_cmp_lt_i32_e32 vcc_lo, 0, v10
	s_and_b32 exec_lo, exec_lo, vcc_lo
	s_cbranch_execz .LBB4_10508
; %bb.10505:                            ;   in Loop: Header=BB4_10357 Depth=3
	s_cbranch_execnz .LBB4_11413
; %bb.10506:                            ;   in Loop: Header=BB4_10357 Depth=3
	ds_load_b64 v[8:9], v0
	v_add_nc_u32_e32 v2, v11, v2
	s_mov_b32 s16, 0
	s_delay_alu instid0(VALU_DEP_1)
	v_ashrrev_i32_e32 v11, 31, v2
.LBB4_10507:                            ;   Parent Loop BB4_51 Depth=1
                                        ;     Parent Loop BB4_10355 Depth=2
                                        ;       Parent Loop BB4_10357 Depth=3
                                        ; =>      This Inner Loop Header: Depth=4
	s_waitcnt lgkmcnt(0)
	v_add_co_u32 v13, vcc_lo, v8, v2
	s_delay_alu instid0(VALU_DEP_2)
	v_add_co_ci_u32_e32 v14, vcc_lo, v9, v11, vcc_lo
	v_sub_nc_u32_e32 v10, v10, v82
	v_add_co_u32 v2, s13, v2, v112
	flat_load_u8 v64, v[13:14] slc dlc
	v_add_co_ci_u32_e64 v11, s13, v11, v113, s13
	v_cmp_gt_i32_e32 vcc_lo, 1, v10
	s_or_b32 s16, vcc_lo, s16
	s_waitcnt vmcnt(0) lgkmcnt(0)
	flat_store_b8 v[13:14], v64 glc slc dlc
	s_and_not1_b32 exec_lo, exec_lo, s16
	s_cbranch_execnz .LBB4_10507
.LBB4_10508:                            ;   in Loop: Header=BB4_10357 Depth=3
	s_or_b32 exec_lo, exec_lo, s15
.LBB4_10509:                            ;   in Loop: Header=BB4_10357 Depth=3
	s_delay_alu instid0(SALU_CYCLE_1)
	s_or_b32 exec_lo, exec_lo, s14
.LBB4_10510:                            ;   in Loop: Header=BB4_10357 Depth=3
	s_and_saveexec_b32 s13, s3
	s_cbranch_execz .LBB4_10532
; %bb.10511:                            ;   in Loop: Header=BB4_10357 Depth=3
	s_and_saveexec_b32 s14, s4
	s_delay_alu instid0(SALU_CYCLE_1)
	s_xor_b32 s14, exec_lo, s14
	s_cbranch_execz .LBB4_10529
; %bb.10512:                            ;   in Loop: Header=BB4_10357 Depth=3
	s_and_saveexec_b32 s15, s1
	s_cbranch_execz .LBB4_10528
; %bb.10513:                            ;   in Loop: Header=BB4_10357 Depth=3
	s_mov_b32 s17, exec_lo
	s_mov_b32 s16, exec_lo
	v_mbcnt_lo_u32_b32 v2, s17, 0
	s_waitcnt lgkmcnt(0)
	s_waitcnt_vscnt null, 0x0
	buffer_gl1_inv
	buffer_gl0_inv
	v_cmpx_eq_u32_e32 0, v2
	s_cbranch_execz .LBB4_10515
; %bb.10514:                            ;   in Loop: Header=BB4_10357 Depth=3
	s_bcnt1_i32_b32 s17, s17
	s_delay_alu instid0(SALU_CYCLE_1)
	v_mov_b32_e32 v2, s17
	ds_add_u64 v0, v[2:3]
	s_cbranch_execnz .LBB4_11355
.LBB4_10515:                            ;   in Loop: Header=BB4_10357 Depth=3
	s_or_b32 exec_lo, exec_lo, s16
	s_cbranch_execnz .LBB4_11333
; %bb.10516:                            ;   in Loop: Header=BB4_10357 Depth=3
	ds_load_b64 v[8:9], v0
	v_add_co_u32 v32, vcc_lo, v32, v81
	v_add_co_ci_u32_e32 v33, vcc_lo, 0, v33, vcc_lo
	s_mov_b32 s16, exec_lo
	s_waitcnt lgkmcnt(0)
	s_delay_alu instid0(VALU_DEP_1)
	v_cmpx_lt_u64_e64 v[8:9], v[32:33]
	s_cbranch_execz .LBB4_10527
; %bb.10517:                            ;   in Loop: Header=BB4_10357 Depth=3
	s_mov_b32 s17, 0
	s_mov_b32 s42, 0
                                        ; implicit-def: $sgpr40
                                        ; implicit-def: $sgpr41
	s_branch .LBB4_10519
.LBB4_10518:                            ;   in Loop: Header=BB4_10519 Depth=4
	s_or_b32 exec_lo, exec_lo, s44
	s_delay_alu instid0(SALU_CYCLE_1) | instskip(NEXT) | instid1(SALU_CYCLE_1)
	s_and_b32 vcc_lo, exec_lo, vcc_lo
	s_or_b32 s17, vcc_lo, s17
	s_and_not1_b32 vcc_lo, s40, exec_lo
	s_and_b32 s40, s41, exec_lo
	s_delay_alu instid0(SALU_CYCLE_1)
	s_or_b32 s40, vcc_lo, s40
	s_and_not1_b32 exec_lo, exec_lo, s17
	s_cbranch_execz .LBB4_10525
.LBB4_10519:                            ;   Parent Loop BB4_51 Depth=1
                                        ;     Parent Loop BB4_10355 Depth=2
                                        ;       Parent Loop BB4_10357 Depth=3
                                        ; =>      This Inner Loop Header: Depth=4
	s_add_i32 s42, s42, 1
                                        ; implicit-def: $sgpr44
	s_delay_alu instid0(SALU_CYCLE_1) | instskip(SKIP_1) | instid1(SALU_CYCLE_1)
	s_cmpk_lg_i32 s42, 0x2710
	s_cselect_b32 s43, -1, 0
	s_and_b32 vcc_lo, exec_lo, s43
	s_cbranch_vccz .LBB4_10523
.LBB4_10520:                            ;   in Loop: Header=BB4_10519 Depth=4
	s_and_not1_b32 s41, s41, exec_lo
	s_and_b32 s44, s44, exec_lo
	s_mov_b32 vcc_lo, -1
	s_or_b32 s41, s41, s44
	s_and_saveexec_b32 s44, s43
	s_cbranch_execz .LBB4_10518
; %bb.10521:                            ;   in Loop: Header=BB4_10519 Depth=4
	s_sleep 1
	s_cbranch_execnz .LBB4_11393
; %bb.10522:                            ;   in Loop: Header=BB4_10519 Depth=4
	ds_load_b64 v[8:9], v0
	s_and_not1_b32 s41, s41, exec_lo
	s_waitcnt lgkmcnt(0)
	v_cmp_ge_u64_e32 vcc_lo, v[8:9], v[32:33]
	s_or_not1_b32 vcc_lo, vcc_lo, exec_lo
	s_branch .LBB4_10518
.LBB4_10523:                            ;   in Loop: Header=BB4_10519 Depth=4
	s_cbranch_execnz .LBB4_11401
; %bb.10524:                            ;   in Loop: Header=BB4_10519 Depth=4
	ds_load_b64 v[8:9], v0
	s_and_not1_b32 s43, s43, exec_lo
	s_mov_b32 s42, 0
	s_mov_b32 s44, -1
	s_waitcnt lgkmcnt(0)
	flat_load_b32 v2, v[8:9] glc
	s_waitcnt vmcnt(0) lgkmcnt(0)
	buffer_gl1_inv
	buffer_gl0_inv
	v_cmp_eq_u32_e32 vcc_lo, 0, v2
	s_and_b32 vcc_lo, vcc_lo, exec_lo
	s_delay_alu instid0(SALU_CYCLE_1)
	s_or_b32 s43, s43, vcc_lo
	s_branch .LBB4_10520
.LBB4_10525:                            ;   in Loop: Header=BB4_10357 Depth=3
	s_or_b32 exec_lo, exec_lo, s17
	s_and_saveexec_b32 s17, s40
	s_delay_alu instid0(SALU_CYCLE_1)
	s_xor_b32 s17, exec_lo, s17
	s_cbranch_execz .LBB4_10527
; %bb.10526:                            ;   in Loop: Header=BB4_10357 Depth=3
	ds_store_b32 v0, v118
	s_cbranch_execnz .LBB4_11447
.LBB4_10527:                            ;   in Loop: Header=BB4_10357 Depth=3
	s_or_b32 exec_lo, exec_lo, s16
	;;#ASMSTART
	s_wakeup
	;;#ASMEND
.LBB4_10528:                            ;   in Loop: Header=BB4_10357 Depth=3
	s_or_b32 exec_lo, exec_lo, s15
.LBB4_10529:                            ;   in Loop: Header=BB4_10357 Depth=3
	s_and_not1_saveexec_b32 s14, s14
	s_cbranch_execz .LBB4_10531
; %bb.10530:                            ;   in Loop: Header=BB4_10357 Depth=3
	s_waitcnt lgkmcnt(0)
	s_waitcnt_vscnt null, 0x0
	buffer_gl1_inv
	buffer_gl0_inv
	s_barrier
.LBB4_10531:                            ;   in Loop: Header=BB4_10357 Depth=3
	s_or_b32 exec_lo, exec_lo, s14
.LBB4_10532:                            ;   in Loop: Header=BB4_10357 Depth=3
	s_delay_alu instid0(SALU_CYCLE_1) | instskip(SKIP_1) | instid1(SALU_CYCLE_1)
	s_or_b32 exec_lo, exec_lo, s13
                                        ; implicit-def: $vgpr2
	s_and_saveexec_b32 s13, s7
	s_xor_b32 s14, exec_lo, s13
	s_cbranch_execz .LBB4_10536
; %bb.10533:                            ;   in Loop: Header=BB4_10357 Depth=3
	v_and_b32_e32 v2, 16, v30
	v_cmp_lt_i32_e32 vcc_lo, 0, v55
	s_delay_alu instid0(VALU_DEP_2) | instskip(SKIP_1) | instid1(VALU_DEP_2)
	v_cmp_ne_u32_e64 s13, 0, v2
	v_and_b32_e32 v2, 16, v30
	s_and_b32 s15, s13, vcc_lo
	s_delay_alu instid0(SALU_CYCLE_1)
	s_and_saveexec_b32 s13, s15
	s_cbranch_execz .LBB4_10535
; %bb.10534:                            ;   in Loop: Header=BB4_10357 Depth=3
	v_mov_b32_e32 v2, 1
	s_waitcnt lgkmcnt(0)
	s_waitcnt_vscnt null, 0x0
	buffer_gl1_inv
	buffer_gl0_inv
.LBB4_10535:                            ;   in Loop: Header=BB4_10357 Depth=3
	s_or_b32 exec_lo, exec_lo, s13
.LBB4_10536:                            ;   in Loop: Header=BB4_10357 Depth=3
	s_and_not1_saveexec_b32 s13, s14
	s_cbranch_execz .LBB4_10558
; %bb.10537:                            ;   in Loop: Header=BB4_10357 Depth=3
	s_and_saveexec_b32 s14, s4
	s_delay_alu instid0(SALU_CYCLE_1)
	s_xor_b32 s14, exec_lo, s14
	s_cbranch_execz .LBB4_10555
; %bb.10538:                            ;   in Loop: Header=BB4_10357 Depth=3
	s_and_saveexec_b32 s15, s1
	s_cbranch_execz .LBB4_10554
; %bb.10539:                            ;   in Loop: Header=BB4_10357 Depth=3
	s_mov_b32 s17, exec_lo
	s_mov_b32 s16, exec_lo
	v_mbcnt_lo_u32_b32 v2, s17, 0
	;;#ASMSTART
	s_waitcnt lgkmcnt(0) vmcnt(0)
	;;#ASMEND
	s_delay_alu instid0(VALU_DEP_1)
	v_cmpx_eq_u32_e32 0, v2
	s_cbranch_execz .LBB4_10541
; %bb.10540:                            ;   in Loop: Header=BB4_10357 Depth=3
	s_bcnt1_i32_b32 s17, s17
	s_delay_alu instid0(SALU_CYCLE_1)
	v_mov_b32_e32 v2, s17
	ds_add_u64 v0, v[2:3]
	s_cbranch_execnz .LBB4_11359
.LBB4_10541:                            ;   in Loop: Header=BB4_10357 Depth=3
	s_or_b32 exec_lo, exec_lo, s16
	s_cbranch_execnz .LBB4_11337
; %bb.10542:                            ;   in Loop: Header=BB4_10357 Depth=3
	ds_load_b64 v[8:9], v0
	v_add_co_u32 v32, vcc_lo, v32, v81
	v_add_co_ci_u32_e32 v33, vcc_lo, 0, v33, vcc_lo
	s_mov_b32 s16, exec_lo
	s_waitcnt lgkmcnt(0)
	s_delay_alu instid0(VALU_DEP_1)
	v_cmpx_lt_u64_e64 v[8:9], v[32:33]
	s_cbranch_execz .LBB4_10553
; %bb.10543:                            ;   in Loop: Header=BB4_10357 Depth=3
	s_mov_b32 s17, 0
	s_mov_b32 s42, 0
                                        ; implicit-def: $sgpr40
                                        ; implicit-def: $sgpr41
	s_branch .LBB4_10545
.LBB4_10544:                            ;   in Loop: Header=BB4_10545 Depth=4
	s_or_b32 exec_lo, exec_lo, s44
	s_delay_alu instid0(SALU_CYCLE_1) | instskip(NEXT) | instid1(SALU_CYCLE_1)
	s_and_b32 vcc_lo, exec_lo, vcc_lo
	s_or_b32 s17, vcc_lo, s17
	s_and_not1_b32 vcc_lo, s40, exec_lo
	s_and_b32 s40, s41, exec_lo
	s_delay_alu instid0(SALU_CYCLE_1)
	s_or_b32 s40, vcc_lo, s40
	s_and_not1_b32 exec_lo, exec_lo, s17
	s_cbranch_execz .LBB4_10551
.LBB4_10545:                            ;   Parent Loop BB4_51 Depth=1
                                        ;     Parent Loop BB4_10355 Depth=2
                                        ;       Parent Loop BB4_10357 Depth=3
                                        ; =>      This Inner Loop Header: Depth=4
	s_add_i32 s42, s42, 1
                                        ; implicit-def: $sgpr44
	s_delay_alu instid0(SALU_CYCLE_1) | instskip(SKIP_1) | instid1(SALU_CYCLE_1)
	s_cmpk_lg_i32 s42, 0x2710
	s_cselect_b32 s43, -1, 0
	s_and_b32 vcc_lo, exec_lo, s43
	s_cbranch_vccnz .LBB4_10548
; %bb.10546:                            ;   in Loop: Header=BB4_10545 Depth=4
	s_cbranch_execnz .LBB4_11405
; %bb.10547:                            ;   in Loop: Header=BB4_10545 Depth=4
	ds_load_b64 v[8:9], v0
	s_and_not1_b32 s43, s43, exec_lo
	s_mov_b32 s42, 0
	s_mov_b32 s44, -1
	s_waitcnt lgkmcnt(0)
	s_waitcnt_vscnt null, 0x0
	flat_load_b32 v2, v[8:9] glc
	s_waitcnt vmcnt(0) lgkmcnt(0)
	buffer_gl1_inv
	buffer_gl0_inv
	v_cmp_eq_u32_e32 vcc_lo, 0, v2
	s_and_b32 vcc_lo, vcc_lo, exec_lo
	s_delay_alu instid0(SALU_CYCLE_1)
	s_or_b32 s43, s43, vcc_lo
.LBB4_10548:                            ;   in Loop: Header=BB4_10545 Depth=4
	s_and_not1_b32 s41, s41, exec_lo
	s_and_b32 s44, s44, exec_lo
	s_mov_b32 vcc_lo, -1
	s_or_b32 s41, s41, s44
	s_and_saveexec_b32 s44, s43
	s_cbranch_execz .LBB4_10544
; %bb.10549:                            ;   in Loop: Header=BB4_10545 Depth=4
	s_sleep 1
	s_cbranch_execnz .LBB4_11399
; %bb.10550:                            ;   in Loop: Header=BB4_10545 Depth=4
	ds_load_b64 v[8:9], v0
	s_and_not1_b32 s41, s41, exec_lo
	s_waitcnt lgkmcnt(0)
	v_cmp_ge_u64_e32 vcc_lo, v[8:9], v[32:33]
	s_or_not1_b32 vcc_lo, vcc_lo, exec_lo
	s_branch .LBB4_10544
.LBB4_10551:                            ;   in Loop: Header=BB4_10357 Depth=3
	s_or_b32 exec_lo, exec_lo, s17
	s_and_saveexec_b32 s17, s40
	s_delay_alu instid0(SALU_CYCLE_1)
	s_xor_b32 s17, exec_lo, s17
	s_cbranch_execz .LBB4_10553
; %bb.10552:                            ;   in Loop: Header=BB4_10357 Depth=3
	ds_store_b32 v0, v118
	s_cbranch_execnz .LBB4_11449
.LBB4_10553:                            ;   in Loop: Header=BB4_10357 Depth=3
	s_or_b32 exec_lo, exec_lo, s16
	;;#ASMSTART
	s_wakeup
	;;#ASMEND
.LBB4_10554:                            ;   in Loop: Header=BB4_10357 Depth=3
	s_or_b32 exec_lo, exec_lo, s15
.LBB4_10555:                            ;   in Loop: Header=BB4_10357 Depth=3
	s_and_not1_saveexec_b32 s14, s14
	s_cbranch_execz .LBB4_10557
; %bb.10556:                            ;   in Loop: Header=BB4_10357 Depth=3
	;;#ASMSTART
	s_waitcnt lgkmcnt(0) vmcnt(0)
	;;#ASMEND
	s_waitcnt lgkmcnt(0)
	s_waitcnt_vscnt null, 0x0
	s_barrier
.LBB4_10557:                            ;   in Loop: Header=BB4_10357 Depth=3
	s_or_b32 exec_lo, exec_lo, s14
	v_and_b32_e32 v2, 16, v30
.LBB4_10558:                            ;   in Loop: Header=BB4_10357 Depth=3
	s_or_b32 exec_lo, exec_lo, s13
	s_delay_alu instid0(VALU_DEP_1) | instskip(SKIP_1) | instid1(SALU_CYCLE_1)
	v_cmp_ne_u32_e32 vcc_lo, 0, v2
	s_xor_b32 s13, s10, -1
	s_and_b32 s14, vcc_lo, s13
	s_delay_alu instid0(SALU_CYCLE_1)
	s_and_saveexec_b32 s13, s14
	s_cbranch_execz .LBB4_10560
; %bb.10559:                            ;   in Loop: Header=BB4_10357 Depth=3
	s_waitcnt lgkmcnt(0)
	s_waitcnt_vscnt null, 0x0
	flat_store_b32 v[28:29], v118
.LBB4_10560:                            ;   in Loop: Header=BB4_10357 Depth=3
	s_or_b32 exec_lo, exec_lo, s13
	v_and_b32_e32 v2, 48, v30
	s_mov_b32 s13, exec_lo
	s_delay_alu instid0(VALU_DEP_1)
	v_cmpx_ne_u32_e32 0, v2
	s_cbranch_execz .LBB4_10562
; %bb.10561:                            ;   in Loop: Header=BB4_10357 Depth=3
	v_add_co_u32 v24, vcc_lo, v24, 2
	v_add_co_ci_u32_e32 v25, vcc_lo, 0, v25, vcc_lo
	s_waitcnt lgkmcnt(0)
	s_waitcnt_vscnt null, 0x0
	flat_store_b64 v[22:23], v[24:25]
.LBB4_10562:                            ;   in Loop: Header=BB4_10357 Depth=3
	s_or_b32 exec_lo, exec_lo, s13
	v_add_nc_u32_e32 v52, v12, v52
	s_xor_b32 s13, s38, -1
	v_mov_b32_e32 v2, s39
	s_mov_b32 s38, 0
	s_mov_b32 s39, 2
	v_cmp_ge_i32_e32 vcc_lo, v52, v15
	s_or_b32 s13, s13, vcc_lo
	s_delay_alu instid0(SALU_CYCLE_1) | instskip(NEXT) | instid1(SALU_CYCLE_1)
	s_and_b32 s13, exec_lo, s13
	s_or_b32 s37, s13, s37
	s_delay_alu instid0(SALU_CYCLE_1)
	s_and_not1_b32 exec_lo, exec_lo, s37
	s_cbranch_execnz .LBB4_10357
; %bb.10563:                            ;   in Loop: Header=BB4_10355 Depth=2
	s_or_b32 exec_lo, exec_lo, s37
.LBB4_10564:                            ;   in Loop: Header=BB4_10355 Depth=2
	s_delay_alu instid0(SALU_CYCLE_1) | instskip(NEXT) | instid1(SALU_CYCLE_1)
	s_or_b32 exec_lo, exec_lo, s36
	s_mov_b32 s14, exec_lo
	v_cmpx_gt_i32_e32 2, v2
	s_cbranch_execz .LBB4_10648
; %bb.10565:                            ;   in Loop: Header=BB4_10355 Depth=2
	v_cmp_eq_u32_e64 s13, 0, v2
	s_mov_b32 s15, 0
.LBB4_10566:                            ;   Parent Loop BB4_51 Depth=1
                                        ;     Parent Loop BB4_10355 Depth=2
                                        ; =>    This Loop Header: Depth=3
                                        ;         Child Loop BB4_10572 Depth 4
                                        ;         Child Loop BB4_10602 Depth 4
	;; [unrolled: 1-line block ×3, first 2 shown]
	v_and_b32_e32 v2, 12, v30
	s_mov_b32 s17, -1
	s_mov_b32 s16, exec_lo
	s_delay_alu instid0(VALU_DEP_1)
	v_cmpx_ne_u32_e32 0, v2
	s_cbranch_execz .LBB4_10580
; %bb.10567:                            ;   in Loop: Header=BB4_10566 Depth=3
	v_and_b32_e32 v2, 8, v30
	s_delay_alu instid0(VALU_DEP_1) | instskip(SKIP_3) | instid1(VALU_DEP_1)
	v_add_co_u32 v10, vcc_lo, v34, v2
	v_add_co_ci_u32_e32 v11, vcc_lo, 0, v35, vcc_lo
	v_add_co_u32 v8, vcc_lo, v24, 2
	v_add_co_ci_u32_e32 v9, vcc_lo, 0, v25, vcc_lo
	v_cmp_lt_u64_e32 vcc_lo, v[10:11], v[8:9]
	v_mov_b32_e32 v10, 1
	s_and_saveexec_b32 s17, vcc_lo
	s_cbranch_execz .LBB4_10579
; %bb.10568:                            ;   in Loop: Header=BB4_10566 Depth=3
	v_mov_b32_e32 v10, 0
	s_mov_b32 s36, 0
                                        ; implicit-def: $sgpr37
	s_branch .LBB4_10572
.LBB4_10569:                            ;   in Loop: Header=BB4_10572 Depth=4
	s_or_b32 exec_lo, exec_lo, s41
	v_mov_b32_e32 v11, 0
	s_or_not1_b32 s40, s40, exec_lo
.LBB4_10570:                            ;   in Loop: Header=BB4_10572 Depth=4
	s_or_b32 exec_lo, exec_lo, s39
	s_delay_alu instid0(VALU_DEP_1) | instskip(SKIP_2) | instid1(SALU_CYCLE_1)
	v_mov_b32_e32 v10, v11
	s_and_not1_b32 vcc_lo, s37, exec_lo
	s_and_b32 s37, s40, exec_lo
	s_or_b32 s37, vcc_lo, s37
.LBB4_10571:                            ;   in Loop: Header=BB4_10572 Depth=4
	s_or_b32 exec_lo, exec_lo, s38
	s_waitcnt vmcnt(0) lgkmcnt(0)
	v_add_co_u32 v13, vcc_lo, v34, v2
	v_add_co_ci_u32_e32 v14, vcc_lo, 0, v35, vcc_lo
	s_xor_b32 s38, s37, -1
	s_delay_alu instid0(VALU_DEP_1) | instskip(SKIP_1) | instid1(SALU_CYCLE_1)
	v_cmp_ge_u64_e32 vcc_lo, v[13:14], v[8:9]
	s_or_b32 vcc_lo, s38, vcc_lo
	s_and_b32 vcc_lo, exec_lo, vcc_lo
	s_delay_alu instid0(SALU_CYCLE_1) | instskip(NEXT) | instid1(SALU_CYCLE_1)
	s_or_b32 s36, vcc_lo, s36
	s_and_not1_b32 exec_lo, exec_lo, s36
	s_cbranch_execz .LBB4_10578
.LBB4_10572:                            ;   Parent Loop BB4_51 Depth=1
                                        ;     Parent Loop BB4_10355 Depth=2
                                        ;       Parent Loop BB4_10566 Depth=3
                                        ; =>      This Inner Loop Header: Depth=4
	s_sleep 1
	flat_load_b64 v[34:35], v[22:23] glc
	v_and_b32_e32 v11, 64, v30
	s_and_not1_b32 s37, s37, exec_lo
	s_mov_b32 s38, exec_lo
	s_delay_alu instid0(VALU_DEP_1)
	v_cmpx_eq_u32_e32 0, v11
	s_cbranch_execz .LBB4_10571
; %bb.10573:                            ;   in Loop: Header=BB4_10572 Depth=4
	v_add_nc_u32_e32 v11, 1, v10
	s_mov_b32 s40, -1
	s_mov_b32 s39, exec_lo
	v_cmpx_lt_i32_e32 0x270e, v10
	s_cbranch_execz .LBB4_10570
; %bb.10574:                            ;   in Loop: Header=BB4_10572 Depth=4
	s_cbranch_execnz .LBB4_11093
; %bb.10575:                            ;   in Loop: Header=BB4_10572 Depth=4
	ds_load_b64 v[10:11], v0
	s_mov_b32 s41, exec_lo
	s_waitcnt vmcnt(0) lgkmcnt(0)
	s_waitcnt_vscnt null, 0x0
	flat_load_b32 v10, v[10:11] glc
	s_waitcnt vmcnt(0) lgkmcnt(0)
	buffer_gl1_inv
	buffer_gl0_inv
	v_cmpx_ne_u32_e32 0, v10
	s_cbranch_execz .LBB4_10569
; %bb.10576:                            ;   in Loop: Header=BB4_10572 Depth=4
	ds_store_b32 v0, v10
	s_cbranch_execnz .LBB4_11181
; %bb.10577:                            ;   in Loop: Header=BB4_10572 Depth=4
	v_or_b32_e32 v30, 64, v30
	s_xor_b32 s40, exec_lo, -1
	s_branch .LBB4_10569
.LBB4_10578:                            ;   in Loop: Header=BB4_10566 Depth=3
	s_or_b32 exec_lo, exec_lo, s36
	v_and_b32_e32 v10, 12, v30
.LBB4_10579:                            ;   in Loop: Header=BB4_10566 Depth=3
	s_or_b32 exec_lo, exec_lo, s17
	s_delay_alu instid0(VALU_DEP_1)
	v_cmp_eq_u32_e32 vcc_lo, 0, v10
	;;#ASMSTART
	s_wakeup
	;;#ASMEND
	s_or_not1_b32 s17, vcc_lo, exec_lo
.LBB4_10580:                            ;   in Loop: Header=BB4_10566 Depth=3
	s_or_b32 exec_lo, exec_lo, s16
	v_sub_nc_u32_e32 v2, v15, v52
	s_xor_b32 s13, s13, -1
	s_delay_alu instid0(SALU_CYCLE_1) | instskip(NEXT) | instid1(SALU_CYCLE_1)
	s_and_b32 s13, exec_lo, s13
	s_or_b32 s15, s13, s15
	s_delay_alu instid0(VALU_DEP_1) | instskip(SKIP_1) | instid1(SALU_CYCLE_1)
	v_min_i32_e32 v12, v12, v2
	s_xor_b32 s13, s17, -1
	s_and_saveexec_b32 s16, s13
	s_cbranch_execz .LBB4_10593
; %bb.10581:                            ;   in Loop: Header=BB4_10566 Depth=3
	v_and_b32_e32 v2, 0x108, v30
	s_delay_alu instid0(VALU_DEP_1) | instskip(SKIP_2) | instid1(SALU_CYCLE_1)
	v_cmp_ne_u32_e32 vcc_lo, 0x108, v2
	v_and_b32_e32 v2, 7, v24
	s_and_saveexec_b32 s13, vcc_lo
	s_xor_b32 s13, exec_lo, s13
	s_delay_alu instid0(SALU_CYCLE_1)
	s_and_not1_saveexec_b32 s13, s13
	s_cbranch_execz .LBB4_10583
; %bb.10582:                            ;   in Loop: Header=BB4_10566 Depth=3
	v_mad_u64_u32 v[8:9], null, v2, 24, v[6:7]
	v_ashrrev_i32_e32 v13, 31, v12
	flat_store_b64 v[8:9], v[12:13] offset:8
.LBB4_10583:                            ;   in Loop: Header=BB4_10566 Depth=3
	s_or_b32 exec_lo, exec_lo, s13
	v_and_b32_e32 v8, 0x100, v30
	s_mov_b32 s13, -1
	s_delay_alu instid0(VALU_DEP_1)
	v_cmp_ne_u32_e32 vcc_lo, 0, v8
                                        ; implicit-def: $vgpr8_vgpr9
	s_and_saveexec_b32 s17, vcc_lo
	s_cbranch_execnz .LBB4_10586
; %bb.10584:                            ;   in Loop: Header=BB4_10566 Depth=3
	s_or_b32 exec_lo, exec_lo, s17
	s_and_saveexec_b32 s17, s13
	s_cbranch_execnz .LBB4_10589
.LBB4_10585:                            ;   in Loop: Header=BB4_10566 Depth=3
	s_or_b32 exec_lo, exec_lo, s17
	s_cbranch_execnz .LBB4_11081
	s_branch .LBB4_10590
.LBB4_10586:                            ;   in Loop: Header=BB4_10566 Depth=3
	v_mad_u64_u32 v[10:11], null, v2, 24, v[6:7]
	s_delay_alu instid0(VALU_DEP_1) | instskip(NEXT) | instid1(VALU_DEP_1)
	v_mov_b32_e32 v8, v11
	v_mad_u64_u32 v[13:14], null, v3, 24, v[8:9]
	s_delay_alu instid0(VALU_DEP_1) | instskip(SKIP_4) | instid1(VALU_DEP_1)
	v_mov_b32_e32 v11, v13
	flat_load_b32 v8, v[10:11]
	s_waitcnt vmcnt(0) lgkmcnt(0)
	v_cmp_ne_u32_e32 vcc_lo, 1, v8
	v_cmp_eq_u32_e64 s13, 1, v8
                                        ; implicit-def: $vgpr8_vgpr9
	s_and_saveexec_b32 s36, s13
	s_cbranch_execz .LBB4_10588
; %bb.10587:                            ;   in Loop: Header=BB4_10566 Depth=3
	flat_load_b32 v8, v[10:11] offset:4 glc
	s_waitcnt vmcnt(0) lgkmcnt(0)
	v_ashrrev_i32_e32 v9, 31, v8
.LBB4_10588:                            ;   in Loop: Header=BB4_10566 Depth=3
	s_or_b32 exec_lo, exec_lo, s36
	s_delay_alu instid0(SALU_CYCLE_1)
	s_or_not1_b32 s13, vcc_lo, exec_lo
	s_or_b32 exec_lo, exec_lo, s17
	s_and_saveexec_b32 s17, s13
	s_cbranch_execz .LBB4_10585
.LBB4_10589:                            ;   in Loop: Header=BB4_10566 Depth=3
	v_mul_lo_u32 v10, v3, v70
	v_mul_lo_u32 v11, v2, v80
	v_mad_u64_u32 v[8:9], null, v2, v70, 0
	s_delay_alu instid0(VALU_DEP_1)
	v_add3_u32 v9, v9, v11, v10
	s_or_b32 exec_lo, exec_lo, s17
	s_cbranch_execnz .LBB4_11081
.LBB4_10590:                            ;   in Loop: Header=BB4_10566 Depth=3
	s_delay_alu instid0(VALU_DEP_2)
	v_add_co_u32 v8, vcc_lo, v26, v8
	v_and_b32_e32 v2, 0x2000, v30
	v_add_co_ci_u32_e32 v9, vcc_lo, v27, v9, vcc_lo
	s_mov_b32 s13, exec_lo
	ds_store_b64 v0, v[8:9]
	v_cmpx_ne_u32_e32 0, v2
	s_cbranch_execz .LBB4_10592
; %bb.10591:                            ;   in Loop: Header=BB4_10566 Depth=3
	ds_load_b64 v[8:9], v0 offset:584
	s_waitcnt lgkmcnt(0)
	v_add_co_u32 v8, vcc_lo, v8, 1
	v_add_co_ci_u32_e32 v9, vcc_lo, 0, v9, vcc_lo
	ds_store_b64 v0, v[8:9] offset:584
.LBB4_10592:                            ;   in Loop: Header=BB4_10566 Depth=3
	s_or_b32 exec_lo, exec_lo, s13
	v_add_co_u32 v24, vcc_lo, v24, 2
	v_add_co_ci_u32_e32 v25, vcc_lo, 0, v25, vcc_lo
.LBB4_10593:                            ;   in Loop: Header=BB4_10566 Depth=3
	s_or_b32 exec_lo, exec_lo, s16
	s_and_saveexec_b32 s13, s3
	s_cbranch_execz .LBB4_10615
; %bb.10594:                            ;   in Loop: Header=BB4_10566 Depth=3
	s_and_saveexec_b32 s16, s4
	s_delay_alu instid0(SALU_CYCLE_1)
	s_xor_b32 s16, exec_lo, s16
	s_cbranch_execz .LBB4_10612
; %bb.10595:                            ;   in Loop: Header=BB4_10566 Depth=3
	s_and_saveexec_b32 s17, s1
	s_cbranch_execz .LBB4_10611
; %bb.10596:                            ;   in Loop: Header=BB4_10566 Depth=3
	s_mov_b32 s37, exec_lo
	s_mov_b32 s36, exec_lo
	v_mbcnt_lo_u32_b32 v2, s37, 0
	s_waitcnt lgkmcnt(0)
	s_waitcnt_vscnt null, 0x0
	buffer_gl1_inv
	buffer_gl0_inv
	v_cmpx_eq_u32_e32 0, v2
	s_cbranch_execz .LBB4_10598
; %bb.10597:                            ;   in Loop: Header=BB4_10566 Depth=3
	s_bcnt1_i32_b32 vcc_lo, s37
	s_delay_alu instid0(SALU_CYCLE_1)
	v_mov_b32_e32 v2, vcc_lo
	ds_add_u64 v0, v[2:3]
	s_cbranch_execnz .LBB4_11235
.LBB4_10598:                            ;   in Loop: Header=BB4_10566 Depth=3
	s_or_b32 exec_lo, exec_lo, s36
	s_cbranch_execnz .LBB4_11207
; %bb.10599:                            ;   in Loop: Header=BB4_10566 Depth=3
	ds_load_b64 v[8:9], v0
	v_add_co_u32 v32, vcc_lo, v32, v81
	v_add_co_ci_u32_e32 v33, vcc_lo, 0, v33, vcc_lo
	s_mov_b32 s36, exec_lo
	s_waitcnt lgkmcnt(0)
	s_delay_alu instid0(VALU_DEP_1)
	v_cmpx_lt_u64_e64 v[8:9], v[32:33]
	s_cbranch_execz .LBB4_10610
; %bb.10600:                            ;   in Loop: Header=BB4_10566 Depth=3
	s_mov_b32 s37, 0
	s_mov_b32 s40, 0
                                        ; implicit-def: $sgpr38
                                        ; implicit-def: $sgpr39
	s_branch .LBB4_10602
.LBB4_10601:                            ;   in Loop: Header=BB4_10602 Depth=4
	s_or_b32 exec_lo, exec_lo, s42
	s_delay_alu instid0(SALU_CYCLE_1) | instskip(NEXT) | instid1(SALU_CYCLE_1)
	s_and_b32 vcc_lo, exec_lo, vcc_lo
	s_or_b32 s37, vcc_lo, s37
	s_and_not1_b32 vcc_lo, s38, exec_lo
	s_and_b32 s38, s39, exec_lo
	s_delay_alu instid0(SALU_CYCLE_1)
	s_or_b32 s38, vcc_lo, s38
	s_and_not1_b32 exec_lo, exec_lo, s37
	s_cbranch_execz .LBB4_10608
.LBB4_10602:                            ;   Parent Loop BB4_51 Depth=1
                                        ;     Parent Loop BB4_10355 Depth=2
                                        ;       Parent Loop BB4_10566 Depth=3
                                        ; =>      This Inner Loop Header: Depth=4
	s_add_i32 s40, s40, 1
                                        ; implicit-def: $sgpr42
	s_delay_alu instid0(SALU_CYCLE_1) | instskip(SKIP_1) | instid1(SALU_CYCLE_1)
	s_cmpk_lg_i32 s40, 0x2710
	s_cselect_b32 s41, -1, 0
	s_and_b32 vcc_lo, exec_lo, s41
	s_cbranch_vccz .LBB4_10606
.LBB4_10603:                            ;   in Loop: Header=BB4_10602 Depth=4
	s_and_not1_b32 s39, s39, exec_lo
	s_and_b32 s42, s42, exec_lo
	s_mov_b32 vcc_lo, -1
	s_or_b32 s39, s39, s42
	s_and_saveexec_b32 s42, s41
	s_cbranch_execz .LBB4_10601
; %bb.10604:                            ;   in Loop: Header=BB4_10602 Depth=4
	s_sleep 1
	s_cbranch_execnz .LBB4_11289
; %bb.10605:                            ;   in Loop: Header=BB4_10602 Depth=4
	ds_load_b64 v[8:9], v0
	s_and_not1_b32 s39, s39, exec_lo
	s_waitcnt lgkmcnt(0)
	v_cmp_ge_u64_e32 vcc_lo, v[8:9], v[32:33]
	s_or_not1_b32 vcc_lo, vcc_lo, exec_lo
	s_branch .LBB4_10601
.LBB4_10606:                            ;   in Loop: Header=BB4_10602 Depth=4
	s_cbranch_execnz .LBB4_11309
; %bb.10607:                            ;   in Loop: Header=BB4_10602 Depth=4
	ds_load_b64 v[8:9], v0
	s_and_not1_b32 s41, s41, exec_lo
	s_mov_b32 s40, 0
	s_mov_b32 s42, -1
	s_waitcnt lgkmcnt(0)
	flat_load_b32 v2, v[8:9] glc
	s_waitcnt vmcnt(0) lgkmcnt(0)
	buffer_gl1_inv
	buffer_gl0_inv
	v_cmp_eq_u32_e32 vcc_lo, 0, v2
	s_and_b32 vcc_lo, vcc_lo, exec_lo
	s_delay_alu instid0(SALU_CYCLE_1)
	s_or_b32 s41, s41, vcc_lo
	s_branch .LBB4_10603
.LBB4_10608:                            ;   in Loop: Header=BB4_10566 Depth=3
	s_or_b32 exec_lo, exec_lo, s37
	s_and_saveexec_b32 vcc_lo, s38
	s_delay_alu instid0(SALU_CYCLE_1)
	s_xor_b32 vcc_lo, exec_lo, vcc_lo
	s_cbranch_execz .LBB4_10610
; %bb.10609:                            ;   in Loop: Header=BB4_10566 Depth=3
	ds_store_b32 v0, v118
	s_cbranch_execnz .LBB4_11429
.LBB4_10610:                            ;   in Loop: Header=BB4_10566 Depth=3
	s_or_b32 exec_lo, exec_lo, s36
	;;#ASMSTART
	s_wakeup
	;;#ASMEND
.LBB4_10611:                            ;   in Loop: Header=BB4_10566 Depth=3
	s_or_b32 exec_lo, exec_lo, s17
.LBB4_10612:                            ;   in Loop: Header=BB4_10566 Depth=3
	s_and_not1_saveexec_b32 s16, s16
	s_cbranch_execz .LBB4_10614
; %bb.10613:                            ;   in Loop: Header=BB4_10566 Depth=3
	s_waitcnt lgkmcnt(0)
	s_waitcnt_vscnt null, 0x0
	buffer_gl1_inv
	buffer_gl0_inv
	s_barrier
.LBB4_10614:                            ;   in Loop: Header=BB4_10566 Depth=3
	s_or_b32 exec_lo, exec_lo, s16
.LBB4_10615:                            ;   in Loop: Header=BB4_10566 Depth=3
	s_delay_alu instid0(SALU_CYCLE_1) | instskip(SKIP_1) | instid1(SALU_CYCLE_1)
	s_or_b32 exec_lo, exec_lo, s13
                                        ; implicit-def: $vgpr2
	s_and_saveexec_b32 s13, s7
	s_xor_b32 s16, exec_lo, s13
	s_cbranch_execz .LBB4_10620
; %bb.10616:                            ;   in Loop: Header=BB4_10566 Depth=3
	s_cbranch_execnz .LBB4_11113
; %bb.10617:                            ;   in Loop: Header=BB4_10566 Depth=3
	ds_load_b32 v2, v0
	v_cmp_lt_i32_e32 vcc_lo, 0, v12
	s_waitcnt lgkmcnt(0)
	v_readfirstlane_b32 s13, v2
	v_and_b32_e32 v2, 16, v30
	s_delay_alu instid0(VALU_DEP_2) | instskip(NEXT) | instid1(VALU_DEP_1)
	s_cmp_eq_u32 s13, 0
	v_cmp_ne_u32_e64 s13, 0, v2
	s_cselect_b32 s17, -1, 0
	v_and_b32_e32 v2, 16, v30
	s_and_b32 s17, vcc_lo, s17
	s_delay_alu instid0(VALU_DEP_2) | instid1(SALU_CYCLE_1)
	s_and_b32 s17, s13, s17
	s_delay_alu instid0(SALU_CYCLE_1)
	s_and_saveexec_b32 s13, s17
	s_cbranch_execz .LBB4_10619
; %bb.10618:                            ;   in Loop: Header=BB4_10566 Depth=3
	v_mov_b32_e32 v2, 1
	s_waitcnt_vscnt null, 0x0
	buffer_gl1_inv
	buffer_gl0_inv
.LBB4_10619:                            ;   in Loop: Header=BB4_10566 Depth=3
	s_or_b32 exec_lo, exec_lo, s13
.LBB4_10620:                            ;   in Loop: Header=BB4_10566 Depth=3
	s_and_not1_saveexec_b32 s13, s16
	s_cbranch_execz .LBB4_10642
; %bb.10621:                            ;   in Loop: Header=BB4_10566 Depth=3
	s_and_saveexec_b32 s16, s4
	s_delay_alu instid0(SALU_CYCLE_1)
	s_xor_b32 s16, exec_lo, s16
	s_cbranch_execz .LBB4_10639
; %bb.10622:                            ;   in Loop: Header=BB4_10566 Depth=3
	s_and_saveexec_b32 s17, s1
	s_cbranch_execz .LBB4_10638
; %bb.10623:                            ;   in Loop: Header=BB4_10566 Depth=3
	s_mov_b32 s37, exec_lo
	s_mov_b32 s36, exec_lo
	v_mbcnt_lo_u32_b32 v2, s37, 0
	;;#ASMSTART
	s_waitcnt lgkmcnt(0) vmcnt(0)
	;;#ASMEND
	s_delay_alu instid0(VALU_DEP_1)
	v_cmpx_eq_u32_e32 0, v2
	s_cbranch_execz .LBB4_10625
; %bb.10624:                            ;   in Loop: Header=BB4_10566 Depth=3
	s_bcnt1_i32_b32 vcc_lo, s37
	s_delay_alu instid0(SALU_CYCLE_1)
	v_mov_b32_e32 v2, vcc_lo
	ds_add_u64 v0, v[2:3]
	s_cbranch_execnz .LBB4_11259
.LBB4_10625:                            ;   in Loop: Header=BB4_10566 Depth=3
	s_or_b32 exec_lo, exec_lo, s36
	s_cbranch_execnz .LBB4_11233
; %bb.10626:                            ;   in Loop: Header=BB4_10566 Depth=3
	ds_load_b64 v[8:9], v0
	v_add_co_u32 v32, vcc_lo, v32, v81
	v_add_co_ci_u32_e32 v33, vcc_lo, 0, v33, vcc_lo
	s_mov_b32 s36, exec_lo
	s_waitcnt lgkmcnt(0)
	s_delay_alu instid0(VALU_DEP_1)
	v_cmpx_lt_u64_e64 v[8:9], v[32:33]
	s_cbranch_execz .LBB4_10637
; %bb.10627:                            ;   in Loop: Header=BB4_10566 Depth=3
	s_mov_b32 s37, 0
	s_mov_b32 s40, 0
                                        ; implicit-def: $sgpr38
                                        ; implicit-def: $sgpr39
	s_branch .LBB4_10629
.LBB4_10628:                            ;   in Loop: Header=BB4_10629 Depth=4
	s_or_b32 exec_lo, exec_lo, s42
	s_delay_alu instid0(SALU_CYCLE_1) | instskip(NEXT) | instid1(SALU_CYCLE_1)
	s_and_b32 vcc_lo, exec_lo, vcc_lo
	s_or_b32 s37, vcc_lo, s37
	s_and_not1_b32 vcc_lo, s38, exec_lo
	s_and_b32 s38, s39, exec_lo
	s_delay_alu instid0(SALU_CYCLE_1)
	s_or_b32 s38, vcc_lo, s38
	s_and_not1_b32 exec_lo, exec_lo, s37
	s_cbranch_execz .LBB4_10635
.LBB4_10629:                            ;   Parent Loop BB4_51 Depth=1
                                        ;     Parent Loop BB4_10355 Depth=2
                                        ;       Parent Loop BB4_10566 Depth=3
                                        ; =>      This Inner Loop Header: Depth=4
	s_add_i32 s40, s40, 1
                                        ; implicit-def: $sgpr42
	s_delay_alu instid0(SALU_CYCLE_1) | instskip(SKIP_1) | instid1(SALU_CYCLE_1)
	s_cmpk_lg_i32 s40, 0x2710
	s_cselect_b32 s41, -1, 0
	s_and_b32 vcc_lo, exec_lo, s41
	s_cbranch_vccz .LBB4_10633
.LBB4_10630:                            ;   in Loop: Header=BB4_10629 Depth=4
	s_and_not1_b32 s39, s39, exec_lo
	s_and_b32 s42, s42, exec_lo
	s_mov_b32 vcc_lo, -1
	s_or_b32 s39, s39, s42
	s_and_saveexec_b32 s42, s41
	s_cbranch_execz .LBB4_10628
; %bb.10631:                            ;   in Loop: Header=BB4_10629 Depth=4
	s_sleep 1
	s_cbranch_execnz .LBB4_11319
; %bb.10632:                            ;   in Loop: Header=BB4_10629 Depth=4
	ds_load_b64 v[8:9], v0
	s_and_not1_b32 s39, s39, exec_lo
	s_waitcnt lgkmcnt(0)
	v_cmp_ge_u64_e32 vcc_lo, v[8:9], v[32:33]
	s_or_not1_b32 vcc_lo, vcc_lo, exec_lo
	s_branch .LBB4_10628
.LBB4_10633:                            ;   in Loop: Header=BB4_10629 Depth=4
	s_cbranch_execnz .LBB4_11331
; %bb.10634:                            ;   in Loop: Header=BB4_10629 Depth=4
	ds_load_b64 v[8:9], v0
	s_and_not1_b32 s41, s41, exec_lo
	s_mov_b32 s40, 0
	s_mov_b32 s42, -1
	s_waitcnt lgkmcnt(0)
	s_waitcnt_vscnt null, 0x0
	flat_load_b32 v2, v[8:9] glc
	s_waitcnt vmcnt(0) lgkmcnt(0)
	buffer_gl1_inv
	buffer_gl0_inv
	v_cmp_eq_u32_e32 vcc_lo, 0, v2
	s_and_b32 vcc_lo, vcc_lo, exec_lo
	s_delay_alu instid0(SALU_CYCLE_1)
	s_or_b32 s41, s41, vcc_lo
	s_branch .LBB4_10630
.LBB4_10635:                            ;   in Loop: Header=BB4_10566 Depth=3
	s_or_b32 exec_lo, exec_lo, s37
	s_and_saveexec_b32 vcc_lo, s38
	s_delay_alu instid0(SALU_CYCLE_1)
	s_xor_b32 vcc_lo, exec_lo, vcc_lo
	s_cbranch_execz .LBB4_10637
; %bb.10636:                            ;   in Loop: Header=BB4_10566 Depth=3
	ds_store_b32 v0, v118
	s_cbranch_execnz .LBB4_11437
.LBB4_10637:                            ;   in Loop: Header=BB4_10566 Depth=3
	s_or_b32 exec_lo, exec_lo, s36
	;;#ASMSTART
	s_wakeup
	;;#ASMEND
.LBB4_10638:                            ;   in Loop: Header=BB4_10566 Depth=3
	s_or_b32 exec_lo, exec_lo, s17
.LBB4_10639:                            ;   in Loop: Header=BB4_10566 Depth=3
	s_and_not1_saveexec_b32 s16, s16
	s_cbranch_execz .LBB4_10641
; %bb.10640:                            ;   in Loop: Header=BB4_10566 Depth=3
	;;#ASMSTART
	s_waitcnt lgkmcnt(0) vmcnt(0)
	;;#ASMEND
	s_waitcnt lgkmcnt(0)
	s_waitcnt_vscnt null, 0x0
	s_barrier
.LBB4_10641:                            ;   in Loop: Header=BB4_10566 Depth=3
	s_or_b32 exec_lo, exec_lo, s16
	v_and_b32_e32 v2, 16, v30
.LBB4_10642:                            ;   in Loop: Header=BB4_10566 Depth=3
	s_or_b32 exec_lo, exec_lo, s13
	s_delay_alu instid0(VALU_DEP_1) | instskip(SKIP_1) | instid1(SALU_CYCLE_1)
	v_cmp_ne_u32_e32 vcc_lo, 0, v2
	s_xor_b32 s13, s10, -1
	s_and_b32 s16, vcc_lo, s13
	s_delay_alu instid0(SALU_CYCLE_1)
	s_and_saveexec_b32 s13, s16
	s_cbranch_execz .LBB4_10644
; %bb.10643:                            ;   in Loop: Header=BB4_10566 Depth=3
	s_waitcnt lgkmcnt(0)
	s_waitcnt_vscnt null, 0x0
	flat_store_b32 v[28:29], v118
.LBB4_10644:                            ;   in Loop: Header=BB4_10566 Depth=3
	s_or_b32 exec_lo, exec_lo, s13
	v_and_b32_e32 v2, 48, v30
	s_mov_b32 s13, exec_lo
	s_delay_alu instid0(VALU_DEP_1)
	v_cmpx_ne_u32_e32 0, v2
	s_cbranch_execz .LBB4_10646
; %bb.10645:                            ;   in Loop: Header=BB4_10566 Depth=3
	v_add_co_u32 v24, vcc_lo, v24, 2
	v_add_co_ci_u32_e32 v25, vcc_lo, 0, v25, vcc_lo
	s_waitcnt lgkmcnt(0)
	s_waitcnt_vscnt null, 0x0
	flat_store_b64 v[22:23], v[24:25]
.LBB4_10646:                            ;   in Loop: Header=BB4_10566 Depth=3
	s_or_b32 exec_lo, exec_lo, s13
	v_add_nc_u32_e32 v52, v12, v52
	s_mov_b32 s13, 0
	s_and_not1_b32 exec_lo, exec_lo, s15
	s_cbranch_execnz .LBB4_10566
; %bb.10647:                            ;   in Loop: Header=BB4_10355 Depth=2
	s_or_b32 exec_lo, exec_lo, s15
.LBB4_10648:                            ;   in Loop: Header=BB4_10355 Depth=2
	s_delay_alu instid0(SALU_CYCLE_1) | instskip(SKIP_2) | instid1(VALU_DEP_1)
	s_or_b32 exec_lo, exec_lo, s14
	v_readlane_b32 s14, v122, 3
	s_add_i32 s13, s31, 1
	s_cmp_eq_u32 s31, s14
	s_cbranch_scc0 .LBB4_10355
.LBB4_10649:                            ;   in Loop: Header=BB4_51 Depth=1
	s_mov_b32 s13, s35
	v_mul_lo_u32 v10, v48, s34
	v_mul_lo_u32 v2, v49, s13
	v_mad_u64_u32 v[8:9], null, v48, s13, 0
	v_mov_b32_e32 v14, 0
	s_mov_b32 s16, 0
	s_delay_alu instid0(VALU_DEP_2) | instskip(NEXT) | instid1(VALU_DEP_3)
	v_add3_u32 v9, v9, v10, v2
	v_sub_co_u32 v10, vcc_lo, v50, v8
	s_delay_alu instid0(VALU_DEP_2) | instskip(NEXT) | instid1(VALU_DEP_1)
	v_sub_co_ci_u32_e32 v11, vcc_lo, v51, v9, vcc_lo
	v_cmp_lt_i64_e32 vcc_lo, v[48:49], v[10:11]
	v_cndmask_b32_e32 v10, v10, v48, vcc_lo
	s_delay_alu instid0(VALU_DEP_1) | instskip(NEXT) | instid1(VALU_DEP_1)
	v_max_i32_e32 v12, 0, v10
	v_add_nc_u32_e32 v2, 31, v12
	s_delay_alu instid0(VALU_DEP_1) | instskip(NEXT) | instid1(VALU_DEP_1)
	v_lshrrev_b32_e32 v2, 1, v2
	v_and_b32_e32 v11, 0x3ffffff0, v2
	v_cmp_lt_i32_e32 vcc_lo, 0, v10
	v_mov_b32_e32 v2, 0
	s_delay_alu instid0(VALU_DEP_3) | instskip(SKIP_1) | instid1(SALU_CYCLE_1)
	v_max_i32_e32 v13, s28, v11
	s_and_b32 s13, s30, vcc_lo
	s_and_saveexec_b32 s15, s13
	s_cbranch_execz .LBB4_10810
; %bb.10650:                            ;   in Loop: Header=BB4_51 Depth=1
	v_add_co_u32 v15, vcc_lo, v8, v119
	v_add_co_ci_u32_e32 v50, vcc_lo, v9, v128, vcc_lo
	v_mov_b32_e32 v14, 0
	s_mov_b32 s31, 1
	s_mov_b32 s17, -1
.LBB4_10651:                            ;   Parent Loop BB4_51 Depth=1
                                        ; =>  This Loop Header: Depth=2
                                        ;       Child Loop BB4_10660 Depth 3
                                        ;       Child Loop BB4_10687 Depth 3
	;; [unrolled: 1-line block ×9, first 2 shown]
	s_and_saveexec_b32 s14, s0
	s_cbranch_execz .LBB4_10654
; %bb.10652:                            ;   in Loop: Header=BB4_10651 Depth=2
	s_cbranch_execnz .LBB4_11065
; %bb.10653:                            ;   in Loop: Header=BB4_10651 Depth=2
	ds_load_b128 v[8:11], v0
	v_ashrrev_i32_e32 v2, 31, v14
	s_waitcnt lgkmcnt(0)
	v_add_co_u32 v51, vcc_lo, v10, v15
	v_add_co_ci_u32_e32 v52, vcc_lo, v11, v50, vcc_lo
	v_add_co_u32 v8, vcc_lo, v8, v15
	v_add_co_ci_u32_e32 v9, vcc_lo, v9, v50, vcc_lo
	s_delay_alu instid0(VALU_DEP_4) | instskip(NEXT) | instid1(VALU_DEP_4)
	v_add_co_u32 v51, vcc_lo, v51, v14
	v_add_co_ci_u32_e32 v52, vcc_lo, v52, v2, vcc_lo
	v_cmp_ne_u64_e32 vcc_lo, 0, v[10:11]
	v_add_co_u32 v8, s13, v8, v14
	s_delay_alu instid0(VALU_DEP_1) | instskip(NEXT) | instid1(VALU_DEP_4)
	v_add_co_ci_u32_e64 v9, s13, v9, v2, s13
	v_dual_cndmask_b32 v11, 0, v52 :: v_dual_cndmask_b32 v10, 0, v51
	ds_store_b64 v0, v[8:9]
	ds_store_b64 v0, v[10:11]
.LBB4_10654:                            ;   in Loop: Header=BB4_10651 Depth=2
	s_or_b32 exec_lo, exec_lo, s14
	v_and_b32_e32 v2, 4, v30
	s_mov_b32 s14, -1
	s_mov_b32 s13, exec_lo
	s_delay_alu instid0(VALU_DEP_1)
	v_cmpx_ne_u32_e32 0, v2
	s_cbranch_execz .LBB4_10668
; %bb.10655:                            ;   in Loop: Header=BB4_10651 Depth=2
	v_add_co_u32 v8, vcc_lo, v24, 2
	v_add_co_ci_u32_e32 v9, vcc_lo, 0, v25, vcc_lo
	v_mov_b32_e32 v2, 1
	s_mov_b32 s14, exec_lo
	s_delay_alu instid0(VALU_DEP_2)
	v_cmpx_lt_u64_e64 v[34:35], v[8:9]
	s_cbranch_execz .LBB4_10667
; %bb.10656:                            ;   in Loop: Header=BB4_10651 Depth=2
	v_mov_b32_e32 v2, 0
	s_mov_b32 s36, 0
                                        ; implicit-def: $sgpr37
	s_branch .LBB4_10660
.LBB4_10657:                            ;   in Loop: Header=BB4_10660 Depth=3
	s_or_b32 exec_lo, exec_lo, s41
	v_mov_b32_e32 v10, 0
	s_or_not1_b32 s40, s40, exec_lo
.LBB4_10658:                            ;   in Loop: Header=BB4_10660 Depth=3
	s_or_b32 exec_lo, exec_lo, s39
	s_delay_alu instid0(VALU_DEP_1) | instskip(SKIP_2) | instid1(SALU_CYCLE_1)
	v_mov_b32_e32 v2, v10
	s_and_not1_b32 vcc_lo, s37, exec_lo
	s_and_b32 s37, s40, exec_lo
	s_or_b32 s37, vcc_lo, s37
.LBB4_10659:                            ;   in Loop: Header=BB4_10660 Depth=3
	s_or_b32 exec_lo, exec_lo, s38
	s_waitcnt vmcnt(0) lgkmcnt(0)
	v_cmp_ge_u64_e32 vcc_lo, v[34:35], v[8:9]
	s_xor_b32 s38, s37, -1
	s_delay_alu instid0(SALU_CYCLE_1) | instskip(NEXT) | instid1(SALU_CYCLE_1)
	s_or_b32 vcc_lo, s38, vcc_lo
	s_and_b32 vcc_lo, exec_lo, vcc_lo
	s_delay_alu instid0(SALU_CYCLE_1) | instskip(NEXT) | instid1(SALU_CYCLE_1)
	s_or_b32 s36, vcc_lo, s36
	s_and_not1_b32 exec_lo, exec_lo, s36
	s_cbranch_execz .LBB4_10666
.LBB4_10660:                            ;   Parent Loop BB4_51 Depth=1
                                        ;     Parent Loop BB4_10651 Depth=2
                                        ; =>    This Inner Loop Header: Depth=3
	s_sleep 1
	flat_load_b64 v[34:35], v[22:23] glc
	v_and_b32_e32 v10, 64, v30
	s_and_not1_b32 s37, s37, exec_lo
	s_mov_b32 s38, exec_lo
	s_delay_alu instid0(VALU_DEP_1)
	v_cmpx_eq_u32_e32 0, v10
	s_cbranch_execz .LBB4_10659
; %bb.10661:                            ;   in Loop: Header=BB4_10660 Depth=3
	v_add_nc_u32_e32 v10, 1, v2
	s_mov_b32 s40, -1
	s_mov_b32 s39, exec_lo
	v_cmpx_lt_i32_e32 0x270e, v2
	s_cbranch_execz .LBB4_10658
; %bb.10662:                            ;   in Loop: Header=BB4_10660 Depth=3
	s_cbranch_execnz .LBB4_11109
; %bb.10663:                            ;   in Loop: Header=BB4_10660 Depth=3
	ds_load_b64 v[10:11], v0
	s_mov_b32 s41, exec_lo
	s_waitcnt vmcnt(0) lgkmcnt(0)
	s_waitcnt_vscnt null, 0x0
	flat_load_b32 v2, v[10:11] glc
	s_waitcnt vmcnt(0) lgkmcnt(0)
	buffer_gl1_inv
	buffer_gl0_inv
	v_cmpx_ne_u32_e32 0, v2
	s_cbranch_execz .LBB4_10657
; %bb.10664:                            ;   in Loop: Header=BB4_10660 Depth=3
	ds_store_b32 v0, v2
	s_cbranch_execnz .LBB4_11191
; %bb.10665:                            ;   in Loop: Header=BB4_10660 Depth=3
	v_or_b32_e32 v30, 64, v30
	s_xor_b32 s40, exec_lo, -1
	s_branch .LBB4_10657
.LBB4_10666:                            ;   in Loop: Header=BB4_10651 Depth=2
	s_or_b32 exec_lo, exec_lo, s36
	v_and_b32_e32 v2, 4, v30
.LBB4_10667:                            ;   in Loop: Header=BB4_10651 Depth=2
	s_or_b32 exec_lo, exec_lo, s14
	s_delay_alu instid0(VALU_DEP_1)
	v_cmp_eq_u32_e32 vcc_lo, 0, v2
	;;#ASMSTART
	s_wakeup
	;;#ASMEND
	s_or_not1_b32 s14, vcc_lo, exec_lo
.LBB4_10668:                            ;   in Loop: Header=BB4_10651 Depth=2
	s_or_b32 exec_lo, exec_lo, s13
	s_xor_b32 s13, s14, -1
	s_delay_alu instid0(SALU_CYCLE_1)
	s_and_saveexec_b32 s14, s13
	s_cbranch_execz .LBB4_10678
; %bb.10669:                            ;   in Loop: Header=BB4_10651 Depth=2
	v_and_b32_e32 v2, 0x100, v30
	s_mov_b32 s13, -1
                                        ; implicit-def: $vgpr8_vgpr9
	s_delay_alu instid0(VALU_DEP_1)
	v_cmp_ne_u32_e32 vcc_lo, 0, v2
	v_and_b32_e32 v2, 7, v24
	s_and_saveexec_b32 s36, vcc_lo
	s_cbranch_execz .LBB4_10673
; %bb.10670:                            ;   in Loop: Header=BB4_10651 Depth=2
	s_delay_alu instid0(VALU_DEP_1) | instskip(SKIP_4) | instid1(VALU_DEP_1)
	v_mad_u64_u32 v[10:11], null, v2, 24, v[6:7]
	flat_load_b32 v8, v[10:11]
	s_waitcnt vmcnt(0) lgkmcnt(0)
	v_cmp_ne_u32_e32 vcc_lo, 1, v8
	v_cmp_eq_u32_e64 s13, 1, v8
                                        ; implicit-def: $vgpr8_vgpr9
	s_and_saveexec_b32 s37, s13
	s_cbranch_execz .LBB4_10672
; %bb.10671:                            ;   in Loop: Header=BB4_10651 Depth=2
	flat_load_b32 v8, v[10:11] offset:4 glc
	s_waitcnt vmcnt(0) lgkmcnt(0)
	v_ashrrev_i32_e32 v9, 31, v8
.LBB4_10672:                            ;   in Loop: Header=BB4_10651 Depth=2
	s_or_b32 exec_lo, exec_lo, s37
	s_delay_alu instid0(SALU_CYCLE_1)
	s_or_not1_b32 s13, vcc_lo, exec_lo
.LBB4_10673:                            ;   in Loop: Header=BB4_10651 Depth=2
	s_or_b32 exec_lo, exec_lo, s36
	s_and_saveexec_b32 vcc_lo, s13
; %bb.10674:                            ;   in Loop: Header=BB4_10651 Depth=2
	v_mad_i64_i32 v[8:9], null, v2, v70, 0
; %bb.10675:                            ;   in Loop: Header=BB4_10651 Depth=2
	s_or_b32 exec_lo, exec_lo, vcc_lo
	s_delay_alu instid0(VALU_DEP_1) | instskip(SKIP_1) | instid1(VALU_DEP_3)
	v_add_co_u32 v8, vcc_lo, v26, v8
	v_and_b32_e32 v2, 0x2000, v30
	v_add_co_ci_u32_e32 v9, vcc_lo, v27, v9, vcc_lo
	s_mov_b32 s13, exec_lo
	ds_store_b64 v0, v[8:9] offset:720
	v_cmpx_ne_u32_e32 0, v2
	s_cbranch_execz .LBB4_10677
; %bb.10676:                            ;   in Loop: Header=BB4_10651 Depth=2
	ds_load_b64 v[8:9], v0 offset:584
	s_waitcnt lgkmcnt(0)
	v_add_co_u32 v8, vcc_lo, v8, 1
	v_add_co_ci_u32_e32 v9, vcc_lo, 0, v9, vcc_lo
	ds_store_b64 v0, v[8:9] offset:584
.LBB4_10677:                            ;   in Loop: Header=BB4_10651 Depth=2
	s_or_b32 exec_lo, exec_lo, s13
	v_add_co_u32 v24, vcc_lo, v24, 2
	v_add_co_ci_u32_e32 v25, vcc_lo, 0, v25, vcc_lo
.LBB4_10678:                            ;   in Loop: Header=BB4_10651 Depth=2
	s_or_b32 exec_lo, exec_lo, s14
	s_and_saveexec_b32 s13, s3
	s_cbranch_execz .LBB4_10700
; %bb.10679:                            ;   in Loop: Header=BB4_10651 Depth=2
	s_and_saveexec_b32 s14, s4
	s_delay_alu instid0(SALU_CYCLE_1)
	s_xor_b32 s14, exec_lo, s14
	s_cbranch_execz .LBB4_10697
; %bb.10680:                            ;   in Loop: Header=BB4_10651 Depth=2
	s_and_saveexec_b32 s36, s1
	s_cbranch_execz .LBB4_10696
; %bb.10681:                            ;   in Loop: Header=BB4_10651 Depth=2
	s_mov_b32 s38, exec_lo
	s_mov_b32 s37, exec_lo
	v_mbcnt_lo_u32_b32 v2, s38, 0
	s_waitcnt lgkmcnt(0)
	s_waitcnt_vscnt null, 0x0
	buffer_gl1_inv
	buffer_gl0_inv
	v_cmpx_eq_u32_e32 0, v2
	s_cbranch_execz .LBB4_10683
; %bb.10682:                            ;   in Loop: Header=BB4_10651 Depth=2
	s_bcnt1_i32_b32 vcc_lo, s38
	s_delay_alu instid0(SALU_CYCLE_1)
	v_mov_b32_e32 v2, vcc_lo
	ds_add_u64 v0, v[2:3]
	s_cbranch_execnz .LBB4_11227
.LBB4_10683:                            ;   in Loop: Header=BB4_10651 Depth=2
	s_or_b32 exec_lo, exec_lo, s37
	s_cbranch_execnz .LBB4_11201
; %bb.10684:                            ;   in Loop: Header=BB4_10651 Depth=2
	ds_load_b64 v[8:9], v0
	v_add_co_u32 v32, vcc_lo, v32, v81
	v_add_co_ci_u32_e32 v33, vcc_lo, 0, v33, vcc_lo
	s_mov_b32 s37, exec_lo
	s_waitcnt lgkmcnt(0)
	s_delay_alu instid0(VALU_DEP_1)
	v_cmpx_lt_u64_e64 v[8:9], v[32:33]
	s_cbranch_execz .LBB4_10695
; %bb.10685:                            ;   in Loop: Header=BB4_10651 Depth=2
	s_mov_b32 s38, 0
	s_mov_b32 s41, 0
                                        ; implicit-def: $sgpr39
                                        ; implicit-def: $sgpr40
	s_branch .LBB4_10687
.LBB4_10686:                            ;   in Loop: Header=BB4_10687 Depth=3
	s_or_b32 exec_lo, exec_lo, s43
	s_delay_alu instid0(SALU_CYCLE_1) | instskip(NEXT) | instid1(SALU_CYCLE_1)
	s_and_b32 vcc_lo, exec_lo, vcc_lo
	s_or_b32 s38, vcc_lo, s38
	s_and_not1_b32 vcc_lo, s39, exec_lo
	s_and_b32 s39, s40, exec_lo
	s_delay_alu instid0(SALU_CYCLE_1)
	s_or_b32 s39, vcc_lo, s39
	s_and_not1_b32 exec_lo, exec_lo, s38
	s_cbranch_execz .LBB4_10693
.LBB4_10687:                            ;   Parent Loop BB4_51 Depth=1
                                        ;     Parent Loop BB4_10651 Depth=2
                                        ; =>    This Inner Loop Header: Depth=3
	s_add_i32 s41, s41, 1
                                        ; implicit-def: $sgpr43
	s_delay_alu instid0(SALU_CYCLE_1) | instskip(SKIP_1) | instid1(SALU_CYCLE_1)
	s_cmpk_lg_i32 s41, 0x2710
	s_cselect_b32 s42, -1, 0
	s_and_b32 vcc_lo, exec_lo, s42
	s_cbranch_vccz .LBB4_10691
.LBB4_10688:                            ;   in Loop: Header=BB4_10687 Depth=3
	s_and_not1_b32 s40, s40, exec_lo
	s_and_b32 s43, s43, exec_lo
	s_mov_b32 vcc_lo, -1
	s_or_b32 s40, s40, s43
	s_and_saveexec_b32 s43, s42
	s_cbranch_execz .LBB4_10686
; %bb.10689:                            ;   in Loop: Header=BB4_10687 Depth=3
	s_sleep 1
	s_cbranch_execnz .LBB4_11281
; %bb.10690:                            ;   in Loop: Header=BB4_10687 Depth=3
	ds_load_b64 v[8:9], v0
	s_and_not1_b32 s40, s40, exec_lo
	s_waitcnt lgkmcnt(0)
	v_cmp_ge_u64_e32 vcc_lo, v[8:9], v[32:33]
	s_or_not1_b32 vcc_lo, vcc_lo, exec_lo
	s_branch .LBB4_10686
.LBB4_10691:                            ;   in Loop: Header=BB4_10687 Depth=3
	s_cbranch_execnz .LBB4_11301
; %bb.10692:                            ;   in Loop: Header=BB4_10687 Depth=3
	ds_load_b64 v[8:9], v0
	s_and_not1_b32 s42, s42, exec_lo
	s_mov_b32 s41, 0
	s_mov_b32 s43, -1
	s_waitcnt lgkmcnt(0)
	flat_load_b32 v2, v[8:9] glc
	s_waitcnt vmcnt(0) lgkmcnt(0)
	buffer_gl1_inv
	buffer_gl0_inv
	v_cmp_eq_u32_e32 vcc_lo, 0, v2
	s_and_b32 vcc_lo, vcc_lo, exec_lo
	s_delay_alu instid0(SALU_CYCLE_1)
	s_or_b32 s42, s42, vcc_lo
	s_branch .LBB4_10688
.LBB4_10693:                            ;   in Loop: Header=BB4_10651 Depth=2
	s_or_b32 exec_lo, exec_lo, s38
	s_and_saveexec_b32 vcc_lo, s39
	s_delay_alu instid0(SALU_CYCLE_1)
	s_xor_b32 vcc_lo, exec_lo, vcc_lo
	s_cbranch_execz .LBB4_10695
; %bb.10694:                            ;   in Loop: Header=BB4_10651 Depth=2
	ds_store_b32 v0, v118
	s_cbranch_execnz .LBB4_11425
.LBB4_10695:                            ;   in Loop: Header=BB4_10651 Depth=2
	s_or_b32 exec_lo, exec_lo, s37
	;;#ASMSTART
	s_wakeup
	;;#ASMEND
.LBB4_10696:                            ;   in Loop: Header=BB4_10651 Depth=2
	s_or_b32 exec_lo, exec_lo, s36
.LBB4_10697:                            ;   in Loop: Header=BB4_10651 Depth=2
	s_and_not1_saveexec_b32 s14, s14
	s_cbranch_execz .LBB4_10699
; %bb.10698:                            ;   in Loop: Header=BB4_10651 Depth=2
	s_waitcnt lgkmcnt(0)
	s_waitcnt_vscnt null, 0x0
	buffer_gl1_inv
	buffer_gl0_inv
	s_barrier
.LBB4_10699:                            ;   in Loop: Header=BB4_10651 Depth=2
	s_or_b32 exec_lo, exec_lo, s14
.LBB4_10700:                            ;   in Loop: Header=BB4_10651 Depth=2
	s_delay_alu instid0(SALU_CYCLE_1)
	s_or_b32 exec_lo, exec_lo, s13
	s_cbranch_execnz .LBB4_11061
; %bb.10701:                            ;   in Loop: Header=BB4_10651 Depth=2
	ds_load_b32 v8, v0
	v_and_b32_e32 v2, 0x4000, v30
	s_xor_b32 s13, s2, -1
	s_delay_alu instid0(VALU_DEP_1) | instskip(SKIP_1) | instid1(SALU_CYCLE_1)
	v_cmp_ne_u32_e32 vcc_lo, 0, v2
	s_and_b32 s14, s13, vcc_lo
	s_and_saveexec_b32 s13, s14
	s_cbranch_execz .LBB4_10723
; %bb.10702:                            ;   in Loop: Header=BB4_10651 Depth=2
	s_and_saveexec_b32 s14, s4
	s_delay_alu instid0(SALU_CYCLE_1)
	s_xor_b32 s14, exec_lo, s14
	s_cbranch_execz .LBB4_10720
; %bb.10703:                            ;   in Loop: Header=BB4_10651 Depth=2
	s_and_saveexec_b32 s36, s1
	s_cbranch_execz .LBB4_10719
; %bb.10704:                            ;   in Loop: Header=BB4_10651 Depth=2
	s_mov_b32 s38, exec_lo
	s_mov_b32 s37, exec_lo
	v_mbcnt_lo_u32_b32 v2, s38, 0
	s_waitcnt lgkmcnt(0)
	s_waitcnt_vscnt null, 0x0
	buffer_gl1_inv
	buffer_gl0_inv
	v_cmpx_eq_u32_e32 0, v2
	s_cbranch_execz .LBB4_10706
; %bb.10705:                            ;   in Loop: Header=BB4_10651 Depth=2
	s_bcnt1_i32_b32 vcc_lo, s38
	s_delay_alu instid0(SALU_CYCLE_1)
	v_mov_b32_e32 v2, vcc_lo
	ds_add_u64 v0, v[2:3]
	s_cbranch_execnz .LBB4_11273
.LBB4_10706:                            ;   in Loop: Header=BB4_10651 Depth=2
	s_or_b32 exec_lo, exec_lo, s37
	s_cbranch_execnz .LBB4_11247
; %bb.10707:                            ;   in Loop: Header=BB4_10651 Depth=2
	ds_load_b64 v[9:10], v0
	v_add_co_u32 v32, vcc_lo, v32, v81
	v_add_co_ci_u32_e32 v33, vcc_lo, 0, v33, vcc_lo
	s_mov_b32 s37, exec_lo
	s_waitcnt lgkmcnt(0)
	s_delay_alu instid0(VALU_DEP_1)
	v_cmpx_lt_u64_e64 v[9:10], v[32:33]
	s_cbranch_execz .LBB4_10718
; %bb.10708:                            ;   in Loop: Header=BB4_10651 Depth=2
	s_mov_b32 s38, 0
	s_mov_b32 s41, 0
                                        ; implicit-def: $sgpr39
                                        ; implicit-def: $sgpr40
	s_branch .LBB4_10710
.LBB4_10709:                            ;   in Loop: Header=BB4_10710 Depth=3
	s_or_b32 exec_lo, exec_lo, s43
	s_delay_alu instid0(SALU_CYCLE_1) | instskip(NEXT) | instid1(SALU_CYCLE_1)
	s_and_b32 vcc_lo, exec_lo, vcc_lo
	s_or_b32 s38, vcc_lo, s38
	s_and_not1_b32 vcc_lo, s39, exec_lo
	s_and_b32 s39, s40, exec_lo
	s_delay_alu instid0(SALU_CYCLE_1)
	s_or_b32 s39, vcc_lo, s39
	s_and_not1_b32 exec_lo, exec_lo, s38
	s_cbranch_execz .LBB4_10716
.LBB4_10710:                            ;   Parent Loop BB4_51 Depth=1
                                        ;     Parent Loop BB4_10651 Depth=2
                                        ; =>    This Inner Loop Header: Depth=3
	s_add_i32 s41, s41, 1
                                        ; implicit-def: $sgpr43
	s_delay_alu instid0(SALU_CYCLE_1) | instskip(SKIP_1) | instid1(SALU_CYCLE_1)
	s_cmpk_lg_i32 s41, 0x2710
	s_cselect_b32 s42, -1, 0
	s_and_b32 vcc_lo, exec_lo, s42
	s_cbranch_vccz .LBB4_10714
.LBB4_10711:                            ;   in Loop: Header=BB4_10710 Depth=3
	s_and_not1_b32 s40, s40, exec_lo
	s_and_b32 s43, s43, exec_lo
	s_mov_b32 vcc_lo, -1
	s_or_b32 s40, s40, s43
	s_and_saveexec_b32 s43, s42
	s_cbranch_execz .LBB4_10709
; %bb.10712:                            ;   in Loop: Header=BB4_10710 Depth=3
	s_sleep 1
	s_cbranch_execnz .LBB4_11335
; %bb.10713:                            ;   in Loop: Header=BB4_10710 Depth=3
	ds_load_b64 v[9:10], v0
	s_and_not1_b32 s40, s40, exec_lo
	s_waitcnt lgkmcnt(0)
	v_cmp_ge_u64_e32 vcc_lo, v[9:10], v[32:33]
	s_or_not1_b32 vcc_lo, vcc_lo, exec_lo
	s_branch .LBB4_10709
.LBB4_10714:                            ;   in Loop: Header=BB4_10710 Depth=3
	s_cbranch_execnz .LBB4_11349
; %bb.10715:                            ;   in Loop: Header=BB4_10710 Depth=3
	ds_load_b64 v[9:10], v0
	s_and_not1_b32 s42, s42, exec_lo
	s_mov_b32 s41, 0
	s_mov_b32 s43, -1
	s_waitcnt lgkmcnt(0)
	flat_load_b32 v2, v[9:10] glc
	s_waitcnt vmcnt(0) lgkmcnt(0)
	buffer_gl1_inv
	buffer_gl0_inv
	v_cmp_eq_u32_e32 vcc_lo, 0, v2
	s_and_b32 vcc_lo, vcc_lo, exec_lo
	s_delay_alu instid0(SALU_CYCLE_1)
	s_or_b32 s42, s42, vcc_lo
	s_branch .LBB4_10711
.LBB4_10716:                            ;   in Loop: Header=BB4_10651 Depth=2
	s_or_b32 exec_lo, exec_lo, s38
	s_and_saveexec_b32 vcc_lo, s39
	s_delay_alu instid0(SALU_CYCLE_1)
	s_xor_b32 vcc_lo, exec_lo, vcc_lo
	s_cbranch_execz .LBB4_10718
; %bb.10717:                            ;   in Loop: Header=BB4_10651 Depth=2
	ds_store_b32 v0, v118
	s_cbranch_execnz .LBB4_11439
.LBB4_10718:                            ;   in Loop: Header=BB4_10651 Depth=2
	s_or_b32 exec_lo, exec_lo, s37
	;;#ASMSTART
	s_wakeup
	;;#ASMEND
.LBB4_10719:                            ;   in Loop: Header=BB4_10651 Depth=2
	s_or_b32 exec_lo, exec_lo, s36
.LBB4_10720:                            ;   in Loop: Header=BB4_10651 Depth=2
	s_and_not1_saveexec_b32 s14, s14
	s_cbranch_execz .LBB4_10722
; %bb.10721:                            ;   in Loop: Header=BB4_10651 Depth=2
	s_waitcnt lgkmcnt(0)
	s_waitcnt_vscnt null, 0x0
	buffer_gl1_inv
	buffer_gl0_inv
	s_barrier
.LBB4_10722:                            ;   in Loop: Header=BB4_10651 Depth=2
	s_or_b32 exec_lo, exec_lo, s14
.LBB4_10723:                            ;   in Loop: Header=BB4_10651 Depth=2
	s_delay_alu instid0(SALU_CYCLE_1)
	s_or_b32 exec_lo, exec_lo, s13
	s_cbranch_execnz .LBB4_11117
; %bb.10724:                            ;   in Loop: Header=BB4_10651 Depth=2
	ds_load_b64 v[9:10], v0
	v_sub_nc_u32_e32 v2, v12, v14
	v_mov_b32_e32 v51, 0
	s_delay_alu instid0(VALU_DEP_2) | instskip(SKIP_3) | instid1(SALU_CYCLE_1)
	v_min_i32_e32 v13, v13, v2
	s_waitcnt lgkmcnt(0)
	v_cmp_eq_u64_e32 vcc_lo, 0, v[9:10]
	s_or_b32 s13, vcc_lo, vcc_lo
	s_and_b32 vcc_lo, exec_lo, s13
	s_cbranch_vccnz .LBB4_10758
; %bb.10725:                            ;   in Loop: Header=BB4_10651 Depth=2
	s_mov_b32 s13, -1
	s_and_saveexec_b32 s14, s6
	s_cbranch_execz .LBB4_10727
; %bb.10726:                            ;   in Loop: Header=BB4_10651 Depth=2
	ds_load_b32 v2, v0 offset:720
	s_waitcnt lgkmcnt(0)
	v_and_b32_e32 v2, 15, v2
	s_delay_alu instid0(VALU_DEP_1)
	v_cmp_eq_u32_e32 vcc_lo, 0, v2
	s_or_not1_b32 s13, vcc_lo, exec_lo
.LBB4_10727:                            ;   in Loop: Header=BB4_10651 Depth=2
	s_or_b32 exec_lo, exec_lo, s14
	s_and_saveexec_b32 s14, s5
	s_cbranch_execz .LBB4_10729
; %bb.10728:                            ;   in Loop: Header=BB4_10651 Depth=2
	ds_load_b32 v2, v0 offset:784
	s_waitcnt lgkmcnt(0)
	v_and_b32_e32 v2, 15, v2
	s_delay_alu instid0(VALU_DEP_1) | instskip(SKIP_3) | instid1(SALU_CYCLE_1)
	v_cmp_eq_u32_e32 vcc_lo, 0, v2
	s_and_b32 vcc_lo, s13, vcc_lo
	s_and_not1_b32 s13, s13, exec_lo
	s_and_b32 vcc_lo, vcc_lo, exec_lo
	s_or_b32 s13, s13, vcc_lo
.LBB4_10729:                            ;   in Loop: Header=BB4_10651 Depth=2
	s_or_b32 exec_lo, exec_lo, s14
	v_cmp_eq_u32_e32 vcc_lo, 0, v8
	s_xor_b32 s13, s13, -1
	v_mov_b32_e32 v64, v83
	v_cndmask_b32_e64 v2, 0, 1, s13
	;;#ASMSTART
	;;#ASMEND
	v_cndmask_b32_e32 v51, 0, v13, vcc_lo
	s_delay_alu instid0(VALU_DEP_2) | instskip(SKIP_2) | instid1(VALU_DEP_3)
	v_cmp_ne_u32_e32 vcc_lo, 0, v2
	v_mov_b32_e32 v2, 0
	s_mov_b32 s13, -1
	v_dual_mov_b32 v53, v0 :: v_dual_mov_b32 v52, v51
	s_cbranch_vccnz .LBB4_10745
; %bb.10730:                            ;   in Loop: Header=BB4_10651 Depth=2
	v_ashrrev_i32_e32 v2, 31, v51
	s_mov_b32 s14, exec_lo
	s_delay_alu instid0(VALU_DEP_1) | instskip(NEXT) | instid1(VALU_DEP_1)
	v_lshrrev_b32_e32 v2, 21, v2
	v_add_nc_u32_e32 v2, v51, v2
	s_delay_alu instid0(VALU_DEP_1) | instskip(NEXT) | instid1(VALU_DEP_1)
	v_ashrrev_i32_e32 v2, 11, v2
	v_sub_nc_u32_e32 v54, v2, v83
	s_delay_alu instid0(VALU_DEP_1)
	v_cmpx_lt_i32_e32 0, v54
	s_cbranch_execz .LBB4_10735
; %bb.10731:                            ;   in Loop: Header=BB4_10651 Depth=2
	s_cbranch_execnz .LBB4_11305
; %bb.10732:                            ;   in Loop: Header=BB4_10651 Depth=2
	ds_load_b64 v[8:9], v0
	s_mov_b32 s36, 0
	s_waitcnt lgkmcnt(0)
	v_dual_mov_b32 v11, v9 :: v_dual_mov_b32 v10, v8
	s_set_inst_prefetch_distance 0x1
.LBB4_10733:                            ;   Parent Loop BB4_51 Depth=1
                                        ;     Parent Loop BB4_10651 Depth=2
                                        ; =>    This Inner Loop Header: Depth=3
	s_delay_alu instid0(VALU_DEP_1) | instskip(NEXT) | instid1(VALU_DEP_2)
	v_add_co_u32 v52, vcc_lo, v86, v10
	v_add_co_ci_u32_e32 v53, vcc_lo, v96, v11, vcc_lo
	v_sub_nc_u32_e32 v54, v54, v81
	s_clause 0x3
	global_load_b128 v[64:67], v[52:53], off slc dlc
	global_load_b128 v[128:131], v[52:53], off offset:512 slc dlc
	global_load_b128 v[132:135], v[52:53], off offset:1024 slc dlc
	;; [unrolled: 1-line block ×3, first 2 shown]
	v_add_co_u32 v52, vcc_lo, v86, v8
	v_add_co_ci_u32_e32 v53, vcc_lo, v96, v9, vcc_lo
	v_add_co_u32 v10, vcc_lo, v10, v97
	v_add_co_ci_u32_e32 v11, vcc_lo, v11, v98, vcc_lo
	v_add_co_u32 v8, vcc_lo, v8, v97
	v_cmp_gt_i32_e64 s13, 1, v54
	v_add_co_ci_u32_e32 v9, vcc_lo, v9, v98, vcc_lo
	s_waitcnt vmcnt(3)
	global_store_b128 v[52:53], v[64:67], off glc slc dlc
	s_waitcnt vmcnt(2)
	global_store_b128 v[52:53], v[128:131], off offset:512 glc slc dlc
	s_waitcnt vmcnt(1)
	global_store_b128 v[52:53], v[132:135], off offset:1024 glc slc dlc
	;; [unrolled: 2-line block ×3, first 2 shown]
	s_or_b32 s36, s13, s36
	s_delay_alu instid0(SALU_CYCLE_1)
	s_and_not1_b32 exec_lo, exec_lo, s36
	s_cbranch_execnz .LBB4_10733
; %bb.10734:                            ;   in Loop: Header=BB4_10651 Depth=2
	s_set_inst_prefetch_distance 0x2
	s_or_b32 exec_lo, exec_lo, s36
.LBB4_10735:                            ;   in Loop: Header=BB4_10651 Depth=2
	s_delay_alu instid0(SALU_CYCLE_1) | instskip(SKIP_4) | instid1(VALU_DEP_2)
	s_or_b32 exec_lo, exec_lo, s14
	v_lshlrev_b32_e32 v10, 11, v2
	v_mov_b32_e32 v2, 0
	s_mov_b32 s13, 0
	s_mov_b32 s36, exec_lo
                                        ; implicit-def: $vgpr52
                                        ; implicit-def: $vgpr53
                                        ; implicit-def: $vgpr64
	v_cmpx_ne_u32_e64 v51, v10
	s_cbranch_execz .LBB4_10744
; %bb.10736:                            ;   in Loop: Header=BB4_10651 Depth=2
	v_lshlrev_b32_e32 v2, 5, v54
	v_sub_nc_u32_e32 v9, v51, v10
	s_mov_b32 s37, exec_lo
	s_delay_alu instid0(VALU_DEP_2) | instskip(NEXT) | instid1(VALU_DEP_2)
	v_sub_nc_u32_e32 v2, v84, v2
	v_ashrrev_i32_e32 v11, 31, v9
	s_delay_alu instid0(VALU_DEP_2) | instskip(NEXT) | instid1(VALU_DEP_2)
	v_ashrrev_i32_e32 v8, 31, v2
	v_lshrrev_b32_e32 v11, 23, v11
	s_delay_alu instid0(VALU_DEP_2) | instskip(NEXT) | instid1(VALU_DEP_2)
	v_lshrrev_b32_e32 v8, 27, v8
	v_add_nc_u32_e32 v53, v9, v11
	s_delay_alu instid0(VALU_DEP_2) | instskip(NEXT) | instid1(VALU_DEP_2)
	v_add_nc_u32_e32 v8, v2, v8
	v_and_b32_e32 v11, 0xfffffe00, v53
	v_ashrrev_i32_e32 v53, 9, v53
	s_delay_alu instid0(VALU_DEP_3) | instskip(NEXT) | instid1(VALU_DEP_3)
	v_and_b32_e32 v52, 0xffffffe0, v8
	v_sub_nc_u32_e32 v55, v9, v11
	v_ashrrev_i32_e32 v8, 5, v8
	s_delay_alu instid0(VALU_DEP_3) | instskip(NEXT) | instid1(VALU_DEP_3)
	v_sub_nc_u32_e32 v54, v2, v52
	v_cmp_lt_i32_e32 vcc_lo, 15, v55
	s_delay_alu instid0(VALU_DEP_2) | instskip(SKIP_1) | instid1(VALU_DEP_2)
	v_lshlrev_b32_e32 v2, 4, v54
	v_add_co_ci_u32_e64 v53, s13, 0, v53, vcc_lo
	v_lshl_add_u32 v52, v8, 9, v2
	s_delay_alu instid0(VALU_DEP_2) | instskip(NEXT) | instid1(VALU_DEP_2)
	v_sub_nc_u32_e32 v65, v53, v8
	v_sub_nc_u32_e32 v2, v9, v52
	s_delay_alu instid0(VALU_DEP_1)
	v_cmpx_lt_i32_e32 15, v2
	s_cbranch_execz .LBB4_10741
; %bb.10737:                            ;   in Loop: Header=BB4_10651 Depth=2
	s_cbranch_execnz .LBB4_11361
; %bb.10738:                            ;   in Loop: Header=BB4_10651 Depth=2
	ds_load_b64 v[8:9], v0
	v_add_nc_u32_e32 v52, v52, v10
	s_mov_b32 s38, 0
	s_delay_alu instid0(VALU_DEP_1)
	v_ashrrev_i32_e32 v53, 31, v52
.LBB4_10739:                            ;   Parent Loop BB4_51 Depth=1
                                        ;     Parent Loop BB4_10651 Depth=2
                                        ; =>    This Inner Loop Header: Depth=3
	s_waitcnt lgkmcnt(0)
	v_add_co_u32 v128, s13, v8, v52
	s_delay_alu instid0(VALU_DEP_1)
	v_add_co_ci_u32_e64 v129, s13, v9, v53, s13
	v_sub_nc_u32_e32 v2, v2, v85
	v_add_co_u32 v52, s14, v52, v101
	global_load_b128 v[66:69], v[128:129], off slc dlc
	v_sub_nc_u32_e32 v65, v65, v81
	v_cmp_gt_i32_e64 s13, 16, v2
	v_add_co_ci_u32_e64 v53, s14, v53, v102, s14
	s_delay_alu instid0(VALU_DEP_2)
	s_or_b32 s38, s13, s38
	s_waitcnt vmcnt(0)
	global_store_b128 v[128:129], v[66:69], off glc slc dlc
	s_and_not1_b32 exec_lo, exec_lo, s38
	s_cbranch_execnz .LBB4_10739
; %bb.10740:                            ;   in Loop: Header=BB4_10651 Depth=2
	s_or_b32 exec_lo, exec_lo, s38
.LBB4_10741:                            ;   in Loop: Header=BB4_10651 Depth=2
	s_delay_alu instid0(SALU_CYCLE_1) | instskip(SKIP_4) | instid1(VALU_DEP_2)
	s_or_b32 exec_lo, exec_lo, s37
	v_and_b32_e32 v8, 15, v51
	v_mov_b32_e32 v2, 0
	s_mov_b32 s14, 0
	s_mov_b32 s37, exec_lo
                                        ; implicit-def: $vgpr53
                                        ; implicit-def: $vgpr64
	v_cndmask_b32_e32 v52, v55, v8, vcc_lo
	s_delay_alu instid0(VALU_DEP_1)
	v_cmpx_ne_u32_e32 0, v52
; %bb.10742:                            ;   in Loop: Header=BB4_10651 Depth=2
	v_cmp_lt_i32_e64 s13, 0, v65
	v_sub_nc_u32_e32 v8, v55, v8
	s_mov_b32 s14, exec_lo
	s_delay_alu instid0(VALU_DEP_2) | instskip(NEXT) | instid1(VALU_DEP_1)
	v_cndmask_b32_e64 v2, 0, v81, s13
	v_sub_nc_u32_e32 v2, v2, v65
	s_delay_alu instid0(VALU_DEP_1) | instskip(NEXT) | instid1(VALU_DEP_1)
	v_lshl_add_u32 v53, v2, 5, v54
	v_ashrrev_i32_e32 v2, 31, v53
	s_delay_alu instid0(VALU_DEP_1) | instskip(NEXT) | instid1(VALU_DEP_1)
	v_lshrrev_b32_e32 v2, 27, v2
	v_dual_cndmask_b32 v8, 0, v8 :: v_dual_add_nc_u32 v9, v53, v2
	s_delay_alu instid0(VALU_DEP_1) | instskip(NEXT) | instid1(VALU_DEP_2)
	v_add3_u32 v2, v11, v10, v8
	v_ashrrev_i32_e32 v64, 5, v9
; %bb.10743:                            ;   in Loop: Header=BB4_10651 Depth=2
	s_or_b32 exec_lo, exec_lo, s37
	s_delay_alu instid0(SALU_CYCLE_1)
	s_and_b32 s13, s14, exec_lo
.LBB4_10744:                            ;   in Loop: Header=BB4_10651 Depth=2
	s_or_b32 exec_lo, exec_lo, s36
.LBB4_10745:                            ;   in Loop: Header=BB4_10651 Depth=2
	s_and_saveexec_b32 s14, s13
	s_cbranch_execz .LBB4_10757
; %bb.10746:                            ;   in Loop: Header=BB4_10651 Depth=2
	s_delay_alu instid0(VALU_DEP_1) | instskip(SKIP_1) | instid1(VALU_DEP_1)
	v_ashrrev_i32_e32 v8, 31, v52
	s_mov_b32 s13, exec_lo
	v_lshrrev_b32_e32 v8, 23, v8
	s_delay_alu instid0(VALU_DEP_1) | instskip(NEXT) | instid1(VALU_DEP_1)
	v_add_nc_u32_e32 v8, v52, v8
	v_ashrrev_i32_e32 v55, 9, v8
	s_delay_alu instid0(VALU_DEP_1) | instskip(NEXT) | instid1(VALU_DEP_1)
	v_sub_nc_u32_e32 v54, v55, v64
	v_cmpx_lt_i32_e32 0, v54
	s_cbranch_execz .LBB4_10751
; %bb.10747:                            ;   in Loop: Header=BB4_10651 Depth=2
	s_cbranch_execnz .LBB4_11295
; %bb.10748:                            ;   in Loop: Header=BB4_10651 Depth=2
	v_ashrrev_i32_e32 v8, 31, v53
	s_mov_b32 s36, 0
	s_delay_alu instid0(VALU_DEP_1) | instskip(NEXT) | instid1(VALU_DEP_1)
	v_lshrrev_b32_e32 v8, 27, v8
	v_add_nc_u32_e32 v10, v53, v8
	ds_load_b64 v[8:9], v0
	v_lshlrev_b32_e32 v11, 9, v64
	v_and_b32_e32 v10, 0xffffffe0, v10
	s_delay_alu instid0(VALU_DEP_1) | instskip(NEXT) | instid1(VALU_DEP_1)
	v_sub_nc_u32_e32 v10, v53, v10
	v_add3_u32 v64, v2, v10, v11
	s_delay_alu instid0(VALU_DEP_1)
	v_ashrrev_i32_e32 v65, 31, v64
	s_waitcnt lgkmcnt(0)
	v_dual_mov_b32 v11, v9 :: v_dual_mov_b32 v10, v8
.LBB4_10749:                            ;   Parent Loop BB4_51 Depth=1
                                        ;     Parent Loop BB4_10651 Depth=2
                                        ; =>    This Inner Loop Header: Depth=3
	s_delay_alu instid0(VALU_DEP_1) | instskip(NEXT) | instid1(VALU_DEP_2)
	v_add_co_u32 v66, vcc_lo, v64, v10
	v_add_co_ci_u32_e32 v67, vcc_lo, v65, v11, vcc_lo
	v_sub_nc_u32_e32 v54, v54, v81
	s_clause 0xf
	flat_load_u8 v68, v[66:67] slc dlc
	flat_load_u8 v69, v[66:67] offset:32 slc dlc
	flat_load_u8 v119, v[66:67] offset:64 slc dlc
	;; [unrolled: 1-line block ×15, first 2 shown]
	v_add_co_u32 v66, vcc_lo, v64, v8
	v_add_co_ci_u32_e32 v67, vcc_lo, v65, v9, vcc_lo
	v_add_co_u32 v10, vcc_lo, v10, v101
	v_add_co_ci_u32_e32 v11, vcc_lo, v11, v102, vcc_lo
	;; [unrolled: 2-line block ×3, first 2 shown]
	v_cmp_gt_i32_e32 vcc_lo, 1, v54
	s_waitcnt vmcnt(15) lgkmcnt(15)
	flat_store_b8 v[66:67], v68 glc slc dlc
	s_waitcnt vmcnt(14) lgkmcnt(15)
	flat_store_b8 v[66:67], v69 offset:32 glc slc dlc
	s_waitcnt vmcnt(13) lgkmcnt(15)
	flat_store_b8 v[66:67], v119 offset:64 glc slc dlc
	s_waitcnt vmcnt(12) lgkmcnt(15)
	flat_store_b8 v[66:67], v128 offset:96 glc slc dlc
	s_waitcnt vmcnt(11) lgkmcnt(15)
	flat_store_b8 v[66:67], v129 offset:128 glc slc dlc
	s_waitcnt vmcnt(10) lgkmcnt(15)
	flat_store_b8 v[66:67], v130 offset:160 glc slc dlc
	s_waitcnt vmcnt(9) lgkmcnt(15)
	flat_store_b8 v[66:67], v131 offset:192 glc slc dlc
	s_waitcnt vmcnt(8) lgkmcnt(15)
	flat_store_b8 v[66:67], v132 offset:224 glc slc dlc
	s_waitcnt vmcnt(7) lgkmcnt(15)
	flat_store_b8 v[66:67], v133 offset:256 glc slc dlc
	s_waitcnt vmcnt(6) lgkmcnt(15)
	flat_store_b8 v[66:67], v134 offset:288 glc slc dlc
	s_waitcnt vmcnt(5) lgkmcnt(15)
	flat_store_b8 v[66:67], v135 offset:320 glc slc dlc
	s_waitcnt vmcnt(4) lgkmcnt(15)
	flat_store_b8 v[66:67], v144 offset:352 glc slc dlc
	s_waitcnt vmcnt(3) lgkmcnt(15)
	flat_store_b8 v[66:67], v145 offset:384 glc slc dlc
	s_waitcnt vmcnt(2) lgkmcnt(15)
	flat_store_b8 v[66:67], v146 offset:416 glc slc dlc
	s_waitcnt vmcnt(1) lgkmcnt(15)
	flat_store_b8 v[66:67], v147 offset:448 glc slc dlc
	s_waitcnt vmcnt(0) lgkmcnt(15)
	flat_store_b8 v[66:67], v148 offset:480 glc slc dlc
	s_or_b32 s36, vcc_lo, s36
	s_delay_alu instid0(SALU_CYCLE_1)
	s_and_not1_b32 exec_lo, exec_lo, s36
	s_cbranch_execnz .LBB4_10749
; %bb.10750:                            ;   in Loop: Header=BB4_10651 Depth=2
	s_or_b32 exec_lo, exec_lo, s36
.LBB4_10751:                            ;   in Loop: Header=BB4_10651 Depth=2
	s_delay_alu instid0(SALU_CYCLE_1) | instskip(SKIP_2) | instid1(VALU_DEP_1)
	s_or_b32 exec_lo, exec_lo, s13
	v_lshlrev_b32_e32 v8, 9, v55
	s_mov_b32 s36, exec_lo
	v_cmpx_ne_u32_e64 v52, v8
	s_cbranch_execz .LBB4_10756
; %bb.10752:                            ;   in Loop: Header=BB4_10651 Depth=2
	v_ashrrev_i32_e32 v9, 31, v53
	v_lshlrev_b32_e32 v10, 5, v54
	s_delay_alu instid0(VALU_DEP_2) | instskip(NEXT) | instid1(VALU_DEP_1)
	v_lshrrev_b32_e32 v9, 27, v9
	v_add_nc_u32_e32 v9, v53, v9
	s_delay_alu instid0(VALU_DEP_1) | instskip(NEXT) | instid1(VALU_DEP_1)
	v_and_b32_e32 v9, 0xffffffe0, v9
	v_sub_nc_u32_e32 v9, v53, v9
	s_delay_alu instid0(VALU_DEP_1) | instskip(NEXT) | instid1(VALU_DEP_1)
	v_sub_nc_u32_e32 v9, v9, v10
	v_add_nc_u32_e32 v11, v8, v9
	s_delay_alu instid0(VALU_DEP_1) | instskip(NEXT) | instid1(VALU_DEP_1)
	v_sub_nc_u32_e32 v10, v52, v11
	v_cmp_lt_i32_e32 vcc_lo, 0, v10
	s_and_b32 exec_lo, exec_lo, vcc_lo
	s_cbranch_execz .LBB4_10756
; %bb.10753:                            ;   in Loop: Header=BB4_10651 Depth=2
	s_cbranch_execnz .LBB4_11353
; %bb.10754:                            ;   in Loop: Header=BB4_10651 Depth=2
	ds_load_b64 v[8:9], v0
	v_add_nc_u32_e32 v2, v11, v2
	s_mov_b32 s37, 0
	s_delay_alu instid0(VALU_DEP_1)
	v_ashrrev_i32_e32 v11, 31, v2
.LBB4_10755:                            ;   Parent Loop BB4_51 Depth=1
                                        ;     Parent Loop BB4_10651 Depth=2
                                        ; =>    This Inner Loop Header: Depth=3
	s_waitcnt lgkmcnt(0)
	v_add_co_u32 v52, vcc_lo, v8, v2
	s_delay_alu instid0(VALU_DEP_2)
	v_add_co_ci_u32_e32 v53, vcc_lo, v9, v11, vcc_lo
	v_sub_nc_u32_e32 v10, v10, v82
	v_add_co_u32 v2, s13, v2, v112
	flat_load_u8 v54, v[52:53] slc dlc
	v_add_co_ci_u32_e64 v11, s13, v11, v113, s13
	v_cmp_gt_i32_e32 vcc_lo, 1, v10
	s_or_b32 s37, vcc_lo, s37
	s_waitcnt vmcnt(0) lgkmcnt(0)
	flat_store_b8 v[52:53], v54 glc slc dlc
	s_and_not1_b32 exec_lo, exec_lo, s37
	s_cbranch_execnz .LBB4_10755
.LBB4_10756:                            ;   in Loop: Header=BB4_10651 Depth=2
	s_or_b32 exec_lo, exec_lo, s36
.LBB4_10757:                            ;   in Loop: Header=BB4_10651 Depth=2
	s_delay_alu instid0(SALU_CYCLE_1)
	s_or_b32 exec_lo, exec_lo, s14
.LBB4_10758:                            ;   in Loop: Header=BB4_10651 Depth=2
	s_and_saveexec_b32 s13, s3
	s_cbranch_execz .LBB4_10780
; %bb.10759:                            ;   in Loop: Header=BB4_10651 Depth=2
	s_and_saveexec_b32 s14, s4
	s_delay_alu instid0(SALU_CYCLE_1)
	s_xor_b32 s14, exec_lo, s14
	s_cbranch_execz .LBB4_10777
; %bb.10760:                            ;   in Loop: Header=BB4_10651 Depth=2
	s_and_saveexec_b32 s36, s1
	s_cbranch_execz .LBB4_10776
; %bb.10761:                            ;   in Loop: Header=BB4_10651 Depth=2
	s_mov_b32 s38, exec_lo
	s_mov_b32 s37, exec_lo
	v_mbcnt_lo_u32_b32 v2, s38, 0
	s_waitcnt lgkmcnt(0)
	s_waitcnt_vscnt null, 0x0
	buffer_gl1_inv
	buffer_gl0_inv
	v_cmpx_eq_u32_e32 0, v2
	s_cbranch_execz .LBB4_10763
; %bb.10762:                            ;   in Loop: Header=BB4_10651 Depth=2
	s_bcnt1_i32_b32 vcc_lo, s38
	s_delay_alu instid0(SALU_CYCLE_1)
	v_mov_b32_e32 v2, vcc_lo
	ds_add_u64 v0, v[2:3]
	s_cbranch_execnz .LBB4_11339
.LBB4_10763:                            ;   in Loop: Header=BB4_10651 Depth=2
	s_or_b32 exec_lo, exec_lo, s37
	s_cbranch_execnz .LBB4_11315
; %bb.10764:                            ;   in Loop: Header=BB4_10651 Depth=2
	ds_load_b64 v[8:9], v0
	v_add_co_u32 v32, vcc_lo, v32, v81
	v_add_co_ci_u32_e32 v33, vcc_lo, 0, v33, vcc_lo
	s_mov_b32 s37, exec_lo
	s_waitcnt lgkmcnt(0)
	s_delay_alu instid0(VALU_DEP_1)
	v_cmpx_lt_u64_e64 v[8:9], v[32:33]
	s_cbranch_execz .LBB4_10775
; %bb.10765:                            ;   in Loop: Header=BB4_10651 Depth=2
	s_mov_b32 s38, 0
	s_mov_b32 s41, 0
                                        ; implicit-def: $sgpr39
                                        ; implicit-def: $sgpr40
	s_branch .LBB4_10767
.LBB4_10766:                            ;   in Loop: Header=BB4_10767 Depth=3
	s_or_b32 exec_lo, exec_lo, s43
	s_delay_alu instid0(SALU_CYCLE_1) | instskip(NEXT) | instid1(SALU_CYCLE_1)
	s_and_b32 vcc_lo, exec_lo, vcc_lo
	s_or_b32 s38, vcc_lo, s38
	s_and_not1_b32 vcc_lo, s39, exec_lo
	s_and_b32 s39, s40, exec_lo
	s_delay_alu instid0(SALU_CYCLE_1)
	s_or_b32 s39, vcc_lo, s39
	s_and_not1_b32 exec_lo, exec_lo, s38
	s_cbranch_execz .LBB4_10773
.LBB4_10767:                            ;   Parent Loop BB4_51 Depth=1
                                        ;     Parent Loop BB4_10651 Depth=2
                                        ; =>    This Inner Loop Header: Depth=3
	s_add_i32 s41, s41, 1
                                        ; implicit-def: $sgpr43
	s_delay_alu instid0(SALU_CYCLE_1) | instskip(SKIP_1) | instid1(SALU_CYCLE_1)
	s_cmpk_lg_i32 s41, 0x2710
	s_cselect_b32 s42, -1, 0
	s_and_b32 vcc_lo, exec_lo, s42
	s_cbranch_vccnz .LBB4_10770
; %bb.10768:                            ;   in Loop: Header=BB4_10767 Depth=3
	s_cbranch_execnz .LBB4_11389
; %bb.10769:                            ;   in Loop: Header=BB4_10767 Depth=3
	ds_load_b64 v[8:9], v0
	s_and_not1_b32 s42, s42, exec_lo
	s_mov_b32 s41, 0
	s_mov_b32 s43, -1
	s_waitcnt lgkmcnt(0)
	flat_load_b32 v2, v[8:9] glc
	s_waitcnt vmcnt(0) lgkmcnt(0)
	buffer_gl1_inv
	buffer_gl0_inv
	v_cmp_eq_u32_e32 vcc_lo, 0, v2
	s_and_b32 vcc_lo, vcc_lo, exec_lo
	s_delay_alu instid0(SALU_CYCLE_1)
	s_or_b32 s42, s42, vcc_lo
.LBB4_10770:                            ;   in Loop: Header=BB4_10767 Depth=3
	s_and_not1_b32 s40, s40, exec_lo
	s_and_b32 s43, s43, exec_lo
	s_mov_b32 vcc_lo, -1
	s_or_b32 s40, s40, s43
	s_and_saveexec_b32 s43, s42
	s_cbranch_execz .LBB4_10766
; %bb.10771:                            ;   in Loop: Header=BB4_10767 Depth=3
	s_sleep 1
	s_cbranch_execnz .LBB4_11379
; %bb.10772:                            ;   in Loop: Header=BB4_10767 Depth=3
	ds_load_b64 v[8:9], v0
	s_and_not1_b32 s40, s40, exec_lo
	s_waitcnt lgkmcnt(0)
	v_cmp_ge_u64_e32 vcc_lo, v[8:9], v[32:33]
	s_or_not1_b32 vcc_lo, vcc_lo, exec_lo
	s_branch .LBB4_10766
.LBB4_10773:                            ;   in Loop: Header=BB4_10651 Depth=2
	s_or_b32 exec_lo, exec_lo, s38
	s_and_saveexec_b32 vcc_lo, s39
	s_delay_alu instid0(SALU_CYCLE_1)
	s_xor_b32 vcc_lo, exec_lo, vcc_lo
	s_cbranch_execz .LBB4_10775
; %bb.10774:                            ;   in Loop: Header=BB4_10651 Depth=2
	ds_store_b32 v0, v118
	s_cbranch_execnz .LBB4_11443
.LBB4_10775:                            ;   in Loop: Header=BB4_10651 Depth=2
	s_or_b32 exec_lo, exec_lo, s37
	;;#ASMSTART
	s_wakeup
	;;#ASMEND
.LBB4_10776:                            ;   in Loop: Header=BB4_10651 Depth=2
	s_or_b32 exec_lo, exec_lo, s36
.LBB4_10777:                            ;   in Loop: Header=BB4_10651 Depth=2
	s_and_not1_saveexec_b32 s14, s14
	s_cbranch_execz .LBB4_10779
; %bb.10778:                            ;   in Loop: Header=BB4_10651 Depth=2
	s_waitcnt lgkmcnt(0)
	s_waitcnt_vscnt null, 0x0
	buffer_gl1_inv
	buffer_gl0_inv
	s_barrier
.LBB4_10779:                            ;   in Loop: Header=BB4_10651 Depth=2
	s_or_b32 exec_lo, exec_lo, s14
.LBB4_10780:                            ;   in Loop: Header=BB4_10651 Depth=2
	s_delay_alu instid0(SALU_CYCLE_1) | instskip(SKIP_1) | instid1(SALU_CYCLE_1)
	s_or_b32 exec_lo, exec_lo, s13
	s_and_saveexec_b32 s13, s7
	s_xor_b32 s14, exec_lo, s13
	s_cbranch_execz .LBB4_10784
; %bb.10781:                            ;   in Loop: Header=BB4_10651 Depth=2
	v_and_b32_e32 v2, 16, v30
	v_cmp_lt_i32_e32 vcc_lo, 0, v51
	s_delay_alu instid0(VALU_DEP_2) | instskip(NEXT) | instid1(VALU_DEP_1)
	v_cmp_ne_u32_e64 s13, 0, v2
	s_and_b32 vcc_lo, s13, vcc_lo
	s_delay_alu instid0(SALU_CYCLE_1)
	s_and_saveexec_b32 s13, vcc_lo
	s_cbranch_execz .LBB4_10783
; %bb.10782:                            ;   in Loop: Header=BB4_10651 Depth=2
	s_waitcnt lgkmcnt(0)
	s_waitcnt_vscnt null, 0x0
	buffer_gl1_inv
	buffer_gl0_inv
.LBB4_10783:                            ;   in Loop: Header=BB4_10651 Depth=2
	s_or_b32 exec_lo, exec_lo, s13
.LBB4_10784:                            ;   in Loop: Header=BB4_10651 Depth=2
	s_and_not1_saveexec_b32 s13, s14
	s_cbranch_execz .LBB4_10806
; %bb.10785:                            ;   in Loop: Header=BB4_10651 Depth=2
	s_and_saveexec_b32 s14, s4
	s_delay_alu instid0(SALU_CYCLE_1)
	s_xor_b32 s14, exec_lo, s14
	s_cbranch_execz .LBB4_10803
; %bb.10786:                            ;   in Loop: Header=BB4_10651 Depth=2
	s_and_saveexec_b32 s36, s1
	s_cbranch_execz .LBB4_10802
; %bb.10787:                            ;   in Loop: Header=BB4_10651 Depth=2
	s_mov_b32 s38, exec_lo
	s_mov_b32 s37, exec_lo
	v_mbcnt_lo_u32_b32 v2, s38, 0
	;;#ASMSTART
	s_waitcnt lgkmcnt(0) vmcnt(0)
	;;#ASMEND
	s_delay_alu instid0(VALU_DEP_1)
	v_cmpx_eq_u32_e32 0, v2
	s_cbranch_execz .LBB4_10789
; %bb.10788:                            ;   in Loop: Header=BB4_10651 Depth=2
	s_bcnt1_i32_b32 vcc_lo, s38
	s_delay_alu instid0(SALU_CYCLE_1)
	v_mov_b32_e32 v2, vcc_lo
	ds_add_u64 v0, v[2:3]
	s_cbranch_execnz .LBB4_11345
.LBB4_10789:                            ;   in Loop: Header=BB4_10651 Depth=2
	s_or_b32 exec_lo, exec_lo, s37
	s_cbranch_execnz .LBB4_11323
; %bb.10790:                            ;   in Loop: Header=BB4_10651 Depth=2
	ds_load_b64 v[8:9], v0
	v_add_co_u32 v32, vcc_lo, v32, v81
	v_add_co_ci_u32_e32 v33, vcc_lo, 0, v33, vcc_lo
	s_mov_b32 s37, exec_lo
	s_waitcnt lgkmcnt(0)
	s_delay_alu instid0(VALU_DEP_1)
	v_cmpx_lt_u64_e64 v[8:9], v[32:33]
	s_cbranch_execz .LBB4_10801
; %bb.10791:                            ;   in Loop: Header=BB4_10651 Depth=2
	s_mov_b32 s38, 0
	s_mov_b32 s41, 0
                                        ; implicit-def: $sgpr39
                                        ; implicit-def: $sgpr40
	s_branch .LBB4_10793
.LBB4_10792:                            ;   in Loop: Header=BB4_10793 Depth=3
	s_or_b32 exec_lo, exec_lo, s43
	s_delay_alu instid0(SALU_CYCLE_1) | instskip(NEXT) | instid1(SALU_CYCLE_1)
	s_and_b32 vcc_lo, exec_lo, vcc_lo
	s_or_b32 s38, vcc_lo, s38
	s_and_not1_b32 vcc_lo, s39, exec_lo
	s_and_b32 s39, s40, exec_lo
	s_delay_alu instid0(SALU_CYCLE_1)
	s_or_b32 s39, vcc_lo, s39
	s_and_not1_b32 exec_lo, exec_lo, s38
	s_cbranch_execz .LBB4_10799
.LBB4_10793:                            ;   Parent Loop BB4_51 Depth=1
                                        ;     Parent Loop BB4_10651 Depth=2
                                        ; =>    This Inner Loop Header: Depth=3
	s_add_i32 s41, s41, 1
                                        ; implicit-def: $sgpr43
	s_delay_alu instid0(SALU_CYCLE_1) | instskip(SKIP_1) | instid1(SALU_CYCLE_1)
	s_cmpk_lg_i32 s41, 0x2710
	s_cselect_b32 s42, -1, 0
	s_and_b32 vcc_lo, exec_lo, s42
	s_cbranch_vccnz .LBB4_10796
; %bb.10794:                            ;   in Loop: Header=BB4_10793 Depth=3
	s_cbranch_execnz .LBB4_11397
; %bb.10795:                            ;   in Loop: Header=BB4_10793 Depth=3
	ds_load_b64 v[8:9], v0
	s_and_not1_b32 s42, s42, exec_lo
	s_mov_b32 s41, 0
	s_mov_b32 s43, -1
	s_waitcnt lgkmcnt(0)
	s_waitcnt_vscnt null, 0x0
	flat_load_b32 v2, v[8:9] glc
	s_waitcnt vmcnt(0) lgkmcnt(0)
	buffer_gl1_inv
	buffer_gl0_inv
	v_cmp_eq_u32_e32 vcc_lo, 0, v2
	s_and_b32 vcc_lo, vcc_lo, exec_lo
	s_delay_alu instid0(SALU_CYCLE_1)
	s_or_b32 s42, s42, vcc_lo
.LBB4_10796:                            ;   in Loop: Header=BB4_10793 Depth=3
	s_and_not1_b32 s40, s40, exec_lo
	s_and_b32 s43, s43, exec_lo
	s_mov_b32 vcc_lo, -1
	s_or_b32 s40, s40, s43
	s_and_saveexec_b32 s43, s42
	s_cbranch_execz .LBB4_10792
; %bb.10797:                            ;   in Loop: Header=BB4_10793 Depth=3
	s_sleep 1
	s_cbranch_execnz .LBB4_11383
; %bb.10798:                            ;   in Loop: Header=BB4_10793 Depth=3
	ds_load_b64 v[8:9], v0
	s_and_not1_b32 s40, s40, exec_lo
	s_waitcnt lgkmcnt(0)
	v_cmp_ge_u64_e32 vcc_lo, v[8:9], v[32:33]
	s_or_not1_b32 vcc_lo, vcc_lo, exec_lo
	s_branch .LBB4_10792
.LBB4_10799:                            ;   in Loop: Header=BB4_10651 Depth=2
	s_or_b32 exec_lo, exec_lo, s38
	s_and_saveexec_b32 vcc_lo, s39
	s_delay_alu instid0(SALU_CYCLE_1)
	s_xor_b32 vcc_lo, exec_lo, vcc_lo
	s_cbranch_execz .LBB4_10801
; %bb.10800:                            ;   in Loop: Header=BB4_10651 Depth=2
	ds_store_b32 v0, v118
	s_cbranch_execnz .LBB4_11445
.LBB4_10801:                            ;   in Loop: Header=BB4_10651 Depth=2
	s_or_b32 exec_lo, exec_lo, s37
	;;#ASMSTART
	s_wakeup
	;;#ASMEND
.LBB4_10802:                            ;   in Loop: Header=BB4_10651 Depth=2
	s_or_b32 exec_lo, exec_lo, s36
.LBB4_10803:                            ;   in Loop: Header=BB4_10651 Depth=2
	s_and_not1_saveexec_b32 s14, s14
	s_cbranch_execz .LBB4_10805
; %bb.10804:                            ;   in Loop: Header=BB4_10651 Depth=2
	;;#ASMSTART
	s_waitcnt lgkmcnt(0) vmcnt(0)
	;;#ASMEND
	s_waitcnt lgkmcnt(0)
	s_waitcnt_vscnt null, 0x0
	s_barrier
.LBB4_10805:                            ;   in Loop: Header=BB4_10651 Depth=2
	s_or_b32 exec_lo, exec_lo, s14
.LBB4_10806:                            ;   in Loop: Header=BB4_10651 Depth=2
	s_delay_alu instid0(SALU_CYCLE_1) | instskip(SKIP_2) | instid1(VALU_DEP_1)
	s_or_b32 exec_lo, exec_lo, s13
	v_and_b32_e32 v2, 32, v30
	s_mov_b32 s13, exec_lo
	v_cmpx_ne_u32_e32 0, v2
	s_cbranch_execz .LBB4_10808
; %bb.10807:                            ;   in Loop: Header=BB4_10651 Depth=2
	v_add_co_u32 v24, vcc_lo, v24, 2
	v_add_co_ci_u32_e32 v25, vcc_lo, 0, v25, vcc_lo
	s_waitcnt lgkmcnt(0)
	s_waitcnt_vscnt null, 0x0
	flat_store_b64 v[22:23], v[24:25]
.LBB4_10808:                            ;   in Loop: Header=BB4_10651 Depth=2
	s_or_b32 exec_lo, exec_lo, s13
	v_add_nc_u32_e32 v14, v13, v14
	s_xor_b32 s13, s17, -1
	v_mov_b32_e32 v2, s31
	s_mov_b32 s17, 0
	s_mov_b32 s31, 2
	v_cmp_ge_i32_e32 vcc_lo, v14, v12
	s_or_b32 s13, s13, vcc_lo
	s_delay_alu instid0(SALU_CYCLE_1) | instskip(NEXT) | instid1(SALU_CYCLE_1)
	s_and_b32 s13, exec_lo, s13
	s_or_b32 s16, s13, s16
	s_delay_alu instid0(SALU_CYCLE_1)
	s_and_not1_b32 exec_lo, exec_lo, s16
	s_cbranch_execnz .LBB4_10651
; %bb.10809:                            ;   in Loop: Header=BB4_51 Depth=1
	s_or_b32 exec_lo, exec_lo, s16
.LBB4_10810:                            ;   in Loop: Header=BB4_51 Depth=1
	s_delay_alu instid0(SALU_CYCLE_1) | instskip(NEXT) | instid1(SALU_CYCLE_1)
	s_or_b32 exec_lo, exec_lo, s15
	s_mov_b32 s14, exec_lo
	v_cmpx_gt_i32_e32 2, v2
	s_cbranch_execz .LBB4_10889
; %bb.10811:                            ;   in Loop: Header=BB4_51 Depth=1
	v_cmp_eq_u32_e64 s13, 0, v2
	s_mov_b32 s15, 0
.LBB4_10812:                            ;   Parent Loop BB4_51 Depth=1
                                        ; =>  This Loop Header: Depth=2
                                        ;       Child Loop BB4_10818 Depth 3
                                        ;       Child Loop BB4_10845 Depth 3
                                        ;       Child Loop BB4_10872 Depth 3
	v_and_b32_e32 v2, 4, v30
	s_mov_b32 s17, -1
	s_mov_b32 s16, exec_lo
	s_delay_alu instid0(VALU_DEP_1)
	v_cmpx_ne_u32_e32 0, v2
	s_cbranch_execz .LBB4_10826
; %bb.10813:                            ;   in Loop: Header=BB4_10812 Depth=2
	v_add_co_u32 v8, vcc_lo, v24, 2
	v_add_co_ci_u32_e32 v9, vcc_lo, 0, v25, vcc_lo
	v_mov_b32_e32 v2, 1
	s_mov_b32 s17, exec_lo
	s_delay_alu instid0(VALU_DEP_2)
	v_cmpx_lt_u64_e64 v[34:35], v[8:9]
	s_cbranch_execz .LBB4_10825
; %bb.10814:                            ;   in Loop: Header=BB4_10812 Depth=2
	v_mov_b32_e32 v2, 0
	s_mov_b32 s31, 0
                                        ; implicit-def: $sgpr36
	s_branch .LBB4_10818
.LBB4_10815:                            ;   in Loop: Header=BB4_10818 Depth=3
	s_or_b32 exec_lo, exec_lo, s40
	v_mov_b32_e32 v10, 0
	s_or_not1_b32 s39, s39, exec_lo
.LBB4_10816:                            ;   in Loop: Header=BB4_10818 Depth=3
	s_or_b32 exec_lo, exec_lo, s38
	s_delay_alu instid0(VALU_DEP_1) | instskip(SKIP_2) | instid1(SALU_CYCLE_1)
	v_mov_b32_e32 v2, v10
	s_and_not1_b32 vcc_lo, s36, exec_lo
	s_and_b32 s36, s39, exec_lo
	s_or_b32 s36, vcc_lo, s36
.LBB4_10817:                            ;   in Loop: Header=BB4_10818 Depth=3
	s_or_b32 exec_lo, exec_lo, s37
	s_waitcnt vmcnt(0) lgkmcnt(0)
	v_cmp_ge_u64_e32 vcc_lo, v[34:35], v[8:9]
	s_xor_b32 s37, s36, -1
	s_delay_alu instid0(SALU_CYCLE_1) | instskip(NEXT) | instid1(SALU_CYCLE_1)
	s_or_b32 vcc_lo, s37, vcc_lo
	s_and_b32 vcc_lo, exec_lo, vcc_lo
	s_delay_alu instid0(SALU_CYCLE_1) | instskip(NEXT) | instid1(SALU_CYCLE_1)
	s_or_b32 s31, vcc_lo, s31
	s_and_not1_b32 exec_lo, exec_lo, s31
	s_cbranch_execz .LBB4_10824
.LBB4_10818:                            ;   Parent Loop BB4_51 Depth=1
                                        ;     Parent Loop BB4_10812 Depth=2
                                        ; =>    This Inner Loop Header: Depth=3
	s_sleep 1
	flat_load_b64 v[34:35], v[22:23] glc
	v_and_b32_e32 v10, 64, v30
	s_and_not1_b32 s36, s36, exec_lo
	s_mov_b32 s37, exec_lo
	s_delay_alu instid0(VALU_DEP_1)
	v_cmpx_eq_u32_e32 0, v10
	s_cbranch_execz .LBB4_10817
; %bb.10819:                            ;   in Loop: Header=BB4_10818 Depth=3
	v_add_nc_u32_e32 v10, 1, v2
	s_mov_b32 s39, -1
	s_mov_b32 s38, exec_lo
	v_cmpx_lt_i32_e32 0x270e, v2
	s_cbranch_execz .LBB4_10816
; %bb.10820:                            ;   in Loop: Header=BB4_10818 Depth=3
	s_cbranch_execnz .LBB4_11103
; %bb.10821:                            ;   in Loop: Header=BB4_10818 Depth=3
	ds_load_b64 v[10:11], v0
	s_mov_b32 s40, exec_lo
	s_waitcnt vmcnt(0) lgkmcnt(0)
	s_waitcnt_vscnt null, 0x0
	flat_load_b32 v2, v[10:11] glc
	s_waitcnt vmcnt(0) lgkmcnt(0)
	buffer_gl1_inv
	buffer_gl0_inv
	v_cmpx_ne_u32_e32 0, v2
	s_cbranch_execz .LBB4_10815
; %bb.10822:                            ;   in Loop: Header=BB4_10818 Depth=3
	ds_store_b32 v0, v2
	s_cbranch_execnz .LBB4_11185
; %bb.10823:                            ;   in Loop: Header=BB4_10818 Depth=3
	v_or_b32_e32 v30, 64, v30
	s_xor_b32 s39, exec_lo, -1
	s_branch .LBB4_10815
.LBB4_10824:                            ;   in Loop: Header=BB4_10812 Depth=2
	s_or_b32 exec_lo, exec_lo, s31
	v_and_b32_e32 v2, 4, v30
.LBB4_10825:                            ;   in Loop: Header=BB4_10812 Depth=2
	s_or_b32 exec_lo, exec_lo, s17
	s_delay_alu instid0(VALU_DEP_1)
	v_cmp_eq_u32_e32 vcc_lo, 0, v2
	;;#ASMSTART
	s_wakeup
	;;#ASMEND
	s_or_not1_b32 s17, vcc_lo, exec_lo
.LBB4_10826:                            ;   in Loop: Header=BB4_10812 Depth=2
	s_or_b32 exec_lo, exec_lo, s16
	s_xor_b32 s13, s13, -1
	s_delay_alu instid0(SALU_CYCLE_1) | instskip(NEXT) | instid1(SALU_CYCLE_1)
	s_and_b32 s13, exec_lo, s13
	s_or_b32 s15, s13, s15
	s_xor_b32 s13, s17, -1
	s_delay_alu instid0(SALU_CYCLE_1)
	s_and_saveexec_b32 s16, s13
	s_cbranch_execz .LBB4_10836
; %bb.10827:                            ;   in Loop: Header=BB4_10812 Depth=2
	v_and_b32_e32 v2, 0x100, v30
	s_mov_b32 s13, -1
                                        ; implicit-def: $vgpr8_vgpr9
	s_delay_alu instid0(VALU_DEP_1)
	v_cmp_ne_u32_e32 vcc_lo, 0, v2
	v_and_b32_e32 v2, 7, v24
	s_and_saveexec_b32 s17, vcc_lo
	s_cbranch_execz .LBB4_10831
; %bb.10828:                            ;   in Loop: Header=BB4_10812 Depth=2
	s_delay_alu instid0(VALU_DEP_1) | instskip(SKIP_4) | instid1(VALU_DEP_1)
	v_mad_u64_u32 v[10:11], null, v2, 24, v[6:7]
	flat_load_b32 v8, v[10:11]
	s_waitcnt vmcnt(0) lgkmcnt(0)
	v_cmp_ne_u32_e32 vcc_lo, 1, v8
	v_cmp_eq_u32_e64 s13, 1, v8
                                        ; implicit-def: $vgpr8_vgpr9
	s_and_saveexec_b32 s31, s13
	s_cbranch_execz .LBB4_10830
; %bb.10829:                            ;   in Loop: Header=BB4_10812 Depth=2
	flat_load_b32 v8, v[10:11] offset:4 glc
	s_waitcnt vmcnt(0) lgkmcnt(0)
	v_ashrrev_i32_e32 v9, 31, v8
.LBB4_10830:                            ;   in Loop: Header=BB4_10812 Depth=2
	s_or_b32 exec_lo, exec_lo, s31
	s_delay_alu instid0(SALU_CYCLE_1)
	s_or_not1_b32 s13, vcc_lo, exec_lo
.LBB4_10831:                            ;   in Loop: Header=BB4_10812 Depth=2
	s_or_b32 exec_lo, exec_lo, s17
	s_and_saveexec_b32 s17, s13
; %bb.10832:                            ;   in Loop: Header=BB4_10812 Depth=2
	v_mad_i64_i32 v[8:9], null, v2, v70, 0
; %bb.10833:                            ;   in Loop: Header=BB4_10812 Depth=2
	s_or_b32 exec_lo, exec_lo, s17
	s_delay_alu instid0(VALU_DEP_1) | instskip(SKIP_1) | instid1(VALU_DEP_3)
	v_add_co_u32 v8, vcc_lo, v26, v8
	v_and_b32_e32 v2, 0x2000, v30
	v_add_co_ci_u32_e32 v9, vcc_lo, v27, v9, vcc_lo
	s_mov_b32 s13, exec_lo
	ds_store_b64 v0, v[8:9] offset:720
	v_cmpx_ne_u32_e32 0, v2
	s_cbranch_execz .LBB4_10835
; %bb.10834:                            ;   in Loop: Header=BB4_10812 Depth=2
	ds_load_b64 v[8:9], v0 offset:584
	s_waitcnt lgkmcnt(0)
	v_add_co_u32 v8, vcc_lo, v8, 1
	v_add_co_ci_u32_e32 v9, vcc_lo, 0, v9, vcc_lo
	ds_store_b64 v0, v[8:9] offset:584
.LBB4_10835:                            ;   in Loop: Header=BB4_10812 Depth=2
	s_or_b32 exec_lo, exec_lo, s13
	v_add_co_u32 v24, vcc_lo, v24, 2
	v_add_co_ci_u32_e32 v25, vcc_lo, 0, v25, vcc_lo
.LBB4_10836:                            ;   in Loop: Header=BB4_10812 Depth=2
	s_or_b32 exec_lo, exec_lo, s16
	s_and_saveexec_b32 s13, s3
	s_cbranch_execz .LBB4_10858
; %bb.10837:                            ;   in Loop: Header=BB4_10812 Depth=2
	s_and_saveexec_b32 s16, s4
	s_delay_alu instid0(SALU_CYCLE_1)
	s_xor_b32 s16, exec_lo, s16
	s_cbranch_execz .LBB4_10855
; %bb.10838:                            ;   in Loop: Header=BB4_10812 Depth=2
	s_and_saveexec_b32 s17, s1
	s_cbranch_execz .LBB4_10854
; %bb.10839:                            ;   in Loop: Header=BB4_10812 Depth=2
	s_mov_b32 s36, exec_lo
	s_mov_b32 s31, exec_lo
	v_mbcnt_lo_u32_b32 v2, s36, 0
	s_waitcnt lgkmcnt(0)
	s_waitcnt_vscnt null, 0x0
	buffer_gl1_inv
	buffer_gl0_inv
	v_cmpx_eq_u32_e32 0, v2
	s_cbranch_execz .LBB4_10841
; %bb.10840:                            ;   in Loop: Header=BB4_10812 Depth=2
	s_bcnt1_i32_b32 vcc_lo, s36
	s_delay_alu instid0(SALU_CYCLE_1)
	v_mov_b32_e32 v2, vcc_lo
	ds_add_u64 v0, v[2:3]
	s_cbranch_execnz .LBB4_11217
.LBB4_10841:                            ;   in Loop: Header=BB4_10812 Depth=2
	s_or_b32 exec_lo, exec_lo, s31
	s_cbranch_execnz .LBB4_11195
; %bb.10842:                            ;   in Loop: Header=BB4_10812 Depth=2
	ds_load_b64 v[8:9], v0
	v_add_co_u32 v32, vcc_lo, v32, v81
	v_add_co_ci_u32_e32 v33, vcc_lo, 0, v33, vcc_lo
	s_mov_b32 s31, exec_lo
	s_waitcnt lgkmcnt(0)
	s_delay_alu instid0(VALU_DEP_1)
	v_cmpx_lt_u64_e64 v[8:9], v[32:33]
	s_cbranch_execz .LBB4_10853
; %bb.10843:                            ;   in Loop: Header=BB4_10812 Depth=2
	s_mov_b32 s36, 0
	s_mov_b32 s39, 0
                                        ; implicit-def: $sgpr37
                                        ; implicit-def: $sgpr38
	s_branch .LBB4_10845
.LBB4_10844:                            ;   in Loop: Header=BB4_10845 Depth=3
	s_or_b32 exec_lo, exec_lo, s41
	s_delay_alu instid0(SALU_CYCLE_1) | instskip(NEXT) | instid1(SALU_CYCLE_1)
	s_and_b32 vcc_lo, exec_lo, vcc_lo
	s_or_b32 s36, vcc_lo, s36
	s_and_not1_b32 vcc_lo, s37, exec_lo
	s_and_b32 s37, s38, exec_lo
	s_delay_alu instid0(SALU_CYCLE_1)
	s_or_b32 s37, vcc_lo, s37
	s_and_not1_b32 exec_lo, exec_lo, s36
	s_cbranch_execz .LBB4_10851
.LBB4_10845:                            ;   Parent Loop BB4_51 Depth=1
                                        ;     Parent Loop BB4_10812 Depth=2
                                        ; =>    This Inner Loop Header: Depth=3
	s_add_i32 s39, s39, 1
                                        ; implicit-def: $sgpr41
	s_delay_alu instid0(SALU_CYCLE_1) | instskip(SKIP_1) | instid1(SALU_CYCLE_1)
	s_cmpk_lg_i32 s39, 0x2710
	s_cselect_b32 s40, -1, 0
	s_and_b32 vcc_lo, exec_lo, s40
	s_cbranch_vccz .LBB4_10849
.LBB4_10846:                            ;   in Loop: Header=BB4_10845 Depth=3
	s_and_not1_b32 s38, s38, exec_lo
	s_and_b32 s41, s41, exec_lo
	s_mov_b32 vcc_lo, -1
	s_or_b32 s38, s38, s41
	s_and_saveexec_b32 s41, s40
	s_cbranch_execz .LBB4_10844
; %bb.10847:                            ;   in Loop: Header=BB4_10845 Depth=3
	s_sleep 1
	s_cbranch_execnz .LBB4_11271
; %bb.10848:                            ;   in Loop: Header=BB4_10845 Depth=3
	ds_load_b64 v[8:9], v0
	s_and_not1_b32 s38, s38, exec_lo
	s_waitcnt lgkmcnt(0)
	v_cmp_ge_u64_e32 vcc_lo, v[8:9], v[32:33]
	s_or_not1_b32 vcc_lo, vcc_lo, exec_lo
	s_branch .LBB4_10844
.LBB4_10849:                            ;   in Loop: Header=BB4_10845 Depth=3
	s_cbranch_execnz .LBB4_11291
; %bb.10850:                            ;   in Loop: Header=BB4_10845 Depth=3
	ds_load_b64 v[8:9], v0
	s_and_not1_b32 s40, s40, exec_lo
	s_mov_b32 s39, 0
	s_mov_b32 s41, -1
	s_waitcnt lgkmcnt(0)
	flat_load_b32 v2, v[8:9] glc
	s_waitcnt vmcnt(0) lgkmcnt(0)
	buffer_gl1_inv
	buffer_gl0_inv
	v_cmp_eq_u32_e32 vcc_lo, 0, v2
	s_and_b32 vcc_lo, vcc_lo, exec_lo
	s_delay_alu instid0(SALU_CYCLE_1)
	s_or_b32 s40, s40, vcc_lo
	s_branch .LBB4_10846
.LBB4_10851:                            ;   in Loop: Header=BB4_10812 Depth=2
	s_or_b32 exec_lo, exec_lo, s36
	s_and_saveexec_b32 vcc_lo, s37
	s_delay_alu instid0(SALU_CYCLE_1)
	s_xor_b32 vcc_lo, exec_lo, vcc_lo
	s_cbranch_execz .LBB4_10853
; %bb.10852:                            ;   in Loop: Header=BB4_10812 Depth=2
	ds_store_b32 v0, v118
	s_cbranch_execnz .LBB4_11421
.LBB4_10853:                            ;   in Loop: Header=BB4_10812 Depth=2
	s_or_b32 exec_lo, exec_lo, s31
	;;#ASMSTART
	s_wakeup
	;;#ASMEND
.LBB4_10854:                            ;   in Loop: Header=BB4_10812 Depth=2
	s_or_b32 exec_lo, exec_lo, s17
.LBB4_10855:                            ;   in Loop: Header=BB4_10812 Depth=2
	s_and_not1_saveexec_b32 s16, s16
	s_cbranch_execz .LBB4_10857
; %bb.10856:                            ;   in Loop: Header=BB4_10812 Depth=2
	s_waitcnt lgkmcnt(0)
	s_waitcnt_vscnt null, 0x0
	buffer_gl1_inv
	buffer_gl0_inv
	s_barrier
.LBB4_10857:                            ;   in Loop: Header=BB4_10812 Depth=2
	s_or_b32 exec_lo, exec_lo, s16
.LBB4_10858:                            ;   in Loop: Header=BB4_10812 Depth=2
	s_delay_alu instid0(SALU_CYCLE_1) | instskip(SKIP_1) | instid1(VALU_DEP_1)
	s_or_b32 exec_lo, exec_lo, s13
	v_sub_nc_u32_e32 v2, v12, v14
	v_min_i32_e32 v13, v13, v2
	s_and_saveexec_b32 s13, s7
	s_delay_alu instid0(SALU_CYCLE_1)
	s_xor_b32 s16, exec_lo, s13
	s_cbranch_execz .LBB4_10863
; %bb.10859:                            ;   in Loop: Header=BB4_10812 Depth=2
	s_cbranch_execnz .LBB4_11099
; %bb.10860:                            ;   in Loop: Header=BB4_10812 Depth=2
	ds_load_b32 v2, v0
	v_cmp_lt_i32_e32 vcc_lo, 0, v13
	s_waitcnt lgkmcnt(0)
	v_readfirstlane_b32 s13, v2
	v_and_b32_e32 v2, 16, v30
	s_delay_alu instid0(VALU_DEP_2) | instskip(NEXT) | instid1(VALU_DEP_1)
	s_cmp_eq_u32 s13, 0
	v_cmp_ne_u32_e64 s13, 0, v2
	s_cselect_b32 s17, -1, 0
	s_delay_alu instid0(SALU_CYCLE_1)
	s_and_b32 s17, vcc_lo, s17
	s_delay_alu instid0(VALU_DEP_1) | instid1(SALU_CYCLE_1)
	s_and_b32 s17, s13, s17
	s_delay_alu instid0(SALU_CYCLE_1)
	s_and_saveexec_b32 s13, s17
	s_cbranch_execz .LBB4_10862
; %bb.10861:                            ;   in Loop: Header=BB4_10812 Depth=2
	s_waitcnt_vscnt null, 0x0
	buffer_gl1_inv
	buffer_gl0_inv
.LBB4_10862:                            ;   in Loop: Header=BB4_10812 Depth=2
	s_or_b32 exec_lo, exec_lo, s13
.LBB4_10863:                            ;   in Loop: Header=BB4_10812 Depth=2
	s_and_not1_saveexec_b32 s13, s16
	s_cbranch_execz .LBB4_10885
; %bb.10864:                            ;   in Loop: Header=BB4_10812 Depth=2
	s_and_saveexec_b32 s16, s4
	s_delay_alu instid0(SALU_CYCLE_1)
	s_xor_b32 s16, exec_lo, s16
	s_cbranch_execz .LBB4_10882
; %bb.10865:                            ;   in Loop: Header=BB4_10812 Depth=2
	s_and_saveexec_b32 s17, s1
	s_cbranch_execz .LBB4_10881
; %bb.10866:                            ;   in Loop: Header=BB4_10812 Depth=2
	s_mov_b32 s36, exec_lo
	s_mov_b32 s31, exec_lo
	v_mbcnt_lo_u32_b32 v2, s36, 0
	;;#ASMSTART
	s_waitcnt lgkmcnt(0) vmcnt(0)
	;;#ASMEND
	s_delay_alu instid0(VALU_DEP_1)
	v_cmpx_eq_u32_e32 0, v2
	s_cbranch_execz .LBB4_10868
; %bb.10867:                            ;   in Loop: Header=BB4_10812 Depth=2
	s_bcnt1_i32_b32 vcc_lo, s36
	s_delay_alu instid0(SALU_CYCLE_1)
	v_mov_b32_e32 v2, vcc_lo
	ds_add_u64 v0, v[2:3]
	s_cbranch_execnz .LBB4_11243
.LBB4_10868:                            ;   in Loop: Header=BB4_10812 Depth=2
	s_or_b32 exec_lo, exec_lo, s31
	s_cbranch_execnz .LBB4_11215
; %bb.10869:                            ;   in Loop: Header=BB4_10812 Depth=2
	ds_load_b64 v[8:9], v0
	v_add_co_u32 v32, vcc_lo, v32, v81
	v_add_co_ci_u32_e32 v33, vcc_lo, 0, v33, vcc_lo
	s_mov_b32 s31, exec_lo
	s_waitcnt lgkmcnt(0)
	s_delay_alu instid0(VALU_DEP_1)
	v_cmpx_lt_u64_e64 v[8:9], v[32:33]
	s_cbranch_execz .LBB4_10880
; %bb.10870:                            ;   in Loop: Header=BB4_10812 Depth=2
	s_mov_b32 s36, 0
	s_mov_b32 s39, 0
                                        ; implicit-def: $sgpr37
                                        ; implicit-def: $sgpr38
	s_branch .LBB4_10872
.LBB4_10871:                            ;   in Loop: Header=BB4_10872 Depth=3
	s_or_b32 exec_lo, exec_lo, s41
	s_delay_alu instid0(SALU_CYCLE_1) | instskip(NEXT) | instid1(SALU_CYCLE_1)
	s_and_b32 vcc_lo, exec_lo, vcc_lo
	s_or_b32 s36, vcc_lo, s36
	s_and_not1_b32 vcc_lo, s37, exec_lo
	s_and_b32 s37, s38, exec_lo
	s_delay_alu instid0(SALU_CYCLE_1)
	s_or_b32 s37, vcc_lo, s37
	s_and_not1_b32 exec_lo, exec_lo, s36
	s_cbranch_execz .LBB4_10878
.LBB4_10872:                            ;   Parent Loop BB4_51 Depth=1
                                        ;     Parent Loop BB4_10812 Depth=2
                                        ; =>    This Inner Loop Header: Depth=3
	s_add_i32 s39, s39, 1
                                        ; implicit-def: $sgpr41
	s_delay_alu instid0(SALU_CYCLE_1) | instskip(SKIP_1) | instid1(SALU_CYCLE_1)
	s_cmpk_lg_i32 s39, 0x2710
	s_cselect_b32 s40, -1, 0
	s_and_b32 vcc_lo, exec_lo, s40
	s_cbranch_vccz .LBB4_10876
.LBB4_10873:                            ;   in Loop: Header=BB4_10872 Depth=3
	s_and_not1_b32 s38, s38, exec_lo
	s_and_b32 s41, s41, exec_lo
	s_mov_b32 vcc_lo, -1
	s_or_b32 s38, s38, s41
	s_and_saveexec_b32 s41, s40
	s_cbranch_execz .LBB4_10871
; %bb.10874:                            ;   in Loop: Header=BB4_10872 Depth=3
	s_sleep 1
	s_cbranch_execnz .LBB4_11303
; %bb.10875:                            ;   in Loop: Header=BB4_10872 Depth=3
	ds_load_b64 v[8:9], v0
	s_and_not1_b32 s38, s38, exec_lo
	s_waitcnt lgkmcnt(0)
	v_cmp_ge_u64_e32 vcc_lo, v[8:9], v[32:33]
	s_or_not1_b32 vcc_lo, vcc_lo, exec_lo
	s_branch .LBB4_10871
.LBB4_10876:                            ;   in Loop: Header=BB4_10872 Depth=3
	s_cbranch_execnz .LBB4_11321
; %bb.10877:                            ;   in Loop: Header=BB4_10872 Depth=3
	ds_load_b64 v[8:9], v0
	s_and_not1_b32 s40, s40, exec_lo
	s_mov_b32 s39, 0
	s_mov_b32 s41, -1
	s_waitcnt lgkmcnt(0)
	s_waitcnt_vscnt null, 0x0
	flat_load_b32 v2, v[8:9] glc
	s_waitcnt vmcnt(0) lgkmcnt(0)
	buffer_gl1_inv
	buffer_gl0_inv
	v_cmp_eq_u32_e32 vcc_lo, 0, v2
	s_and_b32 vcc_lo, vcc_lo, exec_lo
	s_delay_alu instid0(SALU_CYCLE_1)
	s_or_b32 s40, s40, vcc_lo
	s_branch .LBB4_10873
.LBB4_10878:                            ;   in Loop: Header=BB4_10812 Depth=2
	s_or_b32 exec_lo, exec_lo, s36
	s_and_saveexec_b32 vcc_lo, s37
	s_delay_alu instid0(SALU_CYCLE_1)
	s_xor_b32 vcc_lo, exec_lo, vcc_lo
	s_cbranch_execz .LBB4_10880
; %bb.10879:                            ;   in Loop: Header=BB4_10812 Depth=2
	ds_store_b32 v0, v118
	s_cbranch_execnz .LBB4_11431
.LBB4_10880:                            ;   in Loop: Header=BB4_10812 Depth=2
	s_or_b32 exec_lo, exec_lo, s31
	;;#ASMSTART
	s_wakeup
	;;#ASMEND
.LBB4_10881:                            ;   in Loop: Header=BB4_10812 Depth=2
	s_or_b32 exec_lo, exec_lo, s17
.LBB4_10882:                            ;   in Loop: Header=BB4_10812 Depth=2
	s_and_not1_saveexec_b32 s16, s16
	s_cbranch_execz .LBB4_10884
; %bb.10883:                            ;   in Loop: Header=BB4_10812 Depth=2
	;;#ASMSTART
	s_waitcnt lgkmcnt(0) vmcnt(0)
	;;#ASMEND
	s_waitcnt lgkmcnt(0)
	s_waitcnt_vscnt null, 0x0
	s_barrier
.LBB4_10884:                            ;   in Loop: Header=BB4_10812 Depth=2
	s_or_b32 exec_lo, exec_lo, s16
.LBB4_10885:                            ;   in Loop: Header=BB4_10812 Depth=2
	s_delay_alu instid0(SALU_CYCLE_1) | instskip(SKIP_2) | instid1(VALU_DEP_1)
	s_or_b32 exec_lo, exec_lo, s13
	v_and_b32_e32 v2, 32, v30
	s_mov_b32 s13, exec_lo
	v_cmpx_ne_u32_e32 0, v2
	s_cbranch_execz .LBB4_10887
; %bb.10886:                            ;   in Loop: Header=BB4_10812 Depth=2
	v_add_co_u32 v24, vcc_lo, v24, 2
	v_add_co_ci_u32_e32 v25, vcc_lo, 0, v25, vcc_lo
	s_waitcnt lgkmcnt(0)
	s_waitcnt_vscnt null, 0x0
	flat_store_b64 v[22:23], v[24:25]
.LBB4_10887:                            ;   in Loop: Header=BB4_10812 Depth=2
	s_or_b32 exec_lo, exec_lo, s13
	v_add_nc_u32_e32 v14, v13, v14
	s_mov_b32 s13, 0
	s_and_not1_b32 exec_lo, exec_lo, s15
	s_cbranch_execnz .LBB4_10812
; %bb.10888:                            ;   in Loop: Header=BB4_51 Depth=1
	s_or_b32 exec_lo, exec_lo, s15
.LBB4_10889:                            ;   in Loop: Header=BB4_51 Depth=1
	s_delay_alu instid0(SALU_CYCLE_1) | instskip(SKIP_4) | instid1(VALU_DEP_3)
	s_or_b32 exec_lo, exec_lo, s14
	v_add_co_u32 v38, vcc_lo, v38, v36
	v_add_co_ci_u32_e32 v39, vcc_lo, v39, v37, vcc_lo
	v_readlane_b32 s14, v122, 3
	v_readlane_b32 s31, v122, 1
	v_cmp_ge_i64_e32 vcc_lo, v[38:39], v[4:5]
	s_or_b32 s24, vcc_lo, s24
	s_delay_alu instid0(SALU_CYCLE_1)
	s_and_not1_b32 exec_lo, exec_lo, s24
	s_cbranch_execz .LBB4_10890
; %bb.11723:                            ;   in Loop: Header=BB4_51 Depth=1
	s_getpc_b64 s[48:49]
.Lpost_getpc270:
	s_add_u32 s48, s48, (.LBB4_51-.Lpost_getpc270)&4294967295
	s_addc_u32 s49, s49, (.LBB4_51-.Lpost_getpc270)>>32
	s_setpc_b64 s[48:49]
.LBB4_10890:
	s_or_b32 exec_lo, exec_lo, s24
.LBB4_10891:
	s_delay_alu instid0(SALU_CYCLE_1)
	s_or_b32 exec_lo, exec_lo, s20
; %bb.10892:
	v_and_b32_e32 v0, 0x800, v30
	s_mov_b32 s0, exec_lo
	s_delay_alu instid0(VALU_DEP_1)
	v_cmpx_eq_u32_e32 0, v0
	s_cbranch_execz .LBB4_11149
; %bb.10893:
	v_and_b32_e32 v0, 48, v30
	s_mov_b32 s1, exec_lo
	s_delay_alu instid0(VALU_DEP_1)
	v_cmpx_ne_u32_e32 0, v0
	s_cbranch_execz .LBB4_10895
; %bb.10894:
	flat_store_b64 v[20:21], v[24:25] offset:104
.LBB4_10895:
	s_or_b32 exec_lo, exec_lo, s1
	v_and_b32_e32 v0, 0x88, v30
	s_mov_b32 s1, exec_lo
	s_delay_alu instid0(VALU_DEP_1)
	v_cmpx_eq_u32_e32 0x88, v0
	s_cbranch_execz .LBB4_10945
; %bb.10896:
	v_add_nc_u32_e32 v0, 6, v24
	s_mov_b32 s2, 0
                                        ; implicit-def: $sgpr3
	s_delay_alu instid0(VALU_DEP_1) | instskip(NEXT) | instid1(VALU_DEP_1)
	v_and_b32_e32 v0, 7, v0
	v_mad_u64_u32 v[2:3], null, v0, 24, v[6:7]
	v_mov_b32_e32 v0, 0
	s_delay_alu instid0(VALU_DEP_2) | instskip(NEXT) | instid1(VALU_DEP_3)
	v_add_co_u32 v2, vcc_lo, v2, 8
	v_add_co_ci_u32_e32 v3, vcc_lo, 0, v3, vcc_lo
	s_branch .LBB4_10931
.LBB4_10897:
	s_trap 2
	s_sendmsg_rtn_b32 s0, sendmsg(MSG_RTN_GET_DOORBELL)
	s_mov_b32 ttmp2, m0
	s_waitcnt lgkmcnt(0)
	s_and_b32 s0, s0, 0x3ff
	s_delay_alu instid0(SALU_CYCLE_1) | instskip(NEXT) | instid1(SALU_CYCLE_1)
	s_bitset1_b32 s0, 10
	s_mov_b32 m0, s0
	s_sendmsg sendmsg(MSG_INTERRUPT)
	s_mov_b32 m0, ttmp2
.LBB4_10898:                            ; =>This Inner Loop Header: Depth=1
	s_sethalt 5
	s_branch .LBB4_10898
.LBB4_10899:
	v_bfe_u32 v9, v7, 8, 8
	v_not_b32_e32 v8, v8
	s_mov_b32 s1, exec_lo
                                        ; implicit-def: $vgpr14_vgpr15
                                        ; implicit-def: $vgpr16_vgpr17
                                        ; implicit-def: $vgpr4_vgpr5
	s_delay_alu instid0(VALU_DEP_2)
	v_cmpx_ne_u32_e64 v9, v6
	s_xor_b32 s1, exec_lo, s1
	s_cbranch_execz .LBB4_10901
; %bb.10900:
	s_clause 0x1
	flat_load_b128 v[9:12], v[2:3] offset:72
	flat_load_b64 v[4:5], v[2:3] offset:96
	v_add_nc_u32_e32 v6, v6, v8
                                        ; implicit-def: $vgpr8
	s_waitcnt vmcnt(0) lgkmcnt(0)
	v_lshrrev_b64 v[14:15], 12, v[4:5]
	v_dual_mov_b32 v4, v11 :: v_dual_mov_b32 v5, v12
	s_delay_alu instid0(VALU_DEP_3) | instskip(SKIP_2) | instid1(VALU_DEP_3)
	v_ashrrev_i32_e32 v7, 31, v6
	v_mad_u64_u32 v[16:17], null, v11, v6, v[9:10]
	v_mul_lo_u32 v6, v12, v6
                                        ; implicit-def: $vgpr9
	v_mul_lo_u32 v7, v11, v7
	s_delay_alu instid0(VALU_DEP_1)
	v_add3_u32 v17, v6, v17, v7
.LBB4_10901:
	s_and_not1_saveexec_b32 s1, s1
	s_cbranch_execz .LBB4_10903
; %bb.10902:
	s_clause 0x1
	flat_load_b128 v[10:13], v[2:3] offset:72
	flat_load_b128 v[4:7], v[2:3] offset:88
	s_waitcnt vmcnt(0) lgkmcnt(0)
	v_add_nc_u32_e32 v6, v9, v8
	s_delay_alu instid0(VALU_DEP_1) | instskip(NEXT) | instid1(VALU_DEP_1)
	v_ashrrev_i32_e32 v8, 31, v6
	v_mul_lo_u32 v8, v12, v8
	v_mad_u64_u32 v[16:17], null, v12, v6, v[10:11]
	v_mul_lo_u32 v6, v13, v6
	v_lshrrev_b32_e32 v14, 1, v7
	s_delay_alu instid0(VALU_DEP_2)
	v_add3_u32 v17, v6, v17, v8
.LBB4_10903:
	s_or_b32 exec_lo, exec_lo, s1
	s_and_not1_saveexec_b32 s0, s0
	s_cbranch_execnz .LBB4_10904
; %bb.11725:
	s_getpc_b64 s[48:49]
.Lpost_getpc271:
	s_add_u32 s48, s48, (.LBB4_3-.Lpost_getpc271)&4294967295
	s_addc_u32 s49, s49, (.LBB4_3-.Lpost_getpc271)>>32
	s_setpc_b64 s[48:49]
.LBB4_10904:
	s_clause 0x1
	flat_load_b64 v[6:7], v[2:3] offset:96
	flat_load_b64 v[4:5], v[2:3] offset:72
	v_mov_b32_e32 v16, 0
	v_mov_b32_e32 v17, 0
	s_waitcnt vmcnt(1) lgkmcnt(1)
	v_lshlrev_b64 v[14:15], 9, v[6:7]
	s_or_b32 exec_lo, exec_lo, s0
	s_cbranch_execnz .LBB4_10905
; %bb.11727:
	s_getpc_b64 s[48:49]
.Lpost_getpc272:
	s_add_u32 s48, s48, (.LBB4_4-.Lpost_getpc272)&4294967295
	s_addc_u32 s49, s49, (.LBB4_4-.Lpost_getpc272)>>32
	s_setpc_b64 s[48:49]
.LBB4_10905:
	s_trap 2
	s_sendmsg_rtn_b32 s0, sendmsg(MSG_RTN_GET_DOORBELL)
	s_mov_b32 ttmp2, m0
	s_waitcnt lgkmcnt(0)
	s_and_b32 s0, s0, 0x3ff
	s_delay_alu instid0(SALU_CYCLE_1) | instskip(NEXT) | instid1(SALU_CYCLE_1)
	s_bitset1_b32 s0, 10
	s_mov_b32 m0, s0
	s_sendmsg sendmsg(MSG_INTERRUPT)
	s_mov_b32 m0, ttmp2
.LBB4_10906:                            ; =>This Inner Loop Header: Depth=1
	s_sethalt 5
	s_branch .LBB4_10906
.LBB4_10907:
	s_trap 2
	s_sendmsg_rtn_b32 s0, sendmsg(MSG_RTN_GET_DOORBELL)
	s_mov_b32 ttmp2, m0
	s_waitcnt lgkmcnt(0)
	s_and_b32 s0, s0, 0x3ff
	s_delay_alu instid0(SALU_CYCLE_1) | instskip(NEXT) | instid1(SALU_CYCLE_1)
	s_bitset1_b32 s0, 10
	s_mov_b32 m0, s0
	s_sendmsg sendmsg(MSG_INTERRUPT)
	s_mov_b32 m0, ttmp2
.LBB4_10908:                            ; =>This Inner Loop Header: Depth=1
	s_sethalt 5
	s_branch .LBB4_10908
.LBB4_10909:
	s_trap 2
	s_sendmsg_rtn_b32 s0, sendmsg(MSG_RTN_GET_DOORBELL)
	s_mov_b32 ttmp2, m0
	s_waitcnt lgkmcnt(0)
	s_and_b32 s0, s0, 0x3ff
	s_delay_alu instid0(SALU_CYCLE_1) | instskip(NEXT) | instid1(SALU_CYCLE_1)
	s_bitset1_b32 s0, 10
	s_mov_b32 m0, s0
	s_sendmsg sendmsg(MSG_INTERRUPT)
	s_mov_b32 m0, ttmp2
.LBB4_10910:                            ; =>This Inner Loop Header: Depth=1
	s_sethalt 5
	s_branch .LBB4_10910
.LBB4_10911:
	s_trap 2
	s_sendmsg_rtn_b32 s0, sendmsg(MSG_RTN_GET_DOORBELL)
	s_mov_b32 ttmp2, m0
	s_waitcnt lgkmcnt(0)
	s_and_b32 s0, s0, 0x3ff
	s_delay_alu instid0(SALU_CYCLE_1) | instskip(NEXT) | instid1(SALU_CYCLE_1)
	s_bitset1_b32 s0, 10
	s_mov_b32 m0, s0
	s_sendmsg sendmsg(MSG_INTERRUPT)
	s_mov_b32 m0, ttmp2
.LBB4_10912:                            ; =>This Inner Loop Header: Depth=1
	s_sethalt 5
	s_branch .LBB4_10912
.LBB4_10913:
	s_trap 2
	s_sendmsg_rtn_b32 s0, sendmsg(MSG_RTN_GET_DOORBELL)
	s_mov_b32 ttmp2, m0
	s_waitcnt lgkmcnt(0)
	s_and_b32 s0, s0, 0x3ff
	s_delay_alu instid0(SALU_CYCLE_1) | instskip(NEXT) | instid1(SALU_CYCLE_1)
	s_bitset1_b32 s0, 10
	s_mov_b32 m0, s0
	s_sendmsg sendmsg(MSG_INTERRUPT)
	s_mov_b32 m0, ttmp2
.LBB4_10914:                            ; =>This Inner Loop Header: Depth=1
	s_sethalt 5
	s_branch .LBB4_10914
.LBB4_10915:
	s_trap 2
	s_sendmsg_rtn_b32 s0, sendmsg(MSG_RTN_GET_DOORBELL)
	s_mov_b32 ttmp2, m0
	s_waitcnt lgkmcnt(0)
	s_and_b32 s0, s0, 0x3ff
	s_delay_alu instid0(SALU_CYCLE_1) | instskip(NEXT) | instid1(SALU_CYCLE_1)
	s_bitset1_b32 s0, 10
	s_mov_b32 m0, s0
	s_sendmsg sendmsg(MSG_INTERRUPT)
	s_mov_b32 m0, ttmp2
.LBB4_10916:                            ; =>This Inner Loop Header: Depth=1
	s_sethalt 5
	s_branch .LBB4_10916
.LBB4_10917:
	s_trap 2
	s_sendmsg_rtn_b32 s0, sendmsg(MSG_RTN_GET_DOORBELL)
	s_mov_b32 ttmp2, m0
	s_waitcnt lgkmcnt(0)
	s_and_b32 s0, s0, 0x3ff
	s_delay_alu instid0(SALU_CYCLE_1) | instskip(NEXT) | instid1(SALU_CYCLE_1)
	s_bitset1_b32 s0, 10
	s_mov_b32 m0, s0
	s_sendmsg sendmsg(MSG_INTERRUPT)
	s_mov_b32 m0, ttmp2
.LBB4_10918:                            ; =>This Inner Loop Header: Depth=1
	s_sethalt 5
	s_branch .LBB4_10918
.LBB4_10919:
	s_trap 2
	s_sendmsg_rtn_b32 s0, sendmsg(MSG_RTN_GET_DOORBELL)
	s_mov_b32 ttmp2, m0
	s_waitcnt lgkmcnt(0)
	s_and_b32 s0, s0, 0x3ff
	s_delay_alu instid0(SALU_CYCLE_1) | instskip(NEXT) | instid1(SALU_CYCLE_1)
	s_bitset1_b32 s0, 10
	s_mov_b32 m0, s0
	s_sendmsg sendmsg(MSG_INTERRUPT)
	s_mov_b32 m0, ttmp2
.LBB4_10920:                            ; =>This Inner Loop Header: Depth=1
	s_sethalt 5
	s_branch .LBB4_10920
.LBB4_10921:
	s_trap 2
	s_sendmsg_rtn_b32 s0, sendmsg(MSG_RTN_GET_DOORBELL)
	s_mov_b32 ttmp2, m0
	s_waitcnt lgkmcnt(0)
	s_and_b32 s0, s0, 0x3ff
	s_delay_alu instid0(SALU_CYCLE_1) | instskip(NEXT) | instid1(SALU_CYCLE_1)
	s_bitset1_b32 s0, 10
	s_mov_b32 m0, s0
	s_sendmsg sendmsg(MSG_INTERRUPT)
	s_mov_b32 m0, ttmp2
.LBB4_10922:                            ; =>This Inner Loop Header: Depth=1
	s_sethalt 5
	s_branch .LBB4_10922
.LBB4_10923:
	s_trap 2
	s_sendmsg_rtn_b32 s0, sendmsg(MSG_RTN_GET_DOORBELL)
	s_mov_b32 ttmp2, m0
	s_waitcnt lgkmcnt(0)
	s_and_b32 s0, s0, 0x3ff
	s_delay_alu instid0(SALU_CYCLE_1) | instskip(NEXT) | instid1(SALU_CYCLE_1)
	s_bitset1_b32 s0, 10
	s_mov_b32 m0, s0
	s_sendmsg sendmsg(MSG_INTERRUPT)
	s_mov_b32 m0, ttmp2
.LBB4_10924:                            ; =>This Inner Loop Header: Depth=1
	s_sethalt 5
	s_branch .LBB4_10924
.LBB4_10925:
	s_trap 2
	s_sendmsg_rtn_b32 s0, sendmsg(MSG_RTN_GET_DOORBELL)
	s_mov_b32 ttmp2, m0
	s_waitcnt lgkmcnt(0)
	s_and_b32 s0, s0, 0x3ff
	s_delay_alu instid0(SALU_CYCLE_1) | instskip(NEXT) | instid1(SALU_CYCLE_1)
	s_bitset1_b32 s0, 10
	s_mov_b32 m0, s0
	s_sendmsg sendmsg(MSG_INTERRUPT)
	s_mov_b32 m0, ttmp2
.LBB4_10926:                            ; =>This Inner Loop Header: Depth=1
	s_sethalt 5
	s_branch .LBB4_10926
.LBB4_10927:                            ;   in Loop: Header=BB4_10931 Depth=1
	s_or_b32 exec_lo, exec_lo, s10
	v_mov_b32_e32 v4, 0
	s_or_not1_b32 s7, s7, exec_lo
.LBB4_10928:                            ;   in Loop: Header=BB4_10931 Depth=1
	s_or_b32 exec_lo, exec_lo, s6
	s_delay_alu instid0(VALU_DEP_1)
	v_mov_b32_e32 v0, v4
	s_and_b32 s6, s7, exec_lo
.LBB4_10929:                            ;   in Loop: Header=BB4_10931 Depth=1
	s_or_b32 exec_lo, exec_lo, s5
	s_xor_b32 s5, s6, -1
	s_and_not1_b32 s3, s3, exec_lo
	s_and_b32 s5, s5, exec_lo
	s_delay_alu instid0(SALU_CYCLE_1)
	s_or_b32 s3, s3, s5
.LBB4_10930:                            ;   in Loop: Header=BB4_10931 Depth=1
	s_or_b32 exec_lo, exec_lo, s4
	s_delay_alu instid0(SALU_CYCLE_1) | instskip(NEXT) | instid1(SALU_CYCLE_1)
	s_and_b32 s4, exec_lo, s3
	s_or_b32 s2, s4, s2
	s_delay_alu instid0(SALU_CYCLE_1)
	s_and_not1_b32 exec_lo, exec_lo, s2
	s_cbranch_execz .LBB4_10944
.LBB4_10931:                            ; =>This Inner Loop Header: Depth=1
	flat_load_b64 v[4:5], v[2:3] glc dlc
	s_waitcnt vmcnt(0)
	s_or_b32 s3, s3, exec_lo
	s_mov_b32 s4, exec_lo
	s_waitcnt lgkmcnt(0)
	v_cmpx_ne_u64_e32 -1, v[4:5]
	s_cbranch_execz .LBB4_10930
; %bb.10932:                            ;   in Loop: Header=BB4_10931 Depth=1
	v_and_b32_e32 v4, 64, v30
	s_mov_b32 s6, 0
	s_mov_b32 s5, exec_lo
	s_delay_alu instid0(VALU_DEP_1)
	v_cmpx_eq_u32_e32 0, v4
	s_cbranch_execz .LBB4_10929
; %bb.10933:                            ;   in Loop: Header=BB4_10931 Depth=1
	v_add_nc_u32_e32 v4, 1, v0
	s_mov_b32 s7, -1
	s_mov_b32 s6, exec_lo
	v_cmpx_lt_i32_e32 0x270e, v0
	s_cbranch_execz .LBB4_10928
; %bb.10934:                            ;   in Loop: Header=BB4_10931 Depth=1
	s_cbranch_execnz .LBB4_10938
; %bb.10935:                            ;   in Loop: Header=BB4_10931 Depth=1
	ds_load_b64 v[4:5], v0
	s_mov_b32 s10, exec_lo
	s_waitcnt lgkmcnt(0)
	s_waitcnt_vscnt null, 0x0
	flat_load_b32 v0, v[4:5] glc
	s_waitcnt vmcnt(0) lgkmcnt(0)
	buffer_gl1_inv
	buffer_gl0_inv
	v_cmpx_ne_u32_e32 0, v0
	s_cbranch_execz .LBB4_10927
; %bb.10936:                            ;   in Loop: Header=BB4_10931 Depth=1
	ds_store_b32 v0, v0
	s_cbranch_execnz .LBB4_10962
; %bb.10937:                            ;   in Loop: Header=BB4_10931 Depth=1
	v_or_b32_e32 v30, 64, v30
	s_xor_b32 s7, exec_lo, -1
	s_branch .LBB4_10927
.LBB4_10938:
	s_trap 2
	s_sendmsg_rtn_b32 s0, sendmsg(MSG_RTN_GET_DOORBELL)
	s_mov_b32 ttmp2, m0
	s_waitcnt lgkmcnt(0)
	s_and_b32 s0, s0, 0x3ff
	s_delay_alu instid0(SALU_CYCLE_1) | instskip(NEXT) | instid1(SALU_CYCLE_1)
	s_bitset1_b32 s0, 10
	s_mov_b32 m0, s0
	s_sendmsg sendmsg(MSG_INTERRUPT)
	s_mov_b32 m0, ttmp2
.LBB4_10939:                            ; =>This Inner Loop Header: Depth=1
	s_sethalt 5
	s_branch .LBB4_10939
.LBB4_10940:
	s_trap 2
	s_sendmsg_rtn_b32 s0, sendmsg(MSG_RTN_GET_DOORBELL)
	s_mov_b32 ttmp2, m0
	s_waitcnt lgkmcnt(0)
	s_and_b32 s0, s0, 0x3ff
	s_delay_alu instid0(SALU_CYCLE_1) | instskip(NEXT) | instid1(SALU_CYCLE_1)
	s_bitset1_b32 s0, 10
	s_mov_b32 m0, s0
	s_sendmsg sendmsg(MSG_INTERRUPT)
	s_mov_b32 m0, ttmp2
.LBB4_10941:                            ; =>This Inner Loop Header: Depth=1
	s_sethalt 5
	s_branch .LBB4_10941
.LBB4_10942:
	s_trap 2
	s_sendmsg_rtn_b32 s0, sendmsg(MSG_RTN_GET_DOORBELL)
	s_mov_b32 ttmp2, m0
	s_waitcnt lgkmcnt(0)
	s_and_b32 s0, s0, 0x3ff
	s_delay_alu instid0(SALU_CYCLE_1) | instskip(NEXT) | instid1(SALU_CYCLE_1)
	s_bitset1_b32 s0, 10
	s_mov_b32 m0, s0
	s_sendmsg sendmsg(MSG_INTERRUPT)
	s_mov_b32 m0, ttmp2
.LBB4_10943:                            ; =>This Inner Loop Header: Depth=1
	s_sethalt 5
	s_branch .LBB4_10943
.LBB4_10944:
	s_or_b32 exec_lo, exec_lo, s2
.LBB4_10945:
	s_delay_alu instid0(SALU_CYCLE_1) | instskip(SKIP_2) | instid1(VALU_DEP_1)
	s_or_b32 exec_lo, exec_lo, s1
	v_and_b32_e32 v0, 0x2000, v30
	s_mov_b32 s1, exec_lo
	v_cmpx_ne_u32_e32 0, v0
	s_cbranch_execz .LBB4_10948
; %bb.10946:
	s_cbranch_execnz .LBB4_10956
; %bb.10947:
	ds_load_b64 v[2:3], v0
	s_waitcnt lgkmcnt(0)
	flat_store_b64 v[18:19], v[2:3] offset:16
.LBB4_10948:
	s_or_b32 exec_lo, exec_lo, s1
	v_cmp_ne_u32_e32 vcc_lo, 32, v1
	s_and_b32 exec_lo, exec_lo, vcc_lo
	s_cbranch_execz .LBB4_11149
; %bb.10949:
	s_mov_b32 s1, exec_lo
	v_cmpx_ne_u32_e64 v71, v1
	s_xor_b32 s1, exec_lo, s1
	s_cbranch_execz .LBB4_11147
; %bb.10950:
	v_and_b32_e32 v0, 31, v31
	s_mov_b32 s2, exec_lo
	s_delay_alu instid0(VALU_DEP_1)
	v_cmpx_eq_u32_e32 0, v0
	s_cbranch_execz .LBB4_11146
; %bb.10951:
	s_mov_b32 s4, exec_lo
	s_mov_b32 s3, exec_lo
	v_mbcnt_lo_u32_b32 v0, s4, 0
	s_waitcnt lgkmcnt(0)
	s_waitcnt_vscnt null, 0x0
	buffer_gl1_inv
	buffer_gl0_inv
	v_cmpx_eq_u32_e32 0, v0
	s_cbranch_execz .LBB4_10953
; %bb.10952:
	s_bcnt1_i32_b32 s4, s4
	s_delay_alu instid0(SALU_CYCLE_1)
	v_dual_mov_b32 v3, 0 :: v_dual_mov_b32 v2, s4
	ds_add_u64 v0, v[2:3]
	s_cbranch_execnz .LBB4_10991
.LBB4_10953:
	s_or_b32 exec_lo, exec_lo, s3
	s_cbranch_execnz .LBB4_10970
; %bb.10954:
	v_ashrrev_i32_e32 v0, 31, v1
	s_mov_b32 s3, exec_lo
	s_delay_alu instid0(VALU_DEP_1) | instskip(NEXT) | instid1(VALU_DEP_1)
	v_lshrrev_b32_e32 v0, 27, v0
	v_add_nc_u32_e32 v0, v1, v0
	ds_load_b64 v[2:3], v0
	v_ashrrev_i32_e32 v0, 5, v0
	s_delay_alu instid0(VALU_DEP_1) | instskip(SKIP_1) | instid1(VALU_DEP_2)
	v_ashrrev_i32_e32 v1, 31, v0
	v_add_co_u32 v0, vcc_lo, v32, v0
	v_add_co_ci_u32_e32 v1, vcc_lo, v33, v1, vcc_lo
	s_waitcnt lgkmcnt(0)
	s_delay_alu instid0(VALU_DEP_1)
	v_cmpx_lt_u64_e64 v[2:3], v[0:1]
	s_cbranch_execz .LBB4_11145
; %bb.10955:
	s_mov_b32 s4, 0
	s_mov_b32 s7, 0
                                        ; implicit-def: $sgpr5
                                        ; implicit-def: $sgpr6
	s_branch .LBB4_10977
.LBB4_10956:
	s_trap 2
	s_sendmsg_rtn_b32 s0, sendmsg(MSG_RTN_GET_DOORBELL)
	s_mov_b32 ttmp2, m0
	s_waitcnt lgkmcnt(0)
	s_and_b32 s0, s0, 0x3ff
	s_delay_alu instid0(SALU_CYCLE_1) | instskip(NEXT) | instid1(SALU_CYCLE_1)
	s_bitset1_b32 s0, 10
	s_mov_b32 m0, s0
	s_sendmsg sendmsg(MSG_INTERRUPT)
	s_mov_b32 m0, ttmp2
.LBB4_10957:                            ; =>This Inner Loop Header: Depth=1
	s_sethalt 5
	s_branch .LBB4_10957
.LBB4_10958:
	s_trap 2
	s_sendmsg_rtn_b32 s0, sendmsg(MSG_RTN_GET_DOORBELL)
	s_mov_b32 ttmp2, m0
	s_waitcnt lgkmcnt(0)
	s_and_b32 s0, s0, 0x3ff
	s_delay_alu instid0(SALU_CYCLE_1) | instskip(NEXT) | instid1(SALU_CYCLE_1)
	s_bitset1_b32 s0, 10
	s_mov_b32 m0, s0
	s_sendmsg sendmsg(MSG_INTERRUPT)
	s_mov_b32 m0, ttmp2
.LBB4_10959:                            ; =>This Inner Loop Header: Depth=1
	s_sethalt 5
	s_branch .LBB4_10959
.LBB4_10960:
	s_trap 2
	s_sendmsg_rtn_b32 s0, sendmsg(MSG_RTN_GET_DOORBELL)
	s_mov_b32 ttmp2, m0
	s_waitcnt lgkmcnt(0)
	s_and_b32 s0, s0, 0x3ff
	s_delay_alu instid0(SALU_CYCLE_1) | instskip(NEXT) | instid1(SALU_CYCLE_1)
	s_bitset1_b32 s0, 10
	s_mov_b32 m0, s0
	s_sendmsg sendmsg(MSG_INTERRUPT)
	s_mov_b32 m0, ttmp2
.LBB4_10961:                            ; =>This Inner Loop Header: Depth=1
	s_sethalt 5
	s_branch .LBB4_10961
.LBB4_10962:
	s_trap 2
	s_sendmsg_rtn_b32 s0, sendmsg(MSG_RTN_GET_DOORBELL)
	s_mov_b32 ttmp2, m0
	s_waitcnt lgkmcnt(0)
	s_and_b32 s0, s0, 0x3ff
	s_delay_alu instid0(SALU_CYCLE_1) | instskip(NEXT) | instid1(SALU_CYCLE_1)
	s_bitset1_b32 s0, 10
	s_mov_b32 m0, s0
	s_sendmsg sendmsg(MSG_INTERRUPT)
	s_mov_b32 m0, ttmp2
.LBB4_10963:                            ; =>This Inner Loop Header: Depth=1
	s_sethalt 5
	s_branch .LBB4_10963
.LBB4_10964:
	s_trap 2
	s_sendmsg_rtn_b32 s0, sendmsg(MSG_RTN_GET_DOORBELL)
	s_mov_b32 ttmp2, m0
	s_waitcnt lgkmcnt(0)
	s_and_b32 s0, s0, 0x3ff
	s_delay_alu instid0(SALU_CYCLE_1) | instskip(NEXT) | instid1(SALU_CYCLE_1)
	s_bitset1_b32 s0, 10
	s_mov_b32 m0, s0
	s_sendmsg sendmsg(MSG_INTERRUPT)
	s_mov_b32 m0, ttmp2
.LBB4_10965:                            ; =>This Inner Loop Header: Depth=1
	s_sethalt 5
	s_branch .LBB4_10965
.LBB4_10966:
	s_trap 2
	s_sendmsg_rtn_b32 s0, sendmsg(MSG_RTN_GET_DOORBELL)
	s_mov_b32 ttmp2, m0
	s_waitcnt lgkmcnt(0)
	s_and_b32 s0, s0, 0x3ff
	s_delay_alu instid0(SALU_CYCLE_1) | instskip(NEXT) | instid1(SALU_CYCLE_1)
	s_bitset1_b32 s0, 10
	s_mov_b32 m0, s0
	s_sendmsg sendmsg(MSG_INTERRUPT)
	s_mov_b32 m0, ttmp2
.LBB4_10967:                            ; =>This Inner Loop Header: Depth=1
	s_sethalt 5
	s_branch .LBB4_10967
.LBB4_10968:
	s_trap 2
	s_sendmsg_rtn_b32 s0, sendmsg(MSG_RTN_GET_DOORBELL)
	s_mov_b32 ttmp2, m0
	s_waitcnt lgkmcnt(0)
	s_and_b32 s0, s0, 0x3ff
	s_delay_alu instid0(SALU_CYCLE_1) | instskip(NEXT) | instid1(SALU_CYCLE_1)
	s_bitset1_b32 s0, 10
	s_mov_b32 m0, s0
	s_sendmsg sendmsg(MSG_INTERRUPT)
	s_mov_b32 m0, ttmp2
.LBB4_10969:                            ; =>This Inner Loop Header: Depth=1
	s_sethalt 5
	s_branch .LBB4_10969
.LBB4_10970:
	s_trap 2
	s_sendmsg_rtn_b32 s0, sendmsg(MSG_RTN_GET_DOORBELL)
	s_mov_b32 ttmp2, m0
	s_waitcnt lgkmcnt(0)
	s_and_b32 s0, s0, 0x3ff
	s_delay_alu instid0(SALU_CYCLE_1) | instskip(NEXT) | instid1(SALU_CYCLE_1)
	s_bitset1_b32 s0, 10
	s_mov_b32 m0, s0
	s_sendmsg sendmsg(MSG_INTERRUPT)
	s_mov_b32 m0, ttmp2
.LBB4_10971:                            ; =>This Inner Loop Header: Depth=1
	s_sethalt 5
	s_branch .LBB4_10971
.LBB4_10972:
	s_trap 2
	s_sendmsg_rtn_b32 s0, sendmsg(MSG_RTN_GET_DOORBELL)
	s_mov_b32 ttmp2, m0
	s_waitcnt lgkmcnt(0)
	s_and_b32 s0, s0, 0x3ff
	s_delay_alu instid0(SALU_CYCLE_1) | instskip(NEXT) | instid1(SALU_CYCLE_1)
	s_bitset1_b32 s0, 10
	s_mov_b32 m0, s0
	s_sendmsg sendmsg(MSG_INTERRUPT)
	s_mov_b32 m0, ttmp2
.LBB4_10973:                            ; =>This Inner Loop Header: Depth=1
	s_sethalt 5
	s_branch .LBB4_10973
.LBB4_10974:
	s_trap 2
	s_sendmsg_rtn_b32 s0, sendmsg(MSG_RTN_GET_DOORBELL)
	s_mov_b32 ttmp2, m0
	s_waitcnt lgkmcnt(0)
	s_and_b32 s0, s0, 0x3ff
	s_delay_alu instid0(SALU_CYCLE_1) | instskip(NEXT) | instid1(SALU_CYCLE_1)
	s_bitset1_b32 s0, 10
	s_mov_b32 m0, s0
	s_sendmsg sendmsg(MSG_INTERRUPT)
	s_mov_b32 m0, ttmp2
.LBB4_10975:                            ; =>This Inner Loop Header: Depth=1
	s_sethalt 5
	s_branch .LBB4_10975
.LBB4_10976:                            ;   in Loop: Header=BB4_10977 Depth=1
	s_or_b32 exec_lo, exec_lo, s12
	s_delay_alu instid0(SALU_CYCLE_1) | instskip(NEXT) | instid1(SALU_CYCLE_1)
	s_and_b32 s10, exec_lo, s11
	s_or_b32 s4, s10, s4
	s_and_not1_b32 s5, s5, exec_lo
	s_and_b32 s10, s6, exec_lo
	s_delay_alu instid0(SALU_CYCLE_1)
	s_or_b32 s5, s5, s10
	s_and_not1_b32 exec_lo, exec_lo, s4
	s_cbranch_execz .LBB4_11143
.LBB4_10977:                            ; =>This Inner Loop Header: Depth=1
	s_add_i32 s7, s7, 1
                                        ; implicit-def: $sgpr11
	s_delay_alu instid0(SALU_CYCLE_1) | instskip(SKIP_1) | instid1(SALU_CYCLE_1)
	s_cmpk_lg_i32 s7, 0x2710
	s_cselect_b32 s10, -1, 0
	s_and_b32 vcc_lo, exec_lo, s10
	s_cbranch_vccz .LBB4_10981
.LBB4_10978:                            ;   in Loop: Header=BB4_10977 Depth=1
	s_and_not1_b32 s6, s6, exec_lo
	s_and_b32 s12, s11, exec_lo
	s_mov_b32 s11, -1
	s_or_b32 s6, s6, s12
	s_and_saveexec_b32 s12, s10
	s_cbranch_execz .LBB4_10976
; %bb.10979:                            ;   in Loop: Header=BB4_10977 Depth=1
	s_sleep 1
	s_cbranch_execnz .LBB4_11029
; %bb.10980:                            ;   in Loop: Header=BB4_10977 Depth=1
	ds_load_b64 v[2:3], v0
	s_and_not1_b32 s6, s6, exec_lo
	s_waitcnt lgkmcnt(0)
	v_cmp_ge_u64_e32 vcc_lo, v[2:3], v[0:1]
	s_or_not1_b32 s11, vcc_lo, exec_lo
	s_branch .LBB4_10976
.LBB4_10981:                            ;   in Loop: Header=BB4_10977 Depth=1
	s_cbranch_execnz .LBB4_11031
; %bb.10982:                            ;   in Loop: Header=BB4_10977 Depth=1
	ds_load_b64 v[2:3], v0
	s_and_not1_b32 s10, s10, exec_lo
	s_mov_b32 s7, 0
	s_mov_b32 s11, -1
	s_waitcnt lgkmcnt(0)
	flat_load_b32 v2, v[2:3] glc
	s_waitcnt vmcnt(0) lgkmcnt(0)
	buffer_gl1_inv
	buffer_gl0_inv
	v_cmp_eq_u32_e32 vcc_lo, 0, v2
	s_and_b32 s12, vcc_lo, exec_lo
	s_delay_alu instid0(SALU_CYCLE_1)
	s_or_b32 s10, s10, s12
	s_branch .LBB4_10978
.LBB4_10983:
	s_trap 2
	s_sendmsg_rtn_b32 s0, sendmsg(MSG_RTN_GET_DOORBELL)
	s_mov_b32 ttmp2, m0
	s_waitcnt lgkmcnt(0)
	s_and_b32 s0, s0, 0x3ff
	s_delay_alu instid0(SALU_CYCLE_1) | instskip(NEXT) | instid1(SALU_CYCLE_1)
	s_bitset1_b32 s0, 10
	s_mov_b32 m0, s0
	s_sendmsg sendmsg(MSG_INTERRUPT)
	s_mov_b32 m0, ttmp2
.LBB4_10984:                            ; =>This Inner Loop Header: Depth=1
	s_sethalt 5
	s_branch .LBB4_10984
.LBB4_10985:
	s_trap 2
	s_sendmsg_rtn_b32 s0, sendmsg(MSG_RTN_GET_DOORBELL)
	s_mov_b32 ttmp2, m0
	s_waitcnt lgkmcnt(0)
	s_and_b32 s0, s0, 0x3ff
	s_delay_alu instid0(SALU_CYCLE_1) | instskip(NEXT) | instid1(SALU_CYCLE_1)
	s_bitset1_b32 s0, 10
	s_mov_b32 m0, s0
	s_sendmsg sendmsg(MSG_INTERRUPT)
	s_mov_b32 m0, ttmp2
.LBB4_10986:                            ; =>This Inner Loop Header: Depth=1
	s_sethalt 5
	s_branch .LBB4_10986
.LBB4_10987:
	s_trap 2
	s_sendmsg_rtn_b32 s0, sendmsg(MSG_RTN_GET_DOORBELL)
	s_mov_b32 ttmp2, m0
	s_waitcnt lgkmcnt(0)
	s_and_b32 s0, s0, 0x3ff
	s_delay_alu instid0(SALU_CYCLE_1) | instskip(NEXT) | instid1(SALU_CYCLE_1)
	s_bitset1_b32 s0, 10
	s_mov_b32 m0, s0
	s_sendmsg sendmsg(MSG_INTERRUPT)
	s_mov_b32 m0, ttmp2
.LBB4_10988:                            ; =>This Inner Loop Header: Depth=1
	s_sethalt 5
	s_branch .LBB4_10988
.LBB4_10989:
	s_trap 2
	s_sendmsg_rtn_b32 s0, sendmsg(MSG_RTN_GET_DOORBELL)
	s_mov_b32 ttmp2, m0
	s_waitcnt lgkmcnt(0)
	s_and_b32 s0, s0, 0x3ff
	s_delay_alu instid0(SALU_CYCLE_1) | instskip(NEXT) | instid1(SALU_CYCLE_1)
	s_bitset1_b32 s0, 10
	s_mov_b32 m0, s0
	s_sendmsg sendmsg(MSG_INTERRUPT)
	s_mov_b32 m0, ttmp2
.LBB4_10990:                            ; =>This Inner Loop Header: Depth=1
	s_sethalt 5
	s_branch .LBB4_10990
.LBB4_10991:
	s_trap 2
	s_sendmsg_rtn_b32 s0, sendmsg(MSG_RTN_GET_DOORBELL)
	s_mov_b32 ttmp2, m0
	s_waitcnt lgkmcnt(0)
	s_and_b32 s0, s0, 0x3ff
	s_delay_alu instid0(SALU_CYCLE_1) | instskip(NEXT) | instid1(SALU_CYCLE_1)
	s_bitset1_b32 s0, 10
	s_mov_b32 m0, s0
	s_sendmsg sendmsg(MSG_INTERRUPT)
	s_mov_b32 m0, ttmp2
.LBB4_10992:                            ; =>This Inner Loop Header: Depth=1
	s_sethalt 5
	s_branch .LBB4_10992
.LBB4_10993:
	s_trap 2
	s_sendmsg_rtn_b32 s0, sendmsg(MSG_RTN_GET_DOORBELL)
	s_mov_b32 ttmp2, m0
	s_waitcnt lgkmcnt(0)
	s_and_b32 s0, s0, 0x3ff
	s_delay_alu instid0(SALU_CYCLE_1) | instskip(NEXT) | instid1(SALU_CYCLE_1)
	s_bitset1_b32 s0, 10
	s_mov_b32 m0, s0
	s_sendmsg sendmsg(MSG_INTERRUPT)
	s_mov_b32 m0, ttmp2
.LBB4_10994:                            ; =>This Inner Loop Header: Depth=1
	s_sethalt 5
	s_branch .LBB4_10994
.LBB4_10995:
	s_trap 2
	s_sendmsg_rtn_b32 s0, sendmsg(MSG_RTN_GET_DOORBELL)
	s_mov_b32 ttmp2, m0
	s_waitcnt lgkmcnt(0)
	s_and_b32 s0, s0, 0x3ff
	s_delay_alu instid0(SALU_CYCLE_1) | instskip(NEXT) | instid1(SALU_CYCLE_1)
	s_bitset1_b32 s0, 10
	s_mov_b32 m0, s0
	s_sendmsg sendmsg(MSG_INTERRUPT)
	s_mov_b32 m0, ttmp2
.LBB4_10996:                            ; =>This Inner Loop Header: Depth=1
	s_sethalt 5
	s_branch .LBB4_10996
.LBB4_10997:
	s_trap 2
	s_sendmsg_rtn_b32 s0, sendmsg(MSG_RTN_GET_DOORBELL)
	s_mov_b32 ttmp2, m0
	s_waitcnt lgkmcnt(0)
	s_and_b32 s0, s0, 0x3ff
	s_delay_alu instid0(SALU_CYCLE_1) | instskip(NEXT) | instid1(SALU_CYCLE_1)
	s_bitset1_b32 s0, 10
	s_mov_b32 m0, s0
	s_sendmsg sendmsg(MSG_INTERRUPT)
	s_mov_b32 m0, ttmp2
.LBB4_10998:                            ; =>This Inner Loop Header: Depth=1
	s_sethalt 5
	s_branch .LBB4_10998
.LBB4_10999:
	s_trap 2
	s_sendmsg_rtn_b32 s0, sendmsg(MSG_RTN_GET_DOORBELL)
	s_mov_b32 ttmp2, m0
	s_waitcnt lgkmcnt(0)
	s_and_b32 s0, s0, 0x3ff
	s_delay_alu instid0(SALU_CYCLE_1) | instskip(NEXT) | instid1(SALU_CYCLE_1)
	s_bitset1_b32 s0, 10
	s_mov_b32 m0, s0
	s_sendmsg sendmsg(MSG_INTERRUPT)
	s_mov_b32 m0, ttmp2
.LBB4_11000:                            ; =>This Inner Loop Header: Depth=1
	s_sethalt 5
	s_branch .LBB4_11000
.LBB4_11001:
	s_trap 2
	s_sendmsg_rtn_b32 s0, sendmsg(MSG_RTN_GET_DOORBELL)
	s_mov_b32 ttmp2, m0
	s_waitcnt lgkmcnt(0)
	s_and_b32 s0, s0, 0x3ff
	s_delay_alu instid0(SALU_CYCLE_1) | instskip(NEXT) | instid1(SALU_CYCLE_1)
	s_bitset1_b32 s0, 10
	s_mov_b32 m0, s0
	s_sendmsg sendmsg(MSG_INTERRUPT)
	s_mov_b32 m0, ttmp2
.LBB4_11002:                            ; =>This Inner Loop Header: Depth=1
	s_sethalt 5
	s_branch .LBB4_11002
.LBB4_11003:
	s_trap 2
	s_sendmsg_rtn_b32 s0, sendmsg(MSG_RTN_GET_DOORBELL)
	s_mov_b32 ttmp2, m0
	s_waitcnt lgkmcnt(0)
	s_and_b32 s0, s0, 0x3ff
	s_delay_alu instid0(SALU_CYCLE_1) | instskip(NEXT) | instid1(SALU_CYCLE_1)
	s_bitset1_b32 s0, 10
	s_mov_b32 m0, s0
	s_sendmsg sendmsg(MSG_INTERRUPT)
	s_mov_b32 m0, ttmp2
.LBB4_11004:                            ; =>This Inner Loop Header: Depth=1
	s_sethalt 5
	s_branch .LBB4_11004
.LBB4_11005:
	s_trap 2
	s_sendmsg_rtn_b32 s0, sendmsg(MSG_RTN_GET_DOORBELL)
	s_mov_b32 ttmp2, m0
	s_waitcnt lgkmcnt(0)
	s_and_b32 s0, s0, 0x3ff
	s_delay_alu instid0(SALU_CYCLE_1) | instskip(NEXT) | instid1(SALU_CYCLE_1)
	s_bitset1_b32 s0, 10
	s_mov_b32 m0, s0
	s_sendmsg sendmsg(MSG_INTERRUPT)
	s_mov_b32 m0, ttmp2
.LBB4_11006:                            ; =>This Inner Loop Header: Depth=1
	s_sethalt 5
	s_branch .LBB4_11006
.LBB4_11007:
	s_trap 2
	s_sendmsg_rtn_b32 s0, sendmsg(MSG_RTN_GET_DOORBELL)
	s_mov_b32 ttmp2, m0
	s_waitcnt lgkmcnt(0)
	s_and_b32 s0, s0, 0x3ff
	s_delay_alu instid0(SALU_CYCLE_1) | instskip(NEXT) | instid1(SALU_CYCLE_1)
	s_bitset1_b32 s0, 10
	s_mov_b32 m0, s0
	s_sendmsg sendmsg(MSG_INTERRUPT)
	s_mov_b32 m0, ttmp2
.LBB4_11008:                            ; =>This Inner Loop Header: Depth=1
	s_sethalt 5
	s_branch .LBB4_11008
.LBB4_11009:
	s_trap 2
	s_sendmsg_rtn_b32 s0, sendmsg(MSG_RTN_GET_DOORBELL)
	s_mov_b32 ttmp2, m0
	s_waitcnt lgkmcnt(0)
	s_and_b32 s0, s0, 0x3ff
	s_delay_alu instid0(SALU_CYCLE_1) | instskip(NEXT) | instid1(SALU_CYCLE_1)
	s_bitset1_b32 s0, 10
	s_mov_b32 m0, s0
	s_sendmsg sendmsg(MSG_INTERRUPT)
	s_mov_b32 m0, ttmp2
.LBB4_11010:                            ; =>This Inner Loop Header: Depth=1
	s_sethalt 5
	s_branch .LBB4_11010
.LBB4_11011:
	s_trap 2
	s_sendmsg_rtn_b32 s0, sendmsg(MSG_RTN_GET_DOORBELL)
	s_mov_b32 ttmp2, m0
	s_waitcnt lgkmcnt(0)
	s_and_b32 s0, s0, 0x3ff
	s_delay_alu instid0(SALU_CYCLE_1) | instskip(NEXT) | instid1(SALU_CYCLE_1)
	s_bitset1_b32 s0, 10
	s_mov_b32 m0, s0
	s_sendmsg sendmsg(MSG_INTERRUPT)
	s_mov_b32 m0, ttmp2
.LBB4_11012:                            ; =>This Inner Loop Header: Depth=1
	s_sethalt 5
	s_branch .LBB4_11012
.LBB4_11013:
	s_trap 2
	s_sendmsg_rtn_b32 s0, sendmsg(MSG_RTN_GET_DOORBELL)
	s_mov_b32 ttmp2, m0
	s_waitcnt lgkmcnt(0)
	s_and_b32 s0, s0, 0x3ff
	s_delay_alu instid0(SALU_CYCLE_1) | instskip(NEXT) | instid1(SALU_CYCLE_1)
	s_bitset1_b32 s0, 10
	s_mov_b32 m0, s0
	s_sendmsg sendmsg(MSG_INTERRUPT)
	s_mov_b32 m0, ttmp2
.LBB4_11014:                            ; =>This Inner Loop Header: Depth=1
	s_sethalt 5
	s_branch .LBB4_11014
.LBB4_11015:
	s_trap 2
	s_sendmsg_rtn_b32 s0, sendmsg(MSG_RTN_GET_DOORBELL)
	s_mov_b32 ttmp2, m0
	s_waitcnt lgkmcnt(0)
	s_and_b32 s0, s0, 0x3ff
	s_delay_alu instid0(SALU_CYCLE_1) | instskip(NEXT) | instid1(SALU_CYCLE_1)
	s_bitset1_b32 s0, 10
	s_mov_b32 m0, s0
	s_sendmsg sendmsg(MSG_INTERRUPT)
	s_mov_b32 m0, ttmp2
.LBB4_11016:                            ; =>This Inner Loop Header: Depth=1
	s_sethalt 5
	s_branch .LBB4_11016
.LBB4_11017:
	s_trap 2
	s_sendmsg_rtn_b32 s0, sendmsg(MSG_RTN_GET_DOORBELL)
	s_mov_b32 ttmp2, m0
	s_waitcnt lgkmcnt(0)
	s_and_b32 s0, s0, 0x3ff
	s_delay_alu instid0(SALU_CYCLE_1) | instskip(NEXT) | instid1(SALU_CYCLE_1)
	s_bitset1_b32 s0, 10
	s_mov_b32 m0, s0
	s_sendmsg sendmsg(MSG_INTERRUPT)
	s_mov_b32 m0, ttmp2
.LBB4_11018:                            ; =>This Inner Loop Header: Depth=1
	s_sethalt 5
	s_branch .LBB4_11018
.LBB4_11019:
	s_trap 2
	s_sendmsg_rtn_b32 s0, sendmsg(MSG_RTN_GET_DOORBELL)
	s_mov_b32 ttmp2, m0
	s_waitcnt lgkmcnt(0)
	s_and_b32 s0, s0, 0x3ff
	s_delay_alu instid0(SALU_CYCLE_1) | instskip(NEXT) | instid1(SALU_CYCLE_1)
	s_bitset1_b32 s0, 10
	s_mov_b32 m0, s0
	s_sendmsg sendmsg(MSG_INTERRUPT)
	s_mov_b32 m0, ttmp2
.LBB4_11020:                            ; =>This Inner Loop Header: Depth=1
	s_sethalt 5
	s_branch .LBB4_11020
.LBB4_11021:
	s_trap 2
	s_sendmsg_rtn_b32 s0, sendmsg(MSG_RTN_GET_DOORBELL)
	s_mov_b32 ttmp2, m0
	s_waitcnt lgkmcnt(0)
	s_and_b32 s0, s0, 0x3ff
	s_delay_alu instid0(SALU_CYCLE_1) | instskip(NEXT) | instid1(SALU_CYCLE_1)
	s_bitset1_b32 s0, 10
	s_mov_b32 m0, s0
	s_sendmsg sendmsg(MSG_INTERRUPT)
	s_mov_b32 m0, ttmp2
.LBB4_11022:                            ; =>This Inner Loop Header: Depth=1
	s_sethalt 5
	s_branch .LBB4_11022
.LBB4_11023:
	s_trap 2
	s_sendmsg_rtn_b32 s0, sendmsg(MSG_RTN_GET_DOORBELL)
	s_mov_b32 ttmp2, m0
	s_waitcnt lgkmcnt(0)
	s_and_b32 s0, s0, 0x3ff
	s_delay_alu instid0(SALU_CYCLE_1) | instskip(NEXT) | instid1(SALU_CYCLE_1)
	s_bitset1_b32 s0, 10
	s_mov_b32 m0, s0
	s_sendmsg sendmsg(MSG_INTERRUPT)
	s_mov_b32 m0, ttmp2
.LBB4_11024:                            ; =>This Inner Loop Header: Depth=1
	s_sethalt 5
	s_branch .LBB4_11024
.LBB4_11025:
	s_trap 2
	s_sendmsg_rtn_b32 s0, sendmsg(MSG_RTN_GET_DOORBELL)
	s_mov_b32 ttmp2, m0
	s_waitcnt lgkmcnt(0)
	s_and_b32 s0, s0, 0x3ff
	s_delay_alu instid0(SALU_CYCLE_1) | instskip(NEXT) | instid1(SALU_CYCLE_1)
	s_bitset1_b32 s0, 10
	s_mov_b32 m0, s0
	s_sendmsg sendmsg(MSG_INTERRUPT)
	s_mov_b32 m0, ttmp2
.LBB4_11026:                            ; =>This Inner Loop Header: Depth=1
	s_sethalt 5
	s_branch .LBB4_11026
.LBB4_11027:
	s_trap 2
	s_sendmsg_rtn_b32 s0, sendmsg(MSG_RTN_GET_DOORBELL)
	s_mov_b32 ttmp2, m0
	s_waitcnt lgkmcnt(0)
	s_and_b32 s0, s0, 0x3ff
	s_delay_alu instid0(SALU_CYCLE_1) | instskip(NEXT) | instid1(SALU_CYCLE_1)
	s_bitset1_b32 s0, 10
	s_mov_b32 m0, s0
	s_sendmsg sendmsg(MSG_INTERRUPT)
	s_mov_b32 m0, ttmp2
.LBB4_11028:                            ; =>This Inner Loop Header: Depth=1
	s_sethalt 5
	s_branch .LBB4_11028
.LBB4_11029:
	s_trap 2
	s_sendmsg_rtn_b32 s0, sendmsg(MSG_RTN_GET_DOORBELL)
	s_mov_b32 ttmp2, m0
	s_waitcnt lgkmcnt(0)
	s_and_b32 s0, s0, 0x3ff
	s_delay_alu instid0(SALU_CYCLE_1) | instskip(NEXT) | instid1(SALU_CYCLE_1)
	s_bitset1_b32 s0, 10
	s_mov_b32 m0, s0
	s_sendmsg sendmsg(MSG_INTERRUPT)
	s_mov_b32 m0, ttmp2
.LBB4_11030:                            ; =>This Inner Loop Header: Depth=1
	s_sethalt 5
	s_branch .LBB4_11030
.LBB4_11031:
	s_trap 2
	s_sendmsg_rtn_b32 s0, sendmsg(MSG_RTN_GET_DOORBELL)
	s_mov_b32 ttmp2, m0
	s_waitcnt lgkmcnt(0)
	s_and_b32 s0, s0, 0x3ff
	s_delay_alu instid0(SALU_CYCLE_1) | instskip(NEXT) | instid1(SALU_CYCLE_1)
	s_bitset1_b32 s0, 10
	s_mov_b32 m0, s0
	s_sendmsg sendmsg(MSG_INTERRUPT)
	s_mov_b32 m0, ttmp2
.LBB4_11032:                            ; =>This Inner Loop Header: Depth=1
	s_sethalt 5
	s_branch .LBB4_11032
.LBB4_11033:
	s_trap 2
	s_sendmsg_rtn_b32 s0, sendmsg(MSG_RTN_GET_DOORBELL)
	s_mov_b32 ttmp2, m0
	s_waitcnt lgkmcnt(0)
	s_and_b32 s0, s0, 0x3ff
	s_delay_alu instid0(SALU_CYCLE_1) | instskip(NEXT) | instid1(SALU_CYCLE_1)
	s_bitset1_b32 s0, 10
	s_mov_b32 m0, s0
	s_sendmsg sendmsg(MSG_INTERRUPT)
	s_mov_b32 m0, ttmp2
.LBB4_11034:                            ; =>This Inner Loop Header: Depth=1
	s_sethalt 5
	s_branch .LBB4_11034
.LBB4_11035:
	s_trap 2
	s_sendmsg_rtn_b32 s0, sendmsg(MSG_RTN_GET_DOORBELL)
	s_mov_b32 ttmp2, m0
	s_waitcnt lgkmcnt(0)
	s_and_b32 s0, s0, 0x3ff
	s_delay_alu instid0(SALU_CYCLE_1) | instskip(NEXT) | instid1(SALU_CYCLE_1)
	s_bitset1_b32 s0, 10
	s_mov_b32 m0, s0
	s_sendmsg sendmsg(MSG_INTERRUPT)
	s_mov_b32 m0, ttmp2
.LBB4_11036:                            ; =>This Inner Loop Header: Depth=1
	s_sethalt 5
	s_branch .LBB4_11036
.LBB4_11037:
	s_trap 2
	s_sendmsg_rtn_b32 s0, sendmsg(MSG_RTN_GET_DOORBELL)
	s_mov_b32 ttmp2, m0
	s_waitcnt lgkmcnt(0)
	s_and_b32 s0, s0, 0x3ff
	s_delay_alu instid0(SALU_CYCLE_1) | instskip(NEXT) | instid1(SALU_CYCLE_1)
	s_bitset1_b32 s0, 10
	s_mov_b32 m0, s0
	s_sendmsg sendmsg(MSG_INTERRUPT)
	s_mov_b32 m0, ttmp2
.LBB4_11038:                            ; =>This Inner Loop Header: Depth=1
	s_sethalt 5
	s_branch .LBB4_11038
.LBB4_11039:
	s_trap 2
	s_sendmsg_rtn_b32 s0, sendmsg(MSG_RTN_GET_DOORBELL)
	s_mov_b32 ttmp2, m0
	s_waitcnt lgkmcnt(0)
	s_and_b32 s0, s0, 0x3ff
	s_delay_alu instid0(SALU_CYCLE_1) | instskip(NEXT) | instid1(SALU_CYCLE_1)
	s_bitset1_b32 s0, 10
	s_mov_b32 m0, s0
	s_sendmsg sendmsg(MSG_INTERRUPT)
	s_mov_b32 m0, ttmp2
.LBB4_11040:                            ; =>This Inner Loop Header: Depth=1
	s_sethalt 5
	s_branch .LBB4_11040
.LBB4_11041:
	s_trap 2
	s_sendmsg_rtn_b32 s0, sendmsg(MSG_RTN_GET_DOORBELL)
	s_mov_b32 ttmp2, m0
	s_waitcnt lgkmcnt(0)
	s_and_b32 s0, s0, 0x3ff
	s_delay_alu instid0(SALU_CYCLE_1) | instskip(NEXT) | instid1(SALU_CYCLE_1)
	s_bitset1_b32 s0, 10
	s_mov_b32 m0, s0
	s_sendmsg sendmsg(MSG_INTERRUPT)
	s_mov_b32 m0, ttmp2
.LBB4_11042:                            ; =>This Inner Loop Header: Depth=1
	s_sethalt 5
	s_branch .LBB4_11042
.LBB4_11043:
	s_trap 2
	s_sendmsg_rtn_b32 s0, sendmsg(MSG_RTN_GET_DOORBELL)
	s_mov_b32 ttmp2, m0
	s_waitcnt lgkmcnt(0)
	s_and_b32 s0, s0, 0x3ff
	s_delay_alu instid0(SALU_CYCLE_1) | instskip(NEXT) | instid1(SALU_CYCLE_1)
	s_bitset1_b32 s0, 10
	s_mov_b32 m0, s0
	s_sendmsg sendmsg(MSG_INTERRUPT)
	s_mov_b32 m0, ttmp2
.LBB4_11044:                            ; =>This Inner Loop Header: Depth=1
	s_sethalt 5
	s_branch .LBB4_11044
.LBB4_11045:
	s_trap 2
	s_sendmsg_rtn_b32 s0, sendmsg(MSG_RTN_GET_DOORBELL)
	s_mov_b32 ttmp2, m0
	s_waitcnt lgkmcnt(0)
	s_and_b32 s0, s0, 0x3ff
	s_delay_alu instid0(SALU_CYCLE_1) | instskip(NEXT) | instid1(SALU_CYCLE_1)
	s_bitset1_b32 s0, 10
	s_mov_b32 m0, s0
	s_sendmsg sendmsg(MSG_INTERRUPT)
	s_mov_b32 m0, ttmp2
.LBB4_11046:                            ; =>This Inner Loop Header: Depth=1
	s_sethalt 5
	s_branch .LBB4_11046
.LBB4_11047:
	s_trap 2
	s_sendmsg_rtn_b32 s0, sendmsg(MSG_RTN_GET_DOORBELL)
	s_mov_b32 ttmp2, m0
	s_waitcnt lgkmcnt(0)
	s_and_b32 s0, s0, 0x3ff
	s_delay_alu instid0(SALU_CYCLE_1) | instskip(NEXT) | instid1(SALU_CYCLE_1)
	s_bitset1_b32 s0, 10
	s_mov_b32 m0, s0
	s_sendmsg sendmsg(MSG_INTERRUPT)
	s_mov_b32 m0, ttmp2
.LBB4_11048:                            ; =>This Inner Loop Header: Depth=1
	s_sethalt 5
	s_branch .LBB4_11048
.LBB4_11049:
	s_trap 2
	s_sendmsg_rtn_b32 s0, sendmsg(MSG_RTN_GET_DOORBELL)
	s_mov_b32 ttmp2, m0
	s_waitcnt lgkmcnt(0)
	s_and_b32 s0, s0, 0x3ff
	s_delay_alu instid0(SALU_CYCLE_1) | instskip(NEXT) | instid1(SALU_CYCLE_1)
	s_bitset1_b32 s0, 10
	s_mov_b32 m0, s0
	s_sendmsg sendmsg(MSG_INTERRUPT)
	s_mov_b32 m0, ttmp2
.LBB4_11050:                            ; =>This Inner Loop Header: Depth=1
	s_sethalt 5
	s_branch .LBB4_11050
.LBB4_11051:
	s_trap 2
	s_sendmsg_rtn_b32 s0, sendmsg(MSG_RTN_GET_DOORBELL)
	s_mov_b32 ttmp2, m0
	s_waitcnt lgkmcnt(0)
	s_and_b32 s0, s0, 0x3ff
	s_delay_alu instid0(SALU_CYCLE_1) | instskip(NEXT) | instid1(SALU_CYCLE_1)
	s_bitset1_b32 s0, 10
	s_mov_b32 m0, s0
	s_sendmsg sendmsg(MSG_INTERRUPT)
	s_mov_b32 m0, ttmp2
.LBB4_11052:                            ; =>This Inner Loop Header: Depth=1
	s_sethalt 5
	s_branch .LBB4_11052
.LBB4_11053:
	s_trap 2
	s_sendmsg_rtn_b32 s0, sendmsg(MSG_RTN_GET_DOORBELL)
	s_mov_b32 ttmp2, m0
	s_waitcnt lgkmcnt(0)
	s_and_b32 s0, s0, 0x3ff
	s_delay_alu instid0(SALU_CYCLE_1) | instskip(NEXT) | instid1(SALU_CYCLE_1)
	s_bitset1_b32 s0, 10
	s_mov_b32 m0, s0
	s_sendmsg sendmsg(MSG_INTERRUPT)
	s_mov_b32 m0, ttmp2
.LBB4_11054:                            ; =>This Inner Loop Header: Depth=1
	s_sethalt 5
	s_branch .LBB4_11054
.LBB4_11055:
	s_trap 2
	s_sendmsg_rtn_b32 s0, sendmsg(MSG_RTN_GET_DOORBELL)
	s_mov_b32 ttmp2, m0
	s_waitcnt lgkmcnt(0)
	s_and_b32 s0, s0, 0x3ff
	s_delay_alu instid0(SALU_CYCLE_1) | instskip(NEXT) | instid1(SALU_CYCLE_1)
	s_bitset1_b32 s0, 10
	s_mov_b32 m0, s0
	s_sendmsg sendmsg(MSG_INTERRUPT)
	s_mov_b32 m0, ttmp2
.LBB4_11056:                            ; =>This Inner Loop Header: Depth=1
	s_sethalt 5
	s_branch .LBB4_11056
.LBB4_11057:
	s_trap 2
	s_sendmsg_rtn_b32 s0, sendmsg(MSG_RTN_GET_DOORBELL)
	s_mov_b32 ttmp2, m0
	s_waitcnt lgkmcnt(0)
	s_and_b32 s0, s0, 0x3ff
	s_delay_alu instid0(SALU_CYCLE_1) | instskip(NEXT) | instid1(SALU_CYCLE_1)
	s_bitset1_b32 s0, 10
	s_mov_b32 m0, s0
	s_sendmsg sendmsg(MSG_INTERRUPT)
	s_mov_b32 m0, ttmp2
.LBB4_11058:                            ; =>This Inner Loop Header: Depth=1
	s_sethalt 5
	s_branch .LBB4_11058
.LBB4_11059:
	s_trap 2
	s_sendmsg_rtn_b32 s0, sendmsg(MSG_RTN_GET_DOORBELL)
	s_mov_b32 ttmp2, m0
	s_waitcnt lgkmcnt(0)
	s_and_b32 s0, s0, 0x3ff
	s_delay_alu instid0(SALU_CYCLE_1) | instskip(NEXT) | instid1(SALU_CYCLE_1)
	s_bitset1_b32 s0, 10
	s_mov_b32 m0, s0
	s_sendmsg sendmsg(MSG_INTERRUPT)
	s_mov_b32 m0, ttmp2
.LBB4_11060:                            ; =>This Inner Loop Header: Depth=1
	s_sethalt 5
	s_branch .LBB4_11060
.LBB4_11061:
	s_trap 2
	s_sendmsg_rtn_b32 s0, sendmsg(MSG_RTN_GET_DOORBELL)
	s_mov_b32 ttmp2, m0
	s_waitcnt lgkmcnt(0)
	s_and_b32 s0, s0, 0x3ff
	s_delay_alu instid0(SALU_CYCLE_1) | instskip(NEXT) | instid1(SALU_CYCLE_1)
	s_bitset1_b32 s0, 10
	s_mov_b32 m0, s0
	s_sendmsg sendmsg(MSG_INTERRUPT)
	s_mov_b32 m0, ttmp2
.LBB4_11062:                            ; =>This Inner Loop Header: Depth=1
	s_sethalt 5
	s_branch .LBB4_11062
.LBB4_11063:
	s_trap 2
	s_sendmsg_rtn_b32 s0, sendmsg(MSG_RTN_GET_DOORBELL)
	s_mov_b32 ttmp2, m0
	s_waitcnt lgkmcnt(0)
	s_and_b32 s0, s0, 0x3ff
	s_delay_alu instid0(SALU_CYCLE_1) | instskip(NEXT) | instid1(SALU_CYCLE_1)
	s_bitset1_b32 s0, 10
	s_mov_b32 m0, s0
	s_sendmsg sendmsg(MSG_INTERRUPT)
	s_mov_b32 m0, ttmp2
.LBB4_11064:                            ; =>This Inner Loop Header: Depth=1
	s_sethalt 5
	s_branch .LBB4_11064
.LBB4_11065:
	s_trap 2
	s_sendmsg_rtn_b32 s0, sendmsg(MSG_RTN_GET_DOORBELL)
	s_mov_b32 ttmp2, m0
	s_waitcnt lgkmcnt(0)
	s_and_b32 s0, s0, 0x3ff
	s_delay_alu instid0(SALU_CYCLE_1) | instskip(NEXT) | instid1(SALU_CYCLE_1)
	s_bitset1_b32 s0, 10
	s_mov_b32 m0, s0
	s_sendmsg sendmsg(MSG_INTERRUPT)
	s_mov_b32 m0, ttmp2
.LBB4_11066:                            ; =>This Inner Loop Header: Depth=1
	s_sethalt 5
	s_branch .LBB4_11066
.LBB4_11067:
	s_trap 2
	s_sendmsg_rtn_b32 s0, sendmsg(MSG_RTN_GET_DOORBELL)
	s_mov_b32 ttmp2, m0
	s_waitcnt lgkmcnt(0)
	s_and_b32 s0, s0, 0x3ff
	s_delay_alu instid0(SALU_CYCLE_1) | instskip(NEXT) | instid1(SALU_CYCLE_1)
	s_bitset1_b32 s0, 10
	s_mov_b32 m0, s0
	s_sendmsg sendmsg(MSG_INTERRUPT)
	s_mov_b32 m0, ttmp2
.LBB4_11068:                            ; =>This Inner Loop Header: Depth=1
	s_sethalt 5
	s_branch .LBB4_11068
.LBB4_11069:
	s_trap 2
	s_sendmsg_rtn_b32 s0, sendmsg(MSG_RTN_GET_DOORBELL)
	s_mov_b32 ttmp2, m0
	s_waitcnt lgkmcnt(0)
	s_and_b32 s0, s0, 0x3ff
	s_delay_alu instid0(SALU_CYCLE_1) | instskip(NEXT) | instid1(SALU_CYCLE_1)
	s_bitset1_b32 s0, 10
	s_mov_b32 m0, s0
	s_sendmsg sendmsg(MSG_INTERRUPT)
	s_mov_b32 m0, ttmp2
.LBB4_11070:                            ; =>This Inner Loop Header: Depth=1
	s_sethalt 5
	s_branch .LBB4_11070
.LBB4_11071:
	s_trap 2
	s_sendmsg_rtn_b32 s0, sendmsg(MSG_RTN_GET_DOORBELL)
	s_mov_b32 ttmp2, m0
	s_waitcnt lgkmcnt(0)
	s_and_b32 s0, s0, 0x3ff
	s_delay_alu instid0(SALU_CYCLE_1) | instskip(NEXT) | instid1(SALU_CYCLE_1)
	s_bitset1_b32 s0, 10
	s_mov_b32 m0, s0
	s_sendmsg sendmsg(MSG_INTERRUPT)
	s_mov_b32 m0, ttmp2
.LBB4_11072:                            ; =>This Inner Loop Header: Depth=1
	s_sethalt 5
	s_branch .LBB4_11072
.LBB4_11073:
	s_trap 2
	s_sendmsg_rtn_b32 s0, sendmsg(MSG_RTN_GET_DOORBELL)
	s_mov_b32 ttmp2, m0
	s_waitcnt lgkmcnt(0)
	s_and_b32 s0, s0, 0x3ff
	s_delay_alu instid0(SALU_CYCLE_1) | instskip(NEXT) | instid1(SALU_CYCLE_1)
	s_bitset1_b32 s0, 10
	s_mov_b32 m0, s0
	s_sendmsg sendmsg(MSG_INTERRUPT)
	s_mov_b32 m0, ttmp2
.LBB4_11074:                            ; =>This Inner Loop Header: Depth=1
	s_sethalt 5
	s_branch .LBB4_11074
.LBB4_11075:
	s_trap 2
	s_sendmsg_rtn_b32 s0, sendmsg(MSG_RTN_GET_DOORBELL)
	s_mov_b32 ttmp2, m0
	s_waitcnt lgkmcnt(0)
	s_and_b32 s0, s0, 0x3ff
	s_delay_alu instid0(SALU_CYCLE_1) | instskip(NEXT) | instid1(SALU_CYCLE_1)
	s_bitset1_b32 s0, 10
	s_mov_b32 m0, s0
	s_sendmsg sendmsg(MSG_INTERRUPT)
	s_mov_b32 m0, ttmp2
.LBB4_11076:                            ; =>This Inner Loop Header: Depth=1
	s_sethalt 5
	s_branch .LBB4_11076
.LBB4_11077:
	s_trap 2
	s_sendmsg_rtn_b32 s0, sendmsg(MSG_RTN_GET_DOORBELL)
	s_mov_b32 ttmp2, m0
	s_waitcnt lgkmcnt(0)
	s_and_b32 s0, s0, 0x3ff
	s_delay_alu instid0(SALU_CYCLE_1) | instskip(NEXT) | instid1(SALU_CYCLE_1)
	s_bitset1_b32 s0, 10
	s_mov_b32 m0, s0
	s_sendmsg sendmsg(MSG_INTERRUPT)
	s_mov_b32 m0, ttmp2
.LBB4_11078:                            ; =>This Inner Loop Header: Depth=1
	s_sethalt 5
	s_branch .LBB4_11078
.LBB4_11079:
	s_trap 2
	s_sendmsg_rtn_b32 s0, sendmsg(MSG_RTN_GET_DOORBELL)
	s_mov_b32 ttmp2, m0
	s_waitcnt lgkmcnt(0)
	s_and_b32 s0, s0, 0x3ff
	s_delay_alu instid0(SALU_CYCLE_1) | instskip(NEXT) | instid1(SALU_CYCLE_1)
	s_bitset1_b32 s0, 10
	s_mov_b32 m0, s0
	s_sendmsg sendmsg(MSG_INTERRUPT)
	s_mov_b32 m0, ttmp2
.LBB4_11080:                            ; =>This Inner Loop Header: Depth=1
	s_sethalt 5
	s_branch .LBB4_11080
.LBB4_11081:
	s_trap 2
	s_sendmsg_rtn_b32 s0, sendmsg(MSG_RTN_GET_DOORBELL)
	s_mov_b32 ttmp2, m0
	s_waitcnt lgkmcnt(0)
	s_and_b32 s0, s0, 0x3ff
	s_delay_alu instid0(SALU_CYCLE_1) | instskip(NEXT) | instid1(SALU_CYCLE_1)
	s_bitset1_b32 s0, 10
	s_mov_b32 m0, s0
	s_sendmsg sendmsg(MSG_INTERRUPT)
	s_mov_b32 m0, ttmp2
.LBB4_11082:                            ; =>This Inner Loop Header: Depth=1
	s_sethalt 5
	s_branch .LBB4_11082
.LBB4_11083:
	s_trap 2
	s_sendmsg_rtn_b32 s0, sendmsg(MSG_RTN_GET_DOORBELL)
	s_mov_b32 ttmp2, m0
	s_waitcnt lgkmcnt(0)
	s_and_b32 s0, s0, 0x3ff
	s_delay_alu instid0(SALU_CYCLE_1) | instskip(NEXT) | instid1(SALU_CYCLE_1)
	s_bitset1_b32 s0, 10
	s_mov_b32 m0, s0
	s_sendmsg sendmsg(MSG_INTERRUPT)
	s_mov_b32 m0, ttmp2
.LBB4_11084:                            ; =>This Inner Loop Header: Depth=1
	s_sethalt 5
	s_branch .LBB4_11084
.LBB4_11085:
	s_trap 2
	s_sendmsg_rtn_b32 s0, sendmsg(MSG_RTN_GET_DOORBELL)
	s_mov_b32 ttmp2, m0
	s_waitcnt lgkmcnt(0)
	s_and_b32 s0, s0, 0x3ff
	s_delay_alu instid0(SALU_CYCLE_1) | instskip(NEXT) | instid1(SALU_CYCLE_1)
	s_bitset1_b32 s0, 10
	s_mov_b32 m0, s0
	s_sendmsg sendmsg(MSG_INTERRUPT)
	s_mov_b32 m0, ttmp2
.LBB4_11086:                            ; =>This Inner Loop Header: Depth=1
	s_sethalt 5
	s_branch .LBB4_11086
.LBB4_11087:
	s_trap 2
	s_sendmsg_rtn_b32 s0, sendmsg(MSG_RTN_GET_DOORBELL)
	s_mov_b32 ttmp2, m0
	s_waitcnt lgkmcnt(0)
	s_and_b32 s0, s0, 0x3ff
	s_delay_alu instid0(SALU_CYCLE_1) | instskip(NEXT) | instid1(SALU_CYCLE_1)
	s_bitset1_b32 s0, 10
	s_mov_b32 m0, s0
	s_sendmsg sendmsg(MSG_INTERRUPT)
	s_mov_b32 m0, ttmp2
.LBB4_11088:                            ; =>This Inner Loop Header: Depth=1
	s_sethalt 5
	s_branch .LBB4_11088
.LBB4_11089:
	s_trap 2
	s_sendmsg_rtn_b32 s0, sendmsg(MSG_RTN_GET_DOORBELL)
	s_mov_b32 ttmp2, m0
	s_waitcnt lgkmcnt(0)
	s_and_b32 s0, s0, 0x3ff
	s_delay_alu instid0(SALU_CYCLE_1) | instskip(NEXT) | instid1(SALU_CYCLE_1)
	s_bitset1_b32 s0, 10
	s_mov_b32 m0, s0
	s_sendmsg sendmsg(MSG_INTERRUPT)
	s_mov_b32 m0, ttmp2
.LBB4_11090:                            ; =>This Inner Loop Header: Depth=1
	s_sethalt 5
	s_branch .LBB4_11090
.LBB4_11091:
	s_trap 2
	s_sendmsg_rtn_b32 s0, sendmsg(MSG_RTN_GET_DOORBELL)
	s_mov_b32 ttmp2, m0
	s_waitcnt lgkmcnt(0)
	s_and_b32 s0, s0, 0x3ff
	s_delay_alu instid0(SALU_CYCLE_1) | instskip(NEXT) | instid1(SALU_CYCLE_1)
	s_bitset1_b32 s0, 10
	s_mov_b32 m0, s0
	s_sendmsg sendmsg(MSG_INTERRUPT)
	s_mov_b32 m0, ttmp2
.LBB4_11092:                            ; =>This Inner Loop Header: Depth=1
	s_sethalt 5
	s_branch .LBB4_11092
.LBB4_11093:
	s_trap 2
	s_sendmsg_rtn_b32 s0, sendmsg(MSG_RTN_GET_DOORBELL)
	s_mov_b32 ttmp2, m0
	s_waitcnt lgkmcnt(0)
	s_and_b32 s0, s0, 0x3ff
	s_delay_alu instid0(SALU_CYCLE_1) | instskip(NEXT) | instid1(SALU_CYCLE_1)
	s_bitset1_b32 s0, 10
	s_mov_b32 m0, s0
	s_sendmsg sendmsg(MSG_INTERRUPT)
	s_mov_b32 m0, ttmp2
.LBB4_11094:                            ; =>This Inner Loop Header: Depth=1
	s_sethalt 5
	s_branch .LBB4_11094
.LBB4_11095:
	s_trap 2
	s_sendmsg_rtn_b32 s0, sendmsg(MSG_RTN_GET_DOORBELL)
	s_mov_b32 ttmp2, m0
	s_waitcnt lgkmcnt(0)
	s_and_b32 s0, s0, 0x3ff
	s_delay_alu instid0(SALU_CYCLE_1) | instskip(NEXT) | instid1(SALU_CYCLE_1)
	s_bitset1_b32 s0, 10
	s_mov_b32 m0, s0
	s_sendmsg sendmsg(MSG_INTERRUPT)
	s_mov_b32 m0, ttmp2
.LBB4_11096:                            ; =>This Inner Loop Header: Depth=1
	s_sethalt 5
	s_branch .LBB4_11096
.LBB4_11097:
	s_trap 2
	s_sendmsg_rtn_b32 s0, sendmsg(MSG_RTN_GET_DOORBELL)
	s_mov_b32 ttmp2, m0
	s_waitcnt lgkmcnt(0)
	s_and_b32 s0, s0, 0x3ff
	s_delay_alu instid0(SALU_CYCLE_1) | instskip(NEXT) | instid1(SALU_CYCLE_1)
	s_bitset1_b32 s0, 10
	s_mov_b32 m0, s0
	s_sendmsg sendmsg(MSG_INTERRUPT)
	s_mov_b32 m0, ttmp2
.LBB4_11098:                            ; =>This Inner Loop Header: Depth=1
	s_sethalt 5
	s_branch .LBB4_11098
.LBB4_11099:
	s_trap 2
	s_sendmsg_rtn_b32 s0, sendmsg(MSG_RTN_GET_DOORBELL)
	s_mov_b32 ttmp2, m0
	s_waitcnt lgkmcnt(0)
	s_and_b32 s0, s0, 0x3ff
	s_delay_alu instid0(SALU_CYCLE_1) | instskip(NEXT) | instid1(SALU_CYCLE_1)
	s_bitset1_b32 s0, 10
	s_mov_b32 m0, s0
	s_sendmsg sendmsg(MSG_INTERRUPT)
	s_mov_b32 m0, ttmp2
.LBB4_11100:                            ; =>This Inner Loop Header: Depth=1
	s_sethalt 5
	s_branch .LBB4_11100
.LBB4_11101:
	s_trap 2
	s_sendmsg_rtn_b32 s0, sendmsg(MSG_RTN_GET_DOORBELL)
	s_mov_b32 ttmp2, m0
	s_waitcnt lgkmcnt(0)
	s_and_b32 s0, s0, 0x3ff
	s_delay_alu instid0(SALU_CYCLE_1) | instskip(NEXT) | instid1(SALU_CYCLE_1)
	s_bitset1_b32 s0, 10
	s_mov_b32 m0, s0
	s_sendmsg sendmsg(MSG_INTERRUPT)
	s_mov_b32 m0, ttmp2
.LBB4_11102:                            ; =>This Inner Loop Header: Depth=1
	s_sethalt 5
	s_branch .LBB4_11102
.LBB4_11103:
	s_trap 2
	s_sendmsg_rtn_b32 s0, sendmsg(MSG_RTN_GET_DOORBELL)
	s_mov_b32 ttmp2, m0
	s_waitcnt lgkmcnt(0)
	s_and_b32 s0, s0, 0x3ff
	s_delay_alu instid0(SALU_CYCLE_1) | instskip(NEXT) | instid1(SALU_CYCLE_1)
	s_bitset1_b32 s0, 10
	s_mov_b32 m0, s0
	s_sendmsg sendmsg(MSG_INTERRUPT)
	s_mov_b32 m0, ttmp2
.LBB4_11104:                            ; =>This Inner Loop Header: Depth=1
	s_sethalt 5
	s_branch .LBB4_11104
.LBB4_11105:
	s_trap 2
	s_sendmsg_rtn_b32 s0, sendmsg(MSG_RTN_GET_DOORBELL)
	s_mov_b32 ttmp2, m0
	s_waitcnt lgkmcnt(0)
	s_and_b32 s0, s0, 0x3ff
	s_delay_alu instid0(SALU_CYCLE_1) | instskip(NEXT) | instid1(SALU_CYCLE_1)
	s_bitset1_b32 s0, 10
	s_mov_b32 m0, s0
	s_sendmsg sendmsg(MSG_INTERRUPT)
	s_mov_b32 m0, ttmp2
.LBB4_11106:                            ; =>This Inner Loop Header: Depth=1
	s_sethalt 5
	s_branch .LBB4_11106
.LBB4_11107:
	s_trap 2
	s_sendmsg_rtn_b32 s0, sendmsg(MSG_RTN_GET_DOORBELL)
	s_mov_b32 ttmp2, m0
	s_waitcnt lgkmcnt(0)
	s_and_b32 s0, s0, 0x3ff
	s_delay_alu instid0(SALU_CYCLE_1) | instskip(NEXT) | instid1(SALU_CYCLE_1)
	s_bitset1_b32 s0, 10
	s_mov_b32 m0, s0
	s_sendmsg sendmsg(MSG_INTERRUPT)
	s_mov_b32 m0, ttmp2
.LBB4_11108:                            ; =>This Inner Loop Header: Depth=1
	s_sethalt 5
	s_branch .LBB4_11108
.LBB4_11109:
	s_trap 2
	s_sendmsg_rtn_b32 s0, sendmsg(MSG_RTN_GET_DOORBELL)
	s_mov_b32 ttmp2, m0
	s_waitcnt lgkmcnt(0)
	s_and_b32 s0, s0, 0x3ff
	s_delay_alu instid0(SALU_CYCLE_1) | instskip(NEXT) | instid1(SALU_CYCLE_1)
	s_bitset1_b32 s0, 10
	s_mov_b32 m0, s0
	s_sendmsg sendmsg(MSG_INTERRUPT)
	s_mov_b32 m0, ttmp2
.LBB4_11110:                            ; =>This Inner Loop Header: Depth=1
	s_sethalt 5
	s_branch .LBB4_11110
.LBB4_11111:
	s_trap 2
	s_sendmsg_rtn_b32 s0, sendmsg(MSG_RTN_GET_DOORBELL)
	s_mov_b32 ttmp2, m0
	s_waitcnt lgkmcnt(0)
	s_and_b32 s0, s0, 0x3ff
	s_delay_alu instid0(SALU_CYCLE_1) | instskip(NEXT) | instid1(SALU_CYCLE_1)
	s_bitset1_b32 s0, 10
	s_mov_b32 m0, s0
	s_sendmsg sendmsg(MSG_INTERRUPT)
	s_mov_b32 m0, ttmp2
.LBB4_11112:                            ; =>This Inner Loop Header: Depth=1
	s_sethalt 5
	s_branch .LBB4_11112
.LBB4_11113:
	s_trap 2
	s_sendmsg_rtn_b32 s0, sendmsg(MSG_RTN_GET_DOORBELL)
	s_mov_b32 ttmp2, m0
	s_waitcnt lgkmcnt(0)
	s_and_b32 s0, s0, 0x3ff
	s_delay_alu instid0(SALU_CYCLE_1) | instskip(NEXT) | instid1(SALU_CYCLE_1)
	s_bitset1_b32 s0, 10
	s_mov_b32 m0, s0
	s_sendmsg sendmsg(MSG_INTERRUPT)
	s_mov_b32 m0, ttmp2
.LBB4_11114:                            ; =>This Inner Loop Header: Depth=1
	s_sethalt 5
	s_branch .LBB4_11114
.LBB4_11115:
	s_trap 2
	s_sendmsg_rtn_b32 s0, sendmsg(MSG_RTN_GET_DOORBELL)
	s_mov_b32 ttmp2, m0
	s_waitcnt lgkmcnt(0)
	s_and_b32 s0, s0, 0x3ff
	s_delay_alu instid0(SALU_CYCLE_1) | instskip(NEXT) | instid1(SALU_CYCLE_1)
	s_bitset1_b32 s0, 10
	s_mov_b32 m0, s0
	s_sendmsg sendmsg(MSG_INTERRUPT)
	s_mov_b32 m0, ttmp2
.LBB4_11116:                            ; =>This Inner Loop Header: Depth=1
	s_sethalt 5
	s_branch .LBB4_11116
.LBB4_11117:
	s_trap 2
	s_sendmsg_rtn_b32 s0, sendmsg(MSG_RTN_GET_DOORBELL)
	s_mov_b32 ttmp2, m0
	s_waitcnt lgkmcnt(0)
	s_and_b32 s0, s0, 0x3ff
	s_delay_alu instid0(SALU_CYCLE_1) | instskip(NEXT) | instid1(SALU_CYCLE_1)
	s_bitset1_b32 s0, 10
	s_mov_b32 m0, s0
	s_sendmsg sendmsg(MSG_INTERRUPT)
	s_mov_b32 m0, ttmp2
.LBB4_11118:                            ; =>This Inner Loop Header: Depth=1
	s_sethalt 5
	s_branch .LBB4_11118
.LBB4_11119:
	s_trap 2
	s_sendmsg_rtn_b32 s0, sendmsg(MSG_RTN_GET_DOORBELL)
	s_mov_b32 ttmp2, m0
	s_waitcnt lgkmcnt(0)
	s_and_b32 s0, s0, 0x3ff
	s_delay_alu instid0(SALU_CYCLE_1) | instskip(NEXT) | instid1(SALU_CYCLE_1)
	s_bitset1_b32 s0, 10
	s_mov_b32 m0, s0
	s_sendmsg sendmsg(MSG_INTERRUPT)
	s_mov_b32 m0, ttmp2
.LBB4_11120:                            ; =>This Inner Loop Header: Depth=1
	s_sethalt 5
	s_branch .LBB4_11120
.LBB4_11121:
	s_trap 2
	s_sendmsg_rtn_b32 s0, sendmsg(MSG_RTN_GET_DOORBELL)
	s_mov_b32 ttmp2, m0
	s_waitcnt lgkmcnt(0)
	s_and_b32 s0, s0, 0x3ff
	s_delay_alu instid0(SALU_CYCLE_1) | instskip(NEXT) | instid1(SALU_CYCLE_1)
	s_bitset1_b32 s0, 10
	s_mov_b32 m0, s0
	s_sendmsg sendmsg(MSG_INTERRUPT)
	s_mov_b32 m0, ttmp2
.LBB4_11122:                            ; =>This Inner Loop Header: Depth=1
	s_sethalt 5
	s_branch .LBB4_11122
.LBB4_11123:
	s_trap 2
	s_sendmsg_rtn_b32 s0, sendmsg(MSG_RTN_GET_DOORBELL)
	s_mov_b32 ttmp2, m0
	s_waitcnt lgkmcnt(0)
	s_and_b32 s0, s0, 0x3ff
	s_delay_alu instid0(SALU_CYCLE_1) | instskip(NEXT) | instid1(SALU_CYCLE_1)
	s_bitset1_b32 s0, 10
	s_mov_b32 m0, s0
	s_sendmsg sendmsg(MSG_INTERRUPT)
	s_mov_b32 m0, ttmp2
.LBB4_11124:                            ; =>This Inner Loop Header: Depth=1
	s_sethalt 5
	s_branch .LBB4_11124
.LBB4_11125:
	s_trap 2
	s_sendmsg_rtn_b32 s0, sendmsg(MSG_RTN_GET_DOORBELL)
	s_mov_b32 ttmp2, m0
	s_waitcnt lgkmcnt(0)
	s_and_b32 s0, s0, 0x3ff
	s_delay_alu instid0(SALU_CYCLE_1) | instskip(NEXT) | instid1(SALU_CYCLE_1)
	s_bitset1_b32 s0, 10
	s_mov_b32 m0, s0
	s_sendmsg sendmsg(MSG_INTERRUPT)
	s_mov_b32 m0, ttmp2
.LBB4_11126:                            ; =>This Inner Loop Header: Depth=1
	s_sethalt 5
	s_branch .LBB4_11126
.LBB4_11127:
	s_trap 2
	s_sendmsg_rtn_b32 s0, sendmsg(MSG_RTN_GET_DOORBELL)
	s_mov_b32 ttmp2, m0
	s_waitcnt lgkmcnt(0)
	s_and_b32 s0, s0, 0x3ff
	s_delay_alu instid0(SALU_CYCLE_1) | instskip(NEXT) | instid1(SALU_CYCLE_1)
	s_bitset1_b32 s0, 10
	s_mov_b32 m0, s0
	s_sendmsg sendmsg(MSG_INTERRUPT)
	s_mov_b32 m0, ttmp2
.LBB4_11128:                            ; =>This Inner Loop Header: Depth=1
	s_sethalt 5
	s_branch .LBB4_11128
.LBB4_11129:
	s_trap 2
	s_sendmsg_rtn_b32 s0, sendmsg(MSG_RTN_GET_DOORBELL)
	s_mov_b32 ttmp2, m0
	s_waitcnt lgkmcnt(0)
	s_and_b32 s0, s0, 0x3ff
	s_delay_alu instid0(SALU_CYCLE_1) | instskip(NEXT) | instid1(SALU_CYCLE_1)
	s_bitset1_b32 s0, 10
	s_mov_b32 m0, s0
	s_sendmsg sendmsg(MSG_INTERRUPT)
	s_mov_b32 m0, ttmp2
.LBB4_11130:                            ; =>This Inner Loop Header: Depth=1
	s_sethalt 5
	s_branch .LBB4_11130
.LBB4_11131:
	s_trap 2
	s_sendmsg_rtn_b32 s0, sendmsg(MSG_RTN_GET_DOORBELL)
	s_mov_b32 ttmp2, m0
	s_waitcnt lgkmcnt(0)
	s_and_b32 s0, s0, 0x3ff
	s_delay_alu instid0(SALU_CYCLE_1) | instskip(NEXT) | instid1(SALU_CYCLE_1)
	s_bitset1_b32 s0, 10
	s_mov_b32 m0, s0
	s_sendmsg sendmsg(MSG_INTERRUPT)
	s_mov_b32 m0, ttmp2
.LBB4_11132:                            ; =>This Inner Loop Header: Depth=1
	s_sethalt 5
	s_branch .LBB4_11132
.LBB4_11133:
	s_trap 2
	s_sendmsg_rtn_b32 s0, sendmsg(MSG_RTN_GET_DOORBELL)
	s_mov_b32 ttmp2, m0
	s_waitcnt lgkmcnt(0)
	s_and_b32 s0, s0, 0x3ff
	s_delay_alu instid0(SALU_CYCLE_1) | instskip(NEXT) | instid1(SALU_CYCLE_1)
	s_bitset1_b32 s0, 10
	s_mov_b32 m0, s0
	s_sendmsg sendmsg(MSG_INTERRUPT)
	s_mov_b32 m0, ttmp2
.LBB4_11134:                            ; =>This Inner Loop Header: Depth=1
	s_sethalt 5
	s_branch .LBB4_11134
.LBB4_11135:
	s_trap 2
	s_sendmsg_rtn_b32 s0, sendmsg(MSG_RTN_GET_DOORBELL)
	s_mov_b32 ttmp2, m0
	s_waitcnt lgkmcnt(0)
	s_and_b32 s0, s0, 0x3ff
	s_delay_alu instid0(SALU_CYCLE_1) | instskip(NEXT) | instid1(SALU_CYCLE_1)
	s_bitset1_b32 s0, 10
	s_mov_b32 m0, s0
	s_sendmsg sendmsg(MSG_INTERRUPT)
	s_mov_b32 m0, ttmp2
.LBB4_11136:                            ; =>This Inner Loop Header: Depth=1
	s_sethalt 5
	s_branch .LBB4_11136
.LBB4_11137:
	s_trap 2
	s_sendmsg_rtn_b32 s0, sendmsg(MSG_RTN_GET_DOORBELL)
	s_mov_b32 ttmp2, m0
	s_waitcnt lgkmcnt(0)
	s_and_b32 s0, s0, 0x3ff
	s_delay_alu instid0(SALU_CYCLE_1) | instskip(NEXT) | instid1(SALU_CYCLE_1)
	s_bitset1_b32 s0, 10
	s_mov_b32 m0, s0
	s_sendmsg sendmsg(MSG_INTERRUPT)
	s_mov_b32 m0, ttmp2
.LBB4_11138:                            ; =>This Inner Loop Header: Depth=1
	s_sethalt 5
	s_branch .LBB4_11138
.LBB4_11139:
	s_trap 2
	s_sendmsg_rtn_b32 s0, sendmsg(MSG_RTN_GET_DOORBELL)
	s_mov_b32 ttmp2, m0
	s_waitcnt lgkmcnt(0)
	s_and_b32 s0, s0, 0x3ff
	s_delay_alu instid0(SALU_CYCLE_1) | instskip(NEXT) | instid1(SALU_CYCLE_1)
	s_bitset1_b32 s0, 10
	s_mov_b32 m0, s0
	s_sendmsg sendmsg(MSG_INTERRUPT)
	s_mov_b32 m0, ttmp2
.LBB4_11140:                            ; =>This Inner Loop Header: Depth=1
	s_sethalt 5
	s_branch .LBB4_11140
.LBB4_11141:
	s_trap 2
	s_sendmsg_rtn_b32 s0, sendmsg(MSG_RTN_GET_DOORBELL)
	s_mov_b32 ttmp2, m0
	s_waitcnt lgkmcnt(0)
	s_and_b32 s0, s0, 0x3ff
	s_delay_alu instid0(SALU_CYCLE_1) | instskip(NEXT) | instid1(SALU_CYCLE_1)
	s_bitset1_b32 s0, 10
	s_mov_b32 m0, s0
	s_sendmsg sendmsg(MSG_INTERRUPT)
	s_mov_b32 m0, ttmp2
.LBB4_11142:                            ; =>This Inner Loop Header: Depth=1
	s_sethalt 5
	s_branch .LBB4_11142
.LBB4_11143:
	s_or_b32 exec_lo, exec_lo, s4
	s_and_saveexec_b32 s4, s5
	s_delay_alu instid0(SALU_CYCLE_1)
	s_xor_b32 s4, exec_lo, s4
	s_cbranch_execz .LBB4_11145
; %bb.11144:
	v_mov_b32_e32 v0, 1
	ds_store_b32 v0, v0
	s_cbranch_execnz .LBB4_11239
.LBB4_11145:
	s_or_b32 exec_lo, exec_lo, s3
	;;#ASMSTART
	s_wakeup
	;;#ASMEND
.LBB4_11146:
	s_or_b32 exec_lo, exec_lo, s2
.LBB4_11147:
	s_and_not1_saveexec_b32 s1, s1
	s_cbranch_execz .LBB4_11149
; %bb.11148:
	s_waitcnt lgkmcnt(0)
	s_waitcnt_vscnt null, 0x0
	buffer_gl1_inv
	buffer_gl0_inv
	s_barrier
.LBB4_11149:
	s_or_b32 exec_lo, exec_lo, s0
.LBB4_11150:
	s_and_not1_saveexec_b32 s21, s18
	s_cbranch_execz .LBB4_11152
; %bb.11151:
	s_getpc_b64 s[0:1]
	s_add_u32 s0, s0, __PRETTY_FUNCTION__._ZN10PrimitivesI12rccl_bfloat813FuncPreMulSumIS0_E12FanSymmetricILi1EELi0E11ProtoSimpleILi2ELi2ELi0ELi2ELi0ELi0EELi0ELb0ELi0ELi0ELi0EEC2EiiPKiS9_PKvPvmhhhP15ncclDevWorkCollP14ncclDevWorkP2pii@rel32@lo+4
	s_addc_u32 s1, s1, __PRETTY_FUNCTION__._ZN10PrimitivesI12rccl_bfloat813FuncPreMulSumIS0_E12FanSymmetricILi1EELi0E11ProtoSimpleILi2ELi2ELi0ELi2ELi0ELi0EELi0ELb0ELi0ELi0ELi0EEC2EiiPKiS9_PKvPvmhhhP15ncclDevWorkCollP14ncclDevWorkP2pii@rel32@hi+12
	s_delay_alu instid0(SALU_CYCLE_1) | instskip(SKIP_3) | instid1(SALU_CYCLE_1)
	v_dual_mov_b32 v0, s0 :: v_dual_mov_b32 v1, s1
	s_getpc_b64 s[2:3]
	s_add_u32 s2, s2, __assert_fail@rel32@lo+4
	s_addc_u32 s3, s3, __assert_fail@rel32@hi+12
	s_swappc_b64 s[30:31], s[2:3]
	; divergent unreachable
.LBB4_11152:
	s_or_b32 exec_lo, exec_lo, s21
	s_clause 0x1f
	scratch_load_b32 v120, off, s33
	scratch_load_b32 v111, off, s33 offset:4
	scratch_load_b32 v110, off, s33 offset:8
	;; [unrolled: 1-line block ×31, first 2 shown]
	s_clause 0x8
	scratch_load_b32 v56, off, s33 offset:128
	scratch_load_b32 v47, off, s33 offset:132
	;; [unrolled: 1-line block ×9, first 2 shown]
	v_readlane_b32 s30, v121, 12
	v_readlane_b32 s31, v121, 13
	;; [unrolled: 1-line block ×15, first 2 shown]
	s_or_saveexec_b32 s1, -1
	s_clause 0x1
	scratch_load_b32 v121, off, s33 offset:164
	scratch_load_b32 v122, off, s33 offset:168
	s_mov_b32 exec_lo, s1
	s_addk_i32 s32, 0xff50
	s_mov_b32 s33, s0
	s_waitcnt vmcnt(0) lgkmcnt(0)
	s_setpc_b64 s[30:31]
.LBB4_11153:
	s_trap 2
	s_sendmsg_rtn_b32 s0, sendmsg(MSG_RTN_GET_DOORBELL)
	s_mov_b32 ttmp2, m0
	s_waitcnt lgkmcnt(0)
	s_and_b32 s0, s0, 0x3ff
	s_delay_alu instid0(SALU_CYCLE_1) | instskip(NEXT) | instid1(SALU_CYCLE_1)
	s_bitset1_b32 s0, 10
	s_mov_b32 m0, s0
	s_sendmsg sendmsg(MSG_INTERRUPT)
	s_mov_b32 m0, ttmp2
.LBB4_11154:                            ; =>This Inner Loop Header: Depth=1
	s_sethalt 5
	s_branch .LBB4_11154
.LBB4_11155:
	s_trap 2
	s_sendmsg_rtn_b32 s0, sendmsg(MSG_RTN_GET_DOORBELL)
	s_mov_b32 ttmp2, m0
	s_waitcnt lgkmcnt(0)
	s_and_b32 s0, s0, 0x3ff
	s_delay_alu instid0(SALU_CYCLE_1) | instskip(NEXT) | instid1(SALU_CYCLE_1)
	s_bitset1_b32 s0, 10
	s_mov_b32 m0, s0
	s_sendmsg sendmsg(MSG_INTERRUPT)
	s_mov_b32 m0, ttmp2
.LBB4_11156:                            ; =>This Inner Loop Header: Depth=1
	s_sethalt 5
	s_branch .LBB4_11156
.LBB4_11157:
	s_trap 2
	s_sendmsg_rtn_b32 s0, sendmsg(MSG_RTN_GET_DOORBELL)
	s_mov_b32 ttmp2, m0
	s_waitcnt lgkmcnt(0)
	s_and_b32 s0, s0, 0x3ff
	s_delay_alu instid0(SALU_CYCLE_1) | instskip(NEXT) | instid1(SALU_CYCLE_1)
	s_bitset1_b32 s0, 10
	s_mov_b32 m0, s0
	s_sendmsg sendmsg(MSG_INTERRUPT)
	s_mov_b32 m0, ttmp2
.LBB4_11158:                            ; =>This Inner Loop Header: Depth=1
	s_sethalt 5
	s_branch .LBB4_11158
.LBB4_11159:
	s_trap 2
	s_sendmsg_rtn_b32 s0, sendmsg(MSG_RTN_GET_DOORBELL)
	s_mov_b32 ttmp2, m0
	s_waitcnt lgkmcnt(0)
	s_and_b32 s0, s0, 0x3ff
	s_delay_alu instid0(SALU_CYCLE_1) | instskip(NEXT) | instid1(SALU_CYCLE_1)
	s_bitset1_b32 s0, 10
	s_mov_b32 m0, s0
	s_sendmsg sendmsg(MSG_INTERRUPT)
	s_mov_b32 m0, ttmp2
.LBB4_11160:                            ; =>This Inner Loop Header: Depth=1
	s_sethalt 5
	s_branch .LBB4_11160
.LBB4_11161:
	s_trap 2
	s_sendmsg_rtn_b32 s0, sendmsg(MSG_RTN_GET_DOORBELL)
	s_mov_b32 ttmp2, m0
	s_waitcnt lgkmcnt(0)
	s_and_b32 s0, s0, 0x3ff
	s_delay_alu instid0(SALU_CYCLE_1) | instskip(NEXT) | instid1(SALU_CYCLE_1)
	s_bitset1_b32 s0, 10
	s_mov_b32 m0, s0
	s_sendmsg sendmsg(MSG_INTERRUPT)
	s_mov_b32 m0, ttmp2
.LBB4_11162:                            ; =>This Inner Loop Header: Depth=1
	s_sethalt 5
	s_branch .LBB4_11162
.LBB4_11163:
	s_trap 2
	s_sendmsg_rtn_b32 s0, sendmsg(MSG_RTN_GET_DOORBELL)
	s_mov_b32 ttmp2, m0
	s_waitcnt lgkmcnt(0)
	s_and_b32 s0, s0, 0x3ff
	s_delay_alu instid0(SALU_CYCLE_1) | instskip(NEXT) | instid1(SALU_CYCLE_1)
	s_bitset1_b32 s0, 10
	s_mov_b32 m0, s0
	s_sendmsg sendmsg(MSG_INTERRUPT)
	s_mov_b32 m0, ttmp2
.LBB4_11164:                            ; =>This Inner Loop Header: Depth=1
	s_sethalt 5
	s_branch .LBB4_11164
.LBB4_11165:
	s_trap 2
	s_sendmsg_rtn_b32 s0, sendmsg(MSG_RTN_GET_DOORBELL)
	s_mov_b32 ttmp2, m0
	s_waitcnt lgkmcnt(0)
	s_and_b32 s0, s0, 0x3ff
	s_delay_alu instid0(SALU_CYCLE_1) | instskip(NEXT) | instid1(SALU_CYCLE_1)
	s_bitset1_b32 s0, 10
	s_mov_b32 m0, s0
	s_sendmsg sendmsg(MSG_INTERRUPT)
	s_mov_b32 m0, ttmp2
.LBB4_11166:                            ; =>This Inner Loop Header: Depth=1
	s_sethalt 5
	s_branch .LBB4_11166
.LBB4_11167:
	s_trap 2
	s_sendmsg_rtn_b32 s0, sendmsg(MSG_RTN_GET_DOORBELL)
	s_mov_b32 ttmp2, m0
	s_waitcnt lgkmcnt(0)
	s_and_b32 s0, s0, 0x3ff
	s_delay_alu instid0(SALU_CYCLE_1) | instskip(NEXT) | instid1(SALU_CYCLE_1)
	s_bitset1_b32 s0, 10
	s_mov_b32 m0, s0
	s_sendmsg sendmsg(MSG_INTERRUPT)
	s_mov_b32 m0, ttmp2
.LBB4_11168:                            ; =>This Inner Loop Header: Depth=1
	s_sethalt 5
	s_branch .LBB4_11168
.LBB4_11169:
	s_trap 2
	s_sendmsg_rtn_b32 s0, sendmsg(MSG_RTN_GET_DOORBELL)
	s_mov_b32 ttmp2, m0
	s_waitcnt lgkmcnt(0)
	s_and_b32 s0, s0, 0x3ff
	s_delay_alu instid0(SALU_CYCLE_1) | instskip(NEXT) | instid1(SALU_CYCLE_1)
	s_bitset1_b32 s0, 10
	s_mov_b32 m0, s0
	s_sendmsg sendmsg(MSG_INTERRUPT)
	s_mov_b32 m0, ttmp2
.LBB4_11170:                            ; =>This Inner Loop Header: Depth=1
	s_sethalt 5
	s_branch .LBB4_11170
.LBB4_11171:
	s_trap 2
	s_sendmsg_rtn_b32 s0, sendmsg(MSG_RTN_GET_DOORBELL)
	s_mov_b32 ttmp2, m0
	s_waitcnt lgkmcnt(0)
	s_and_b32 s0, s0, 0x3ff
	s_delay_alu instid0(SALU_CYCLE_1) | instskip(NEXT) | instid1(SALU_CYCLE_1)
	s_bitset1_b32 s0, 10
	s_mov_b32 m0, s0
	s_sendmsg sendmsg(MSG_INTERRUPT)
	s_mov_b32 m0, ttmp2
.LBB4_11172:                            ; =>This Inner Loop Header: Depth=1
	s_sethalt 5
	s_branch .LBB4_11172
.LBB4_11173:
	s_trap 2
	s_sendmsg_rtn_b32 s0, sendmsg(MSG_RTN_GET_DOORBELL)
	s_mov_b32 ttmp2, m0
	s_waitcnt lgkmcnt(0)
	s_and_b32 s0, s0, 0x3ff
	s_delay_alu instid0(SALU_CYCLE_1) | instskip(NEXT) | instid1(SALU_CYCLE_1)
	s_bitset1_b32 s0, 10
	s_mov_b32 m0, s0
	s_sendmsg sendmsg(MSG_INTERRUPT)
	s_mov_b32 m0, ttmp2
.LBB4_11174:                            ; =>This Inner Loop Header: Depth=1
	s_sethalt 5
	s_branch .LBB4_11174
.LBB4_11175:
	s_trap 2
	s_sendmsg_rtn_b32 s0, sendmsg(MSG_RTN_GET_DOORBELL)
	s_mov_b32 ttmp2, m0
	s_waitcnt lgkmcnt(0)
	s_and_b32 s0, s0, 0x3ff
	s_delay_alu instid0(SALU_CYCLE_1) | instskip(NEXT) | instid1(SALU_CYCLE_1)
	s_bitset1_b32 s0, 10
	s_mov_b32 m0, s0
	s_sendmsg sendmsg(MSG_INTERRUPT)
	s_mov_b32 m0, ttmp2
.LBB4_11176:                            ; =>This Inner Loop Header: Depth=1
	s_sethalt 5
	s_branch .LBB4_11176
.LBB4_11177:
	s_trap 2
	s_sendmsg_rtn_b32 s0, sendmsg(MSG_RTN_GET_DOORBELL)
	s_mov_b32 ttmp2, m0
	s_waitcnt lgkmcnt(0)
	s_and_b32 s0, s0, 0x3ff
	s_delay_alu instid0(SALU_CYCLE_1) | instskip(NEXT) | instid1(SALU_CYCLE_1)
	s_bitset1_b32 s0, 10
	s_mov_b32 m0, s0
	s_sendmsg sendmsg(MSG_INTERRUPT)
	s_mov_b32 m0, ttmp2
.LBB4_11178:                            ; =>This Inner Loop Header: Depth=1
	s_sethalt 5
	s_branch .LBB4_11178
.LBB4_11179:
	s_trap 2
	s_sendmsg_rtn_b32 s0, sendmsg(MSG_RTN_GET_DOORBELL)
	s_mov_b32 ttmp2, m0
	s_waitcnt lgkmcnt(0)
	s_and_b32 s0, s0, 0x3ff
	s_delay_alu instid0(SALU_CYCLE_1) | instskip(NEXT) | instid1(SALU_CYCLE_1)
	s_bitset1_b32 s0, 10
	s_mov_b32 m0, s0
	s_sendmsg sendmsg(MSG_INTERRUPT)
	s_mov_b32 m0, ttmp2
.LBB4_11180:                            ; =>This Inner Loop Header: Depth=1
	s_sethalt 5
	s_branch .LBB4_11180
.LBB4_11181:
	s_trap 2
	s_sendmsg_rtn_b32 s0, sendmsg(MSG_RTN_GET_DOORBELL)
	s_mov_b32 ttmp2, m0
	s_waitcnt lgkmcnt(0)
	s_and_b32 s0, s0, 0x3ff
	s_delay_alu instid0(SALU_CYCLE_1) | instskip(NEXT) | instid1(SALU_CYCLE_1)
	s_bitset1_b32 s0, 10
	s_mov_b32 m0, s0
	s_sendmsg sendmsg(MSG_INTERRUPT)
	s_mov_b32 m0, ttmp2
.LBB4_11182:                            ; =>This Inner Loop Header: Depth=1
	s_sethalt 5
	s_branch .LBB4_11182
.LBB4_11183:
	s_trap 2
	s_sendmsg_rtn_b32 s0, sendmsg(MSG_RTN_GET_DOORBELL)
	s_mov_b32 ttmp2, m0
	s_waitcnt lgkmcnt(0)
	s_and_b32 s0, s0, 0x3ff
	s_delay_alu instid0(SALU_CYCLE_1) | instskip(NEXT) | instid1(SALU_CYCLE_1)
	s_bitset1_b32 s0, 10
	s_mov_b32 m0, s0
	s_sendmsg sendmsg(MSG_INTERRUPT)
	s_mov_b32 m0, ttmp2
.LBB4_11184:                            ; =>This Inner Loop Header: Depth=1
	s_sethalt 5
	s_branch .LBB4_11184
.LBB4_11185:
	s_trap 2
	s_sendmsg_rtn_b32 s0, sendmsg(MSG_RTN_GET_DOORBELL)
	s_mov_b32 ttmp2, m0
	s_waitcnt lgkmcnt(0)
	s_and_b32 s0, s0, 0x3ff
	s_delay_alu instid0(SALU_CYCLE_1) | instskip(NEXT) | instid1(SALU_CYCLE_1)
	s_bitset1_b32 s0, 10
	s_mov_b32 m0, s0
	s_sendmsg sendmsg(MSG_INTERRUPT)
	s_mov_b32 m0, ttmp2
.LBB4_11186:                            ; =>This Inner Loop Header: Depth=1
	s_sethalt 5
	s_branch .LBB4_11186
.LBB4_11187:
	s_trap 2
	s_sendmsg_rtn_b32 s0, sendmsg(MSG_RTN_GET_DOORBELL)
	s_mov_b32 ttmp2, m0
	s_waitcnt lgkmcnt(0)
	s_and_b32 s0, s0, 0x3ff
	s_delay_alu instid0(SALU_CYCLE_1) | instskip(NEXT) | instid1(SALU_CYCLE_1)
	s_bitset1_b32 s0, 10
	s_mov_b32 m0, s0
	s_sendmsg sendmsg(MSG_INTERRUPT)
	s_mov_b32 m0, ttmp2
.LBB4_11188:                            ; =>This Inner Loop Header: Depth=1
	s_sethalt 5
	s_branch .LBB4_11188
.LBB4_11189:
	s_trap 2
	s_sendmsg_rtn_b32 s0, sendmsg(MSG_RTN_GET_DOORBELL)
	s_mov_b32 ttmp2, m0
	s_waitcnt lgkmcnt(0)
	s_and_b32 s0, s0, 0x3ff
	s_delay_alu instid0(SALU_CYCLE_1) | instskip(NEXT) | instid1(SALU_CYCLE_1)
	s_bitset1_b32 s0, 10
	s_mov_b32 m0, s0
	s_sendmsg sendmsg(MSG_INTERRUPT)
	s_mov_b32 m0, ttmp2
.LBB4_11190:                            ; =>This Inner Loop Header: Depth=1
	s_sethalt 5
	s_branch .LBB4_11190
.LBB4_11191:
	s_trap 2
	s_sendmsg_rtn_b32 s0, sendmsg(MSG_RTN_GET_DOORBELL)
	s_mov_b32 ttmp2, m0
	s_waitcnt lgkmcnt(0)
	s_and_b32 s0, s0, 0x3ff
	s_delay_alu instid0(SALU_CYCLE_1) | instskip(NEXT) | instid1(SALU_CYCLE_1)
	s_bitset1_b32 s0, 10
	s_mov_b32 m0, s0
	s_sendmsg sendmsg(MSG_INTERRUPT)
	s_mov_b32 m0, ttmp2
.LBB4_11192:                            ; =>This Inner Loop Header: Depth=1
	s_sethalt 5
	s_branch .LBB4_11192
.LBB4_11193:
	s_trap 2
	s_sendmsg_rtn_b32 s0, sendmsg(MSG_RTN_GET_DOORBELL)
	s_mov_b32 ttmp2, m0
	s_waitcnt lgkmcnt(0)
	s_and_b32 s0, s0, 0x3ff
	s_delay_alu instid0(SALU_CYCLE_1) | instskip(NEXT) | instid1(SALU_CYCLE_1)
	s_bitset1_b32 s0, 10
	s_mov_b32 m0, s0
	s_sendmsg sendmsg(MSG_INTERRUPT)
	s_mov_b32 m0, ttmp2
.LBB4_11194:                            ; =>This Inner Loop Header: Depth=1
	s_sethalt 5
	s_branch .LBB4_11194
.LBB4_11195:
	s_trap 2
	s_sendmsg_rtn_b32 s0, sendmsg(MSG_RTN_GET_DOORBELL)
	s_mov_b32 ttmp2, m0
	s_waitcnt lgkmcnt(0)
	s_and_b32 s0, s0, 0x3ff
	s_delay_alu instid0(SALU_CYCLE_1) | instskip(NEXT) | instid1(SALU_CYCLE_1)
	s_bitset1_b32 s0, 10
	s_mov_b32 m0, s0
	s_sendmsg sendmsg(MSG_INTERRUPT)
	s_mov_b32 m0, ttmp2
.LBB4_11196:                            ; =>This Inner Loop Header: Depth=1
	s_sethalt 5
	s_branch .LBB4_11196
.LBB4_11197:
	s_trap 2
	s_sendmsg_rtn_b32 s0, sendmsg(MSG_RTN_GET_DOORBELL)
	s_mov_b32 ttmp2, m0
	s_waitcnt lgkmcnt(0)
	s_and_b32 s0, s0, 0x3ff
	s_delay_alu instid0(SALU_CYCLE_1) | instskip(NEXT) | instid1(SALU_CYCLE_1)
	s_bitset1_b32 s0, 10
	s_mov_b32 m0, s0
	s_sendmsg sendmsg(MSG_INTERRUPT)
	s_mov_b32 m0, ttmp2
.LBB4_11198:                            ; =>This Inner Loop Header: Depth=1
	s_sethalt 5
	s_branch .LBB4_11198
.LBB4_11199:
	s_trap 2
	s_sendmsg_rtn_b32 s0, sendmsg(MSG_RTN_GET_DOORBELL)
	s_mov_b32 ttmp2, m0
	s_waitcnt lgkmcnt(0)
	s_and_b32 s0, s0, 0x3ff
	s_delay_alu instid0(SALU_CYCLE_1) | instskip(NEXT) | instid1(SALU_CYCLE_1)
	s_bitset1_b32 s0, 10
	s_mov_b32 m0, s0
	s_sendmsg sendmsg(MSG_INTERRUPT)
	s_mov_b32 m0, ttmp2
.LBB4_11200:                            ; =>This Inner Loop Header: Depth=1
	s_sethalt 5
	s_branch .LBB4_11200
.LBB4_11201:
	s_trap 2
	s_sendmsg_rtn_b32 s0, sendmsg(MSG_RTN_GET_DOORBELL)
	s_mov_b32 ttmp2, m0
	s_waitcnt lgkmcnt(0)
	s_and_b32 s0, s0, 0x3ff
	s_delay_alu instid0(SALU_CYCLE_1) | instskip(NEXT) | instid1(SALU_CYCLE_1)
	s_bitset1_b32 s0, 10
	s_mov_b32 m0, s0
	s_sendmsg sendmsg(MSG_INTERRUPT)
	s_mov_b32 m0, ttmp2
.LBB4_11202:                            ; =>This Inner Loop Header: Depth=1
	s_sethalt 5
	s_branch .LBB4_11202
.LBB4_11203:
	s_trap 2
	s_sendmsg_rtn_b32 s0, sendmsg(MSG_RTN_GET_DOORBELL)
	s_mov_b32 ttmp2, m0
	s_waitcnt lgkmcnt(0)
	s_and_b32 s0, s0, 0x3ff
	s_delay_alu instid0(SALU_CYCLE_1) | instskip(NEXT) | instid1(SALU_CYCLE_1)
	s_bitset1_b32 s0, 10
	s_mov_b32 m0, s0
	s_sendmsg sendmsg(MSG_INTERRUPT)
	s_mov_b32 m0, ttmp2
.LBB4_11204:                            ; =>This Inner Loop Header: Depth=1
	s_sethalt 5
	s_branch .LBB4_11204
.LBB4_11205:
	s_trap 2
	s_sendmsg_rtn_b32 s0, sendmsg(MSG_RTN_GET_DOORBELL)
	s_mov_b32 ttmp2, m0
	s_waitcnt lgkmcnt(0)
	s_and_b32 s0, s0, 0x3ff
	s_delay_alu instid0(SALU_CYCLE_1) | instskip(NEXT) | instid1(SALU_CYCLE_1)
	s_bitset1_b32 s0, 10
	s_mov_b32 m0, s0
	s_sendmsg sendmsg(MSG_INTERRUPT)
	s_mov_b32 m0, ttmp2
.LBB4_11206:                            ; =>This Inner Loop Header: Depth=1
	s_sethalt 5
	s_branch .LBB4_11206
.LBB4_11207:
	s_trap 2
	s_sendmsg_rtn_b32 s0, sendmsg(MSG_RTN_GET_DOORBELL)
	s_mov_b32 ttmp2, m0
	s_waitcnt lgkmcnt(0)
	s_and_b32 s0, s0, 0x3ff
	s_delay_alu instid0(SALU_CYCLE_1) | instskip(NEXT) | instid1(SALU_CYCLE_1)
	s_bitset1_b32 s0, 10
	s_mov_b32 m0, s0
	s_sendmsg sendmsg(MSG_INTERRUPT)
	s_mov_b32 m0, ttmp2
.LBB4_11208:                            ; =>This Inner Loop Header: Depth=1
	s_sethalt 5
	s_branch .LBB4_11208
.LBB4_11209:
	s_trap 2
	s_sendmsg_rtn_b32 s0, sendmsg(MSG_RTN_GET_DOORBELL)
	s_mov_b32 ttmp2, m0
	s_waitcnt lgkmcnt(0)
	s_and_b32 s0, s0, 0x3ff
	s_delay_alu instid0(SALU_CYCLE_1) | instskip(NEXT) | instid1(SALU_CYCLE_1)
	s_bitset1_b32 s0, 10
	s_mov_b32 m0, s0
	s_sendmsg sendmsg(MSG_INTERRUPT)
	s_mov_b32 m0, ttmp2
.LBB4_11210:                            ; =>This Inner Loop Header: Depth=1
	s_sethalt 5
	s_branch .LBB4_11210
.LBB4_11211:
	s_trap 2
	s_sendmsg_rtn_b32 s0, sendmsg(MSG_RTN_GET_DOORBELL)
	s_mov_b32 ttmp2, m0
	s_waitcnt lgkmcnt(0)
	s_and_b32 s0, s0, 0x3ff
	s_delay_alu instid0(SALU_CYCLE_1) | instskip(NEXT) | instid1(SALU_CYCLE_1)
	s_bitset1_b32 s0, 10
	s_mov_b32 m0, s0
	s_sendmsg sendmsg(MSG_INTERRUPT)
	s_mov_b32 m0, ttmp2
.LBB4_11212:                            ; =>This Inner Loop Header: Depth=1
	s_sethalt 5
	s_branch .LBB4_11212
.LBB4_11213:
	s_trap 2
	s_sendmsg_rtn_b32 s0, sendmsg(MSG_RTN_GET_DOORBELL)
	s_mov_b32 ttmp2, m0
	s_waitcnt lgkmcnt(0)
	s_and_b32 s0, s0, 0x3ff
	s_delay_alu instid0(SALU_CYCLE_1) | instskip(NEXT) | instid1(SALU_CYCLE_1)
	s_bitset1_b32 s0, 10
	s_mov_b32 m0, s0
	s_sendmsg sendmsg(MSG_INTERRUPT)
	s_mov_b32 m0, ttmp2
.LBB4_11214:                            ; =>This Inner Loop Header: Depth=1
	s_sethalt 5
	s_branch .LBB4_11214
.LBB4_11215:
	s_trap 2
	s_sendmsg_rtn_b32 s0, sendmsg(MSG_RTN_GET_DOORBELL)
	s_mov_b32 ttmp2, m0
	s_waitcnt lgkmcnt(0)
	s_and_b32 s0, s0, 0x3ff
	s_delay_alu instid0(SALU_CYCLE_1) | instskip(NEXT) | instid1(SALU_CYCLE_1)
	s_bitset1_b32 s0, 10
	s_mov_b32 m0, s0
	s_sendmsg sendmsg(MSG_INTERRUPT)
	s_mov_b32 m0, ttmp2
.LBB4_11216:                            ; =>This Inner Loop Header: Depth=1
	s_sethalt 5
	s_branch .LBB4_11216
.LBB4_11217:
	s_trap 2
	s_sendmsg_rtn_b32 s0, sendmsg(MSG_RTN_GET_DOORBELL)
	s_mov_b32 ttmp2, m0
	s_waitcnt lgkmcnt(0)
	s_and_b32 s0, s0, 0x3ff
	s_delay_alu instid0(SALU_CYCLE_1) | instskip(NEXT) | instid1(SALU_CYCLE_1)
	s_bitset1_b32 s0, 10
	s_mov_b32 m0, s0
	s_sendmsg sendmsg(MSG_INTERRUPT)
	s_mov_b32 m0, ttmp2
.LBB4_11218:                            ; =>This Inner Loop Header: Depth=1
	s_sethalt 5
	s_branch .LBB4_11218
.LBB4_11219:
	s_trap 2
	s_sendmsg_rtn_b32 s0, sendmsg(MSG_RTN_GET_DOORBELL)
	s_mov_b32 ttmp2, m0
	s_waitcnt lgkmcnt(0)
	s_and_b32 s0, s0, 0x3ff
	s_delay_alu instid0(SALU_CYCLE_1) | instskip(NEXT) | instid1(SALU_CYCLE_1)
	s_bitset1_b32 s0, 10
	s_mov_b32 m0, s0
	s_sendmsg sendmsg(MSG_INTERRUPT)
	s_mov_b32 m0, ttmp2
.LBB4_11220:                            ; =>This Inner Loop Header: Depth=1
	s_sethalt 5
	s_branch .LBB4_11220
.LBB4_11221:
	s_trap 2
	s_sendmsg_rtn_b32 s0, sendmsg(MSG_RTN_GET_DOORBELL)
	s_mov_b32 ttmp2, m0
	s_waitcnt lgkmcnt(0)
	s_and_b32 s0, s0, 0x3ff
	s_delay_alu instid0(SALU_CYCLE_1) | instskip(NEXT) | instid1(SALU_CYCLE_1)
	s_bitset1_b32 s0, 10
	s_mov_b32 m0, s0
	s_sendmsg sendmsg(MSG_INTERRUPT)
	s_mov_b32 m0, ttmp2
.LBB4_11222:                            ; =>This Inner Loop Header: Depth=1
	s_sethalt 5
	s_branch .LBB4_11222
.LBB4_11223:
	s_trap 2
	s_sendmsg_rtn_b32 s0, sendmsg(MSG_RTN_GET_DOORBELL)
	s_mov_b32 ttmp2, m0
	s_waitcnt lgkmcnt(0)
	s_and_b32 s0, s0, 0x3ff
	s_delay_alu instid0(SALU_CYCLE_1) | instskip(NEXT) | instid1(SALU_CYCLE_1)
	s_bitset1_b32 s0, 10
	s_mov_b32 m0, s0
	s_sendmsg sendmsg(MSG_INTERRUPT)
	s_mov_b32 m0, ttmp2
.LBB4_11224:                            ; =>This Inner Loop Header: Depth=1
	s_sethalt 5
	s_branch .LBB4_11224
.LBB4_11225:
	s_trap 2
	s_sendmsg_rtn_b32 s0, sendmsg(MSG_RTN_GET_DOORBELL)
	s_mov_b32 ttmp2, m0
	s_waitcnt lgkmcnt(0)
	s_and_b32 s0, s0, 0x3ff
	s_delay_alu instid0(SALU_CYCLE_1) | instskip(NEXT) | instid1(SALU_CYCLE_1)
	s_bitset1_b32 s0, 10
	s_mov_b32 m0, s0
	s_sendmsg sendmsg(MSG_INTERRUPT)
	s_mov_b32 m0, ttmp2
.LBB4_11226:                            ; =>This Inner Loop Header: Depth=1
	s_sethalt 5
	s_branch .LBB4_11226
.LBB4_11227:
	s_trap 2
	s_sendmsg_rtn_b32 s0, sendmsg(MSG_RTN_GET_DOORBELL)
	s_mov_b32 ttmp2, m0
	s_waitcnt lgkmcnt(0)
	s_and_b32 s0, s0, 0x3ff
	s_delay_alu instid0(SALU_CYCLE_1) | instskip(NEXT) | instid1(SALU_CYCLE_1)
	s_bitset1_b32 s0, 10
	s_mov_b32 m0, s0
	s_sendmsg sendmsg(MSG_INTERRUPT)
	s_mov_b32 m0, ttmp2
.LBB4_11228:                            ; =>This Inner Loop Header: Depth=1
	s_sethalt 5
	s_branch .LBB4_11228
.LBB4_11229:
	s_trap 2
	s_sendmsg_rtn_b32 s0, sendmsg(MSG_RTN_GET_DOORBELL)
	s_mov_b32 ttmp2, m0
	s_waitcnt lgkmcnt(0)
	s_and_b32 s0, s0, 0x3ff
	s_delay_alu instid0(SALU_CYCLE_1) | instskip(NEXT) | instid1(SALU_CYCLE_1)
	s_bitset1_b32 s0, 10
	s_mov_b32 m0, s0
	s_sendmsg sendmsg(MSG_INTERRUPT)
	s_mov_b32 m0, ttmp2
.LBB4_11230:                            ; =>This Inner Loop Header: Depth=1
	s_sethalt 5
	s_branch .LBB4_11230
.LBB4_11231:
	s_trap 2
	s_sendmsg_rtn_b32 s0, sendmsg(MSG_RTN_GET_DOORBELL)
	s_mov_b32 ttmp2, m0
	s_waitcnt lgkmcnt(0)
	s_and_b32 s0, s0, 0x3ff
	s_delay_alu instid0(SALU_CYCLE_1) | instskip(NEXT) | instid1(SALU_CYCLE_1)
	s_bitset1_b32 s0, 10
	s_mov_b32 m0, s0
	s_sendmsg sendmsg(MSG_INTERRUPT)
	s_mov_b32 m0, ttmp2
.LBB4_11232:                            ; =>This Inner Loop Header: Depth=1
	s_sethalt 5
	s_branch .LBB4_11232
.LBB4_11233:
	s_trap 2
	s_sendmsg_rtn_b32 s0, sendmsg(MSG_RTN_GET_DOORBELL)
	s_mov_b32 ttmp2, m0
	s_waitcnt lgkmcnt(0)
	s_and_b32 s0, s0, 0x3ff
	s_delay_alu instid0(SALU_CYCLE_1) | instskip(NEXT) | instid1(SALU_CYCLE_1)
	s_bitset1_b32 s0, 10
	s_mov_b32 m0, s0
	s_sendmsg sendmsg(MSG_INTERRUPT)
	s_mov_b32 m0, ttmp2
.LBB4_11234:                            ; =>This Inner Loop Header: Depth=1
	s_sethalt 5
	s_branch .LBB4_11234
.LBB4_11235:
	s_trap 2
	s_sendmsg_rtn_b32 s0, sendmsg(MSG_RTN_GET_DOORBELL)
	s_mov_b32 ttmp2, m0
	s_waitcnt lgkmcnt(0)
	s_and_b32 s0, s0, 0x3ff
	s_delay_alu instid0(SALU_CYCLE_1) | instskip(NEXT) | instid1(SALU_CYCLE_1)
	s_bitset1_b32 s0, 10
	s_mov_b32 m0, s0
	s_sendmsg sendmsg(MSG_INTERRUPT)
	s_mov_b32 m0, ttmp2
.LBB4_11236:                            ; =>This Inner Loop Header: Depth=1
	s_sethalt 5
	s_branch .LBB4_11236
.LBB4_11237:
	s_trap 2
	s_sendmsg_rtn_b32 s0, sendmsg(MSG_RTN_GET_DOORBELL)
	s_mov_b32 ttmp2, m0
	s_waitcnt lgkmcnt(0)
	s_and_b32 s0, s0, 0x3ff
	s_delay_alu instid0(SALU_CYCLE_1) | instskip(NEXT) | instid1(SALU_CYCLE_1)
	s_bitset1_b32 s0, 10
	s_mov_b32 m0, s0
	s_sendmsg sendmsg(MSG_INTERRUPT)
	s_mov_b32 m0, ttmp2
.LBB4_11238:                            ; =>This Inner Loop Header: Depth=1
	s_sethalt 5
	s_branch .LBB4_11238
.LBB4_11239:
	s_trap 2
	s_sendmsg_rtn_b32 s0, sendmsg(MSG_RTN_GET_DOORBELL)
	s_mov_b32 ttmp2, m0
	s_waitcnt lgkmcnt(0)
	s_and_b32 s0, s0, 0x3ff
	s_delay_alu instid0(SALU_CYCLE_1) | instskip(NEXT) | instid1(SALU_CYCLE_1)
	s_bitset1_b32 s0, 10
	s_mov_b32 m0, s0
	s_sendmsg sendmsg(MSG_INTERRUPT)
	s_mov_b32 m0, ttmp2
.LBB4_11240:                            ; =>This Inner Loop Header: Depth=1
	s_sethalt 5
	s_branch .LBB4_11240
.LBB4_11241:
	s_trap 2
	s_sendmsg_rtn_b32 s0, sendmsg(MSG_RTN_GET_DOORBELL)
	s_mov_b32 ttmp2, m0
	s_waitcnt lgkmcnt(0)
	s_and_b32 s0, s0, 0x3ff
	s_delay_alu instid0(SALU_CYCLE_1) | instskip(NEXT) | instid1(SALU_CYCLE_1)
	s_bitset1_b32 s0, 10
	s_mov_b32 m0, s0
	s_sendmsg sendmsg(MSG_INTERRUPT)
	s_mov_b32 m0, ttmp2
.LBB4_11242:                            ; =>This Inner Loop Header: Depth=1
	s_sethalt 5
	s_branch .LBB4_11242
.LBB4_11243:
	s_trap 2
	s_sendmsg_rtn_b32 s0, sendmsg(MSG_RTN_GET_DOORBELL)
	s_mov_b32 ttmp2, m0
	s_waitcnt lgkmcnt(0)
	s_and_b32 s0, s0, 0x3ff
	s_delay_alu instid0(SALU_CYCLE_1) | instskip(NEXT) | instid1(SALU_CYCLE_1)
	s_bitset1_b32 s0, 10
	s_mov_b32 m0, s0
	s_sendmsg sendmsg(MSG_INTERRUPT)
	s_mov_b32 m0, ttmp2
.LBB4_11244:                            ; =>This Inner Loop Header: Depth=1
	s_sethalt 5
	s_branch .LBB4_11244
.LBB4_11245:
	s_trap 2
	s_sendmsg_rtn_b32 s0, sendmsg(MSG_RTN_GET_DOORBELL)
	s_mov_b32 ttmp2, m0
	s_waitcnt lgkmcnt(0)
	s_and_b32 s0, s0, 0x3ff
	s_delay_alu instid0(SALU_CYCLE_1) | instskip(NEXT) | instid1(SALU_CYCLE_1)
	s_bitset1_b32 s0, 10
	s_mov_b32 m0, s0
	s_sendmsg sendmsg(MSG_INTERRUPT)
	s_mov_b32 m0, ttmp2
.LBB4_11246:                            ; =>This Inner Loop Header: Depth=1
	s_sethalt 5
	s_branch .LBB4_11246
.LBB4_11247:
	s_trap 2
	s_sendmsg_rtn_b32 s0, sendmsg(MSG_RTN_GET_DOORBELL)
	s_mov_b32 ttmp2, m0
	s_waitcnt lgkmcnt(0)
	s_and_b32 s0, s0, 0x3ff
	s_delay_alu instid0(SALU_CYCLE_1) | instskip(NEXT) | instid1(SALU_CYCLE_1)
	s_bitset1_b32 s0, 10
	s_mov_b32 m0, s0
	s_sendmsg sendmsg(MSG_INTERRUPT)
	s_mov_b32 m0, ttmp2
.LBB4_11248:                            ; =>This Inner Loop Header: Depth=1
	s_sethalt 5
	s_branch .LBB4_11248
.LBB4_11249:
	s_trap 2
	s_sendmsg_rtn_b32 s0, sendmsg(MSG_RTN_GET_DOORBELL)
	s_mov_b32 ttmp2, m0
	s_waitcnt lgkmcnt(0)
	s_and_b32 s0, s0, 0x3ff
	s_delay_alu instid0(SALU_CYCLE_1) | instskip(NEXT) | instid1(SALU_CYCLE_1)
	s_bitset1_b32 s0, 10
	s_mov_b32 m0, s0
	s_sendmsg sendmsg(MSG_INTERRUPT)
	s_mov_b32 m0, ttmp2
.LBB4_11250:                            ; =>This Inner Loop Header: Depth=1
	s_sethalt 5
	s_branch .LBB4_11250
.LBB4_11251:
	s_trap 2
	s_sendmsg_rtn_b32 s0, sendmsg(MSG_RTN_GET_DOORBELL)
	s_mov_b32 ttmp2, m0
	s_waitcnt lgkmcnt(0)
	s_and_b32 s0, s0, 0x3ff
	s_delay_alu instid0(SALU_CYCLE_1) | instskip(NEXT) | instid1(SALU_CYCLE_1)
	s_bitset1_b32 s0, 10
	s_mov_b32 m0, s0
	s_sendmsg sendmsg(MSG_INTERRUPT)
	s_mov_b32 m0, ttmp2
.LBB4_11252:                            ; =>This Inner Loop Header: Depth=1
	s_sethalt 5
	s_branch .LBB4_11252
.LBB4_11253:
	s_trap 2
	s_sendmsg_rtn_b32 s0, sendmsg(MSG_RTN_GET_DOORBELL)
	s_mov_b32 ttmp2, m0
	s_waitcnt lgkmcnt(0)
	s_and_b32 s0, s0, 0x3ff
	s_delay_alu instid0(SALU_CYCLE_1) | instskip(NEXT) | instid1(SALU_CYCLE_1)
	s_bitset1_b32 s0, 10
	s_mov_b32 m0, s0
	s_sendmsg sendmsg(MSG_INTERRUPT)
	s_mov_b32 m0, ttmp2
.LBB4_11254:                            ; =>This Inner Loop Header: Depth=1
	s_sethalt 5
	s_branch .LBB4_11254
.LBB4_11255:
	s_trap 2
	s_sendmsg_rtn_b32 s0, sendmsg(MSG_RTN_GET_DOORBELL)
	s_mov_b32 ttmp2, m0
	s_waitcnt lgkmcnt(0)
	s_and_b32 s0, s0, 0x3ff
	s_delay_alu instid0(SALU_CYCLE_1) | instskip(NEXT) | instid1(SALU_CYCLE_1)
	s_bitset1_b32 s0, 10
	s_mov_b32 m0, s0
	s_sendmsg sendmsg(MSG_INTERRUPT)
	s_mov_b32 m0, ttmp2
.LBB4_11256:                            ; =>This Inner Loop Header: Depth=1
	s_sethalt 5
	s_branch .LBB4_11256
.LBB4_11257:
	s_trap 2
	s_sendmsg_rtn_b32 s0, sendmsg(MSG_RTN_GET_DOORBELL)
	s_mov_b32 ttmp2, m0
	s_waitcnt lgkmcnt(0)
	s_and_b32 s0, s0, 0x3ff
	s_delay_alu instid0(SALU_CYCLE_1) | instskip(NEXT) | instid1(SALU_CYCLE_1)
	s_bitset1_b32 s0, 10
	s_mov_b32 m0, s0
	s_sendmsg sendmsg(MSG_INTERRUPT)
	s_mov_b32 m0, ttmp2
.LBB4_11258:                            ; =>This Inner Loop Header: Depth=1
	s_sethalt 5
	s_branch .LBB4_11258
.LBB4_11259:
	s_trap 2
	s_sendmsg_rtn_b32 s0, sendmsg(MSG_RTN_GET_DOORBELL)
	s_mov_b32 ttmp2, m0
	s_waitcnt lgkmcnt(0)
	s_and_b32 s0, s0, 0x3ff
	s_delay_alu instid0(SALU_CYCLE_1) | instskip(NEXT) | instid1(SALU_CYCLE_1)
	s_bitset1_b32 s0, 10
	s_mov_b32 m0, s0
	s_sendmsg sendmsg(MSG_INTERRUPT)
	s_mov_b32 m0, ttmp2
.LBB4_11260:                            ; =>This Inner Loop Header: Depth=1
	s_sethalt 5
	s_branch .LBB4_11260
.LBB4_11261:
	s_trap 2
	s_sendmsg_rtn_b32 s0, sendmsg(MSG_RTN_GET_DOORBELL)
	s_mov_b32 ttmp2, m0
	s_waitcnt lgkmcnt(0)
	s_and_b32 s0, s0, 0x3ff
	s_delay_alu instid0(SALU_CYCLE_1) | instskip(NEXT) | instid1(SALU_CYCLE_1)
	s_bitset1_b32 s0, 10
	s_mov_b32 m0, s0
	s_sendmsg sendmsg(MSG_INTERRUPT)
	s_mov_b32 m0, ttmp2
.LBB4_11262:                            ; =>This Inner Loop Header: Depth=1
	s_sethalt 5
	s_branch .LBB4_11262
.LBB4_11263:
	s_trap 2
	s_sendmsg_rtn_b32 s0, sendmsg(MSG_RTN_GET_DOORBELL)
	s_mov_b32 ttmp2, m0
	s_waitcnt lgkmcnt(0)
	s_and_b32 s0, s0, 0x3ff
	s_delay_alu instid0(SALU_CYCLE_1) | instskip(NEXT) | instid1(SALU_CYCLE_1)
	s_bitset1_b32 s0, 10
	s_mov_b32 m0, s0
	s_sendmsg sendmsg(MSG_INTERRUPT)
	s_mov_b32 m0, ttmp2
.LBB4_11264:                            ; =>This Inner Loop Header: Depth=1
	s_sethalt 5
	s_branch .LBB4_11264
.LBB4_11265:
	s_trap 2
	s_sendmsg_rtn_b32 s0, sendmsg(MSG_RTN_GET_DOORBELL)
	s_mov_b32 ttmp2, m0
	s_waitcnt lgkmcnt(0)
	s_and_b32 s0, s0, 0x3ff
	s_delay_alu instid0(SALU_CYCLE_1) | instskip(NEXT) | instid1(SALU_CYCLE_1)
	s_bitset1_b32 s0, 10
	s_mov_b32 m0, s0
	s_sendmsg sendmsg(MSG_INTERRUPT)
	s_mov_b32 m0, ttmp2
.LBB4_11266:                            ; =>This Inner Loop Header: Depth=1
	s_sethalt 5
	s_branch .LBB4_11266
.LBB4_11267:
	s_trap 2
	s_sendmsg_rtn_b32 s0, sendmsg(MSG_RTN_GET_DOORBELL)
	s_mov_b32 ttmp2, m0
	s_waitcnt lgkmcnt(0)
	s_and_b32 s0, s0, 0x3ff
	s_delay_alu instid0(SALU_CYCLE_1) | instskip(NEXT) | instid1(SALU_CYCLE_1)
	s_bitset1_b32 s0, 10
	s_mov_b32 m0, s0
	s_sendmsg sendmsg(MSG_INTERRUPT)
	s_mov_b32 m0, ttmp2
.LBB4_11268:                            ; =>This Inner Loop Header: Depth=1
	s_sethalt 5
	s_branch .LBB4_11268
.LBB4_11269:
	s_trap 2
	s_sendmsg_rtn_b32 s0, sendmsg(MSG_RTN_GET_DOORBELL)
	s_mov_b32 ttmp2, m0
	s_waitcnt lgkmcnt(0)
	s_and_b32 s0, s0, 0x3ff
	s_delay_alu instid0(SALU_CYCLE_1) | instskip(NEXT) | instid1(SALU_CYCLE_1)
	s_bitset1_b32 s0, 10
	s_mov_b32 m0, s0
	s_sendmsg sendmsg(MSG_INTERRUPT)
	s_mov_b32 m0, ttmp2
.LBB4_11270:                            ; =>This Inner Loop Header: Depth=1
	s_sethalt 5
	s_branch .LBB4_11270
.LBB4_11271:
	s_trap 2
	s_sendmsg_rtn_b32 s0, sendmsg(MSG_RTN_GET_DOORBELL)
	s_mov_b32 ttmp2, m0
	s_waitcnt lgkmcnt(0)
	s_and_b32 s0, s0, 0x3ff
	s_delay_alu instid0(SALU_CYCLE_1) | instskip(NEXT) | instid1(SALU_CYCLE_1)
	s_bitset1_b32 s0, 10
	s_mov_b32 m0, s0
	s_sendmsg sendmsg(MSG_INTERRUPT)
	s_mov_b32 m0, ttmp2
.LBB4_11272:                            ; =>This Inner Loop Header: Depth=1
	s_sethalt 5
	s_branch .LBB4_11272
.LBB4_11273:
	s_trap 2
	s_sendmsg_rtn_b32 s0, sendmsg(MSG_RTN_GET_DOORBELL)
	s_mov_b32 ttmp2, m0
	s_waitcnt lgkmcnt(0)
	s_and_b32 s0, s0, 0x3ff
	s_delay_alu instid0(SALU_CYCLE_1) | instskip(NEXT) | instid1(SALU_CYCLE_1)
	s_bitset1_b32 s0, 10
	s_mov_b32 m0, s0
	s_sendmsg sendmsg(MSG_INTERRUPT)
	s_mov_b32 m0, ttmp2
.LBB4_11274:                            ; =>This Inner Loop Header: Depth=1
	s_sethalt 5
	s_branch .LBB4_11274
.LBB4_11275:
	s_trap 2
	s_sendmsg_rtn_b32 s0, sendmsg(MSG_RTN_GET_DOORBELL)
	s_mov_b32 ttmp2, m0
	s_waitcnt lgkmcnt(0)
	s_and_b32 s0, s0, 0x3ff
	s_delay_alu instid0(SALU_CYCLE_1) | instskip(NEXT) | instid1(SALU_CYCLE_1)
	s_bitset1_b32 s0, 10
	s_mov_b32 m0, s0
	s_sendmsg sendmsg(MSG_INTERRUPT)
	s_mov_b32 m0, ttmp2
.LBB4_11276:                            ; =>This Inner Loop Header: Depth=1
	s_sethalt 5
	s_branch .LBB4_11276
.LBB4_11277:
	s_trap 2
	s_sendmsg_rtn_b32 s0, sendmsg(MSG_RTN_GET_DOORBELL)
	s_mov_b32 ttmp2, m0
	s_waitcnt lgkmcnt(0)
	s_and_b32 s0, s0, 0x3ff
	s_delay_alu instid0(SALU_CYCLE_1) | instskip(NEXT) | instid1(SALU_CYCLE_1)
	s_bitset1_b32 s0, 10
	s_mov_b32 m0, s0
	s_sendmsg sendmsg(MSG_INTERRUPT)
	s_mov_b32 m0, ttmp2
.LBB4_11278:                            ; =>This Inner Loop Header: Depth=1
	s_sethalt 5
	s_branch .LBB4_11278
.LBB4_11279:
	s_trap 2
	s_sendmsg_rtn_b32 s0, sendmsg(MSG_RTN_GET_DOORBELL)
	s_mov_b32 ttmp2, m0
	s_waitcnt lgkmcnt(0)
	s_and_b32 s0, s0, 0x3ff
	s_delay_alu instid0(SALU_CYCLE_1) | instskip(NEXT) | instid1(SALU_CYCLE_1)
	s_bitset1_b32 s0, 10
	s_mov_b32 m0, s0
	s_sendmsg sendmsg(MSG_INTERRUPT)
	s_mov_b32 m0, ttmp2
.LBB4_11280:                            ; =>This Inner Loop Header: Depth=1
	s_sethalt 5
	s_branch .LBB4_11280
.LBB4_11281:
	s_trap 2
	s_sendmsg_rtn_b32 s0, sendmsg(MSG_RTN_GET_DOORBELL)
	s_mov_b32 ttmp2, m0
	s_waitcnt lgkmcnt(0)
	s_and_b32 s0, s0, 0x3ff
	s_delay_alu instid0(SALU_CYCLE_1) | instskip(NEXT) | instid1(SALU_CYCLE_1)
	s_bitset1_b32 s0, 10
	s_mov_b32 m0, s0
	s_sendmsg sendmsg(MSG_INTERRUPT)
	s_mov_b32 m0, ttmp2
.LBB4_11282:                            ; =>This Inner Loop Header: Depth=1
	s_sethalt 5
	s_branch .LBB4_11282
.LBB4_11283:
	s_trap 2
	s_sendmsg_rtn_b32 s0, sendmsg(MSG_RTN_GET_DOORBELL)
	s_mov_b32 ttmp2, m0
	s_waitcnt lgkmcnt(0)
	s_and_b32 s0, s0, 0x3ff
	s_delay_alu instid0(SALU_CYCLE_1) | instskip(NEXT) | instid1(SALU_CYCLE_1)
	s_bitset1_b32 s0, 10
	s_mov_b32 m0, s0
	s_sendmsg sendmsg(MSG_INTERRUPT)
	s_mov_b32 m0, ttmp2
.LBB4_11284:                            ; =>This Inner Loop Header: Depth=1
	s_sethalt 5
	s_branch .LBB4_11284
.LBB4_11285:
	s_trap 2
	s_sendmsg_rtn_b32 s0, sendmsg(MSG_RTN_GET_DOORBELL)
	s_mov_b32 ttmp2, m0
	s_waitcnt lgkmcnt(0)
	s_and_b32 s0, s0, 0x3ff
	s_delay_alu instid0(SALU_CYCLE_1) | instskip(NEXT) | instid1(SALU_CYCLE_1)
	s_bitset1_b32 s0, 10
	s_mov_b32 m0, s0
	s_sendmsg sendmsg(MSG_INTERRUPT)
	s_mov_b32 m0, ttmp2
.LBB4_11286:                            ; =>This Inner Loop Header: Depth=1
	s_sethalt 5
	s_branch .LBB4_11286
.LBB4_11287:
	s_trap 2
	s_sendmsg_rtn_b32 s0, sendmsg(MSG_RTN_GET_DOORBELL)
	s_mov_b32 ttmp2, m0
	s_waitcnt lgkmcnt(0)
	s_and_b32 s0, s0, 0x3ff
	s_delay_alu instid0(SALU_CYCLE_1) | instskip(NEXT) | instid1(SALU_CYCLE_1)
	s_bitset1_b32 s0, 10
	s_mov_b32 m0, s0
	s_sendmsg sendmsg(MSG_INTERRUPT)
	s_mov_b32 m0, ttmp2
.LBB4_11288:                            ; =>This Inner Loop Header: Depth=1
	s_sethalt 5
	s_branch .LBB4_11288
.LBB4_11289:
	s_trap 2
	s_sendmsg_rtn_b32 s0, sendmsg(MSG_RTN_GET_DOORBELL)
	s_mov_b32 ttmp2, m0
	s_waitcnt lgkmcnt(0)
	s_and_b32 s0, s0, 0x3ff
	s_delay_alu instid0(SALU_CYCLE_1) | instskip(NEXT) | instid1(SALU_CYCLE_1)
	s_bitset1_b32 s0, 10
	s_mov_b32 m0, s0
	s_sendmsg sendmsg(MSG_INTERRUPT)
	s_mov_b32 m0, ttmp2
.LBB4_11290:                            ; =>This Inner Loop Header: Depth=1
	s_sethalt 5
	s_branch .LBB4_11290
.LBB4_11291:
	s_trap 2
	s_sendmsg_rtn_b32 s0, sendmsg(MSG_RTN_GET_DOORBELL)
	s_mov_b32 ttmp2, m0
	s_waitcnt lgkmcnt(0)
	s_and_b32 s0, s0, 0x3ff
	s_delay_alu instid0(SALU_CYCLE_1) | instskip(NEXT) | instid1(SALU_CYCLE_1)
	s_bitset1_b32 s0, 10
	s_mov_b32 m0, s0
	s_sendmsg sendmsg(MSG_INTERRUPT)
	s_mov_b32 m0, ttmp2
.LBB4_11292:                            ; =>This Inner Loop Header: Depth=1
	s_sethalt 5
	s_branch .LBB4_11292
.LBB4_11293:
	s_trap 2
	s_sendmsg_rtn_b32 s0, sendmsg(MSG_RTN_GET_DOORBELL)
	s_mov_b32 ttmp2, m0
	s_waitcnt lgkmcnt(0)
	s_and_b32 s0, s0, 0x3ff
	s_delay_alu instid0(SALU_CYCLE_1) | instskip(NEXT) | instid1(SALU_CYCLE_1)
	s_bitset1_b32 s0, 10
	s_mov_b32 m0, s0
	s_sendmsg sendmsg(MSG_INTERRUPT)
	s_mov_b32 m0, ttmp2
.LBB4_11294:                            ; =>This Inner Loop Header: Depth=1
	s_sethalt 5
	s_branch .LBB4_11294
.LBB4_11295:
	s_trap 2
	s_sendmsg_rtn_b32 s0, sendmsg(MSG_RTN_GET_DOORBELL)
	s_mov_b32 ttmp2, m0
	s_waitcnt lgkmcnt(0)
	s_and_b32 s0, s0, 0x3ff
	s_delay_alu instid0(SALU_CYCLE_1) | instskip(NEXT) | instid1(SALU_CYCLE_1)
	s_bitset1_b32 s0, 10
	s_mov_b32 m0, s0
	s_sendmsg sendmsg(MSG_INTERRUPT)
	s_mov_b32 m0, ttmp2
.LBB4_11296:                            ; =>This Inner Loop Header: Depth=1
	s_sethalt 5
	s_branch .LBB4_11296
.LBB4_11297:
	s_trap 2
	s_sendmsg_rtn_b32 s0, sendmsg(MSG_RTN_GET_DOORBELL)
	s_mov_b32 ttmp2, m0
	s_waitcnt lgkmcnt(0)
	s_and_b32 s0, s0, 0x3ff
	s_delay_alu instid0(SALU_CYCLE_1) | instskip(NEXT) | instid1(SALU_CYCLE_1)
	s_bitset1_b32 s0, 10
	s_mov_b32 m0, s0
	s_sendmsg sendmsg(MSG_INTERRUPT)
	s_mov_b32 m0, ttmp2
.LBB4_11298:                            ; =>This Inner Loop Header: Depth=1
	s_sethalt 5
	s_branch .LBB4_11298
.LBB4_11299:
	s_trap 2
	s_sendmsg_rtn_b32 s0, sendmsg(MSG_RTN_GET_DOORBELL)
	s_mov_b32 ttmp2, m0
	s_waitcnt lgkmcnt(0)
	s_and_b32 s0, s0, 0x3ff
	s_delay_alu instid0(SALU_CYCLE_1) | instskip(NEXT) | instid1(SALU_CYCLE_1)
	s_bitset1_b32 s0, 10
	s_mov_b32 m0, s0
	s_sendmsg sendmsg(MSG_INTERRUPT)
	s_mov_b32 m0, ttmp2
.LBB4_11300:                            ; =>This Inner Loop Header: Depth=1
	s_sethalt 5
	s_branch .LBB4_11300
.LBB4_11301:
	s_trap 2
	s_sendmsg_rtn_b32 s0, sendmsg(MSG_RTN_GET_DOORBELL)
	s_mov_b32 ttmp2, m0
	s_waitcnt lgkmcnt(0)
	s_and_b32 s0, s0, 0x3ff
	s_delay_alu instid0(SALU_CYCLE_1) | instskip(NEXT) | instid1(SALU_CYCLE_1)
	s_bitset1_b32 s0, 10
	s_mov_b32 m0, s0
	s_sendmsg sendmsg(MSG_INTERRUPT)
	s_mov_b32 m0, ttmp2
.LBB4_11302:                            ; =>This Inner Loop Header: Depth=1
	s_sethalt 5
	s_branch .LBB4_11302
.LBB4_11303:
	s_trap 2
	s_sendmsg_rtn_b32 s0, sendmsg(MSG_RTN_GET_DOORBELL)
	s_mov_b32 ttmp2, m0
	s_waitcnt lgkmcnt(0)
	s_and_b32 s0, s0, 0x3ff
	s_delay_alu instid0(SALU_CYCLE_1) | instskip(NEXT) | instid1(SALU_CYCLE_1)
	s_bitset1_b32 s0, 10
	s_mov_b32 m0, s0
	s_sendmsg sendmsg(MSG_INTERRUPT)
	s_mov_b32 m0, ttmp2
.LBB4_11304:                            ; =>This Inner Loop Header: Depth=1
	s_sethalt 5
	s_branch .LBB4_11304
.LBB4_11305:
	s_trap 2
	s_sendmsg_rtn_b32 s0, sendmsg(MSG_RTN_GET_DOORBELL)
	s_mov_b32 ttmp2, m0
	s_waitcnt lgkmcnt(0)
	s_and_b32 s0, s0, 0x3ff
	s_delay_alu instid0(SALU_CYCLE_1) | instskip(NEXT) | instid1(SALU_CYCLE_1)
	s_bitset1_b32 s0, 10
	s_mov_b32 m0, s0
	s_sendmsg sendmsg(MSG_INTERRUPT)
	s_mov_b32 m0, ttmp2
.LBB4_11306:                            ; =>This Inner Loop Header: Depth=1
	s_sethalt 5
	s_branch .LBB4_11306
.LBB4_11307:
	s_trap 2
	s_sendmsg_rtn_b32 s0, sendmsg(MSG_RTN_GET_DOORBELL)
	s_mov_b32 ttmp2, m0
	s_waitcnt lgkmcnt(0)
	s_and_b32 s0, s0, 0x3ff
	s_delay_alu instid0(SALU_CYCLE_1) | instskip(NEXT) | instid1(SALU_CYCLE_1)
	s_bitset1_b32 s0, 10
	s_mov_b32 m0, s0
	s_sendmsg sendmsg(MSG_INTERRUPT)
	s_mov_b32 m0, ttmp2
.LBB4_11308:                            ; =>This Inner Loop Header: Depth=1
	s_sethalt 5
	s_branch .LBB4_11308
.LBB4_11309:
	s_trap 2
	s_sendmsg_rtn_b32 s0, sendmsg(MSG_RTN_GET_DOORBELL)
	s_mov_b32 ttmp2, m0
	s_waitcnt lgkmcnt(0)
	s_and_b32 s0, s0, 0x3ff
	s_delay_alu instid0(SALU_CYCLE_1) | instskip(NEXT) | instid1(SALU_CYCLE_1)
	s_bitset1_b32 s0, 10
	s_mov_b32 m0, s0
	s_sendmsg sendmsg(MSG_INTERRUPT)
	s_mov_b32 m0, ttmp2
.LBB4_11310:                            ; =>This Inner Loop Header: Depth=1
	s_sethalt 5
	s_branch .LBB4_11310
.LBB4_11311:
	s_trap 2
	s_sendmsg_rtn_b32 s0, sendmsg(MSG_RTN_GET_DOORBELL)
	s_mov_b32 ttmp2, m0
	s_waitcnt lgkmcnt(0)
	s_and_b32 s0, s0, 0x3ff
	s_delay_alu instid0(SALU_CYCLE_1) | instskip(NEXT) | instid1(SALU_CYCLE_1)
	s_bitset1_b32 s0, 10
	s_mov_b32 m0, s0
	s_sendmsg sendmsg(MSG_INTERRUPT)
	s_mov_b32 m0, ttmp2
.LBB4_11312:                            ; =>This Inner Loop Header: Depth=1
	s_sethalt 5
	s_branch .LBB4_11312
.LBB4_11313:
	s_trap 2
	s_sendmsg_rtn_b32 s0, sendmsg(MSG_RTN_GET_DOORBELL)
	s_mov_b32 ttmp2, m0
	s_waitcnt lgkmcnt(0)
	s_and_b32 s0, s0, 0x3ff
	s_delay_alu instid0(SALU_CYCLE_1) | instskip(NEXT) | instid1(SALU_CYCLE_1)
	s_bitset1_b32 s0, 10
	s_mov_b32 m0, s0
	s_sendmsg sendmsg(MSG_INTERRUPT)
	s_mov_b32 m0, ttmp2
.LBB4_11314:                            ; =>This Inner Loop Header: Depth=1
	s_sethalt 5
	s_branch .LBB4_11314
.LBB4_11315:
	s_trap 2
	s_sendmsg_rtn_b32 s0, sendmsg(MSG_RTN_GET_DOORBELL)
	s_mov_b32 ttmp2, m0
	s_waitcnt lgkmcnt(0)
	s_and_b32 s0, s0, 0x3ff
	s_delay_alu instid0(SALU_CYCLE_1) | instskip(NEXT) | instid1(SALU_CYCLE_1)
	s_bitset1_b32 s0, 10
	s_mov_b32 m0, s0
	s_sendmsg sendmsg(MSG_INTERRUPT)
	s_mov_b32 m0, ttmp2
.LBB4_11316:                            ; =>This Inner Loop Header: Depth=1
	s_sethalt 5
	s_branch .LBB4_11316
.LBB4_11317:
	s_trap 2
	s_sendmsg_rtn_b32 s0, sendmsg(MSG_RTN_GET_DOORBELL)
	s_mov_b32 ttmp2, m0
	s_waitcnt lgkmcnt(0)
	s_and_b32 s0, s0, 0x3ff
	s_delay_alu instid0(SALU_CYCLE_1) | instskip(NEXT) | instid1(SALU_CYCLE_1)
	s_bitset1_b32 s0, 10
	s_mov_b32 m0, s0
	s_sendmsg sendmsg(MSG_INTERRUPT)
	s_mov_b32 m0, ttmp2
.LBB4_11318:                            ; =>This Inner Loop Header: Depth=1
	s_sethalt 5
	s_branch .LBB4_11318
.LBB4_11319:
	s_trap 2
	s_sendmsg_rtn_b32 s0, sendmsg(MSG_RTN_GET_DOORBELL)
	s_mov_b32 ttmp2, m0
	s_waitcnt lgkmcnt(0)
	s_and_b32 s0, s0, 0x3ff
	s_delay_alu instid0(SALU_CYCLE_1) | instskip(NEXT) | instid1(SALU_CYCLE_1)
	s_bitset1_b32 s0, 10
	s_mov_b32 m0, s0
	s_sendmsg sendmsg(MSG_INTERRUPT)
	s_mov_b32 m0, ttmp2
.LBB4_11320:                            ; =>This Inner Loop Header: Depth=1
	s_sethalt 5
	s_branch .LBB4_11320
.LBB4_11321:
	s_trap 2
	s_sendmsg_rtn_b32 s0, sendmsg(MSG_RTN_GET_DOORBELL)
	s_mov_b32 ttmp2, m0
	s_waitcnt lgkmcnt(0)
	s_and_b32 s0, s0, 0x3ff
	s_delay_alu instid0(SALU_CYCLE_1) | instskip(NEXT) | instid1(SALU_CYCLE_1)
	s_bitset1_b32 s0, 10
	s_mov_b32 m0, s0
	s_sendmsg sendmsg(MSG_INTERRUPT)
	s_mov_b32 m0, ttmp2
.LBB4_11322:                            ; =>This Inner Loop Header: Depth=1
	s_sethalt 5
	s_branch .LBB4_11322
.LBB4_11323:
	s_trap 2
	s_sendmsg_rtn_b32 s0, sendmsg(MSG_RTN_GET_DOORBELL)
	s_mov_b32 ttmp2, m0
	s_waitcnt lgkmcnt(0)
	s_and_b32 s0, s0, 0x3ff
	s_delay_alu instid0(SALU_CYCLE_1) | instskip(NEXT) | instid1(SALU_CYCLE_1)
	s_bitset1_b32 s0, 10
	s_mov_b32 m0, s0
	s_sendmsg sendmsg(MSG_INTERRUPT)
	s_mov_b32 m0, ttmp2
.LBB4_11324:                            ; =>This Inner Loop Header: Depth=1
	s_sethalt 5
	s_branch .LBB4_11324
.LBB4_11325:
	s_trap 2
	s_sendmsg_rtn_b32 s0, sendmsg(MSG_RTN_GET_DOORBELL)
	s_mov_b32 ttmp2, m0
	s_waitcnt lgkmcnt(0)
	s_and_b32 s0, s0, 0x3ff
	s_delay_alu instid0(SALU_CYCLE_1) | instskip(NEXT) | instid1(SALU_CYCLE_1)
	s_bitset1_b32 s0, 10
	s_mov_b32 m0, s0
	s_sendmsg sendmsg(MSG_INTERRUPT)
	s_mov_b32 m0, ttmp2
.LBB4_11326:                            ; =>This Inner Loop Header: Depth=1
	s_sethalt 5
	s_branch .LBB4_11326
.LBB4_11327:
	s_trap 2
	s_sendmsg_rtn_b32 s0, sendmsg(MSG_RTN_GET_DOORBELL)
	s_mov_b32 ttmp2, m0
	s_waitcnt lgkmcnt(0)
	s_and_b32 s0, s0, 0x3ff
	s_delay_alu instid0(SALU_CYCLE_1) | instskip(NEXT) | instid1(SALU_CYCLE_1)
	s_bitset1_b32 s0, 10
	s_mov_b32 m0, s0
	s_sendmsg sendmsg(MSG_INTERRUPT)
	s_mov_b32 m0, ttmp2
.LBB4_11328:                            ; =>This Inner Loop Header: Depth=1
	s_sethalt 5
	s_branch .LBB4_11328
.LBB4_11329:
	s_trap 2
	s_sendmsg_rtn_b32 s0, sendmsg(MSG_RTN_GET_DOORBELL)
	s_mov_b32 ttmp2, m0
	s_waitcnt lgkmcnt(0)
	s_and_b32 s0, s0, 0x3ff
	s_delay_alu instid0(SALU_CYCLE_1) | instskip(NEXT) | instid1(SALU_CYCLE_1)
	s_bitset1_b32 s0, 10
	s_mov_b32 m0, s0
	s_sendmsg sendmsg(MSG_INTERRUPT)
	s_mov_b32 m0, ttmp2
.LBB4_11330:                            ; =>This Inner Loop Header: Depth=1
	s_sethalt 5
	s_branch .LBB4_11330
.LBB4_11331:
	s_trap 2
	s_sendmsg_rtn_b32 s0, sendmsg(MSG_RTN_GET_DOORBELL)
	s_mov_b32 ttmp2, m0
	s_waitcnt lgkmcnt(0)
	s_and_b32 s0, s0, 0x3ff
	s_delay_alu instid0(SALU_CYCLE_1) | instskip(NEXT) | instid1(SALU_CYCLE_1)
	s_bitset1_b32 s0, 10
	s_mov_b32 m0, s0
	s_sendmsg sendmsg(MSG_INTERRUPT)
	s_mov_b32 m0, ttmp2
.LBB4_11332:                            ; =>This Inner Loop Header: Depth=1
	s_sethalt 5
	s_branch .LBB4_11332
.LBB4_11333:
	s_trap 2
	s_sendmsg_rtn_b32 s0, sendmsg(MSG_RTN_GET_DOORBELL)
	s_mov_b32 ttmp2, m0
	s_waitcnt lgkmcnt(0)
	s_and_b32 s0, s0, 0x3ff
	s_delay_alu instid0(SALU_CYCLE_1) | instskip(NEXT) | instid1(SALU_CYCLE_1)
	s_bitset1_b32 s0, 10
	s_mov_b32 m0, s0
	s_sendmsg sendmsg(MSG_INTERRUPT)
	s_mov_b32 m0, ttmp2
.LBB4_11334:                            ; =>This Inner Loop Header: Depth=1
	s_sethalt 5
	s_branch .LBB4_11334
.LBB4_11335:
	s_trap 2
	s_sendmsg_rtn_b32 s0, sendmsg(MSG_RTN_GET_DOORBELL)
	s_mov_b32 ttmp2, m0
	s_waitcnt lgkmcnt(0)
	s_and_b32 s0, s0, 0x3ff
	s_delay_alu instid0(SALU_CYCLE_1) | instskip(NEXT) | instid1(SALU_CYCLE_1)
	s_bitset1_b32 s0, 10
	s_mov_b32 m0, s0
	s_sendmsg sendmsg(MSG_INTERRUPT)
	s_mov_b32 m0, ttmp2
.LBB4_11336:                            ; =>This Inner Loop Header: Depth=1
	s_sethalt 5
	s_branch .LBB4_11336
.LBB4_11337:
	s_trap 2
	s_sendmsg_rtn_b32 s0, sendmsg(MSG_RTN_GET_DOORBELL)
	s_mov_b32 ttmp2, m0
	s_waitcnt lgkmcnt(0)
	s_and_b32 s0, s0, 0x3ff
	s_delay_alu instid0(SALU_CYCLE_1) | instskip(NEXT) | instid1(SALU_CYCLE_1)
	s_bitset1_b32 s0, 10
	s_mov_b32 m0, s0
	s_sendmsg sendmsg(MSG_INTERRUPT)
	s_mov_b32 m0, ttmp2
.LBB4_11338:                            ; =>This Inner Loop Header: Depth=1
	s_sethalt 5
	s_branch .LBB4_11338
.LBB4_11339:
	s_trap 2
	s_sendmsg_rtn_b32 s0, sendmsg(MSG_RTN_GET_DOORBELL)
	s_mov_b32 ttmp2, m0
	s_waitcnt lgkmcnt(0)
	s_and_b32 s0, s0, 0x3ff
	s_delay_alu instid0(SALU_CYCLE_1) | instskip(NEXT) | instid1(SALU_CYCLE_1)
	s_bitset1_b32 s0, 10
	s_mov_b32 m0, s0
	s_sendmsg sendmsg(MSG_INTERRUPT)
	s_mov_b32 m0, ttmp2
.LBB4_11340:                            ; =>This Inner Loop Header: Depth=1
	s_sethalt 5
	s_branch .LBB4_11340
.LBB4_11341:
	s_trap 2
	s_sendmsg_rtn_b32 s0, sendmsg(MSG_RTN_GET_DOORBELL)
	s_mov_b32 ttmp2, m0
	s_waitcnt lgkmcnt(0)
	s_and_b32 s0, s0, 0x3ff
	s_delay_alu instid0(SALU_CYCLE_1) | instskip(NEXT) | instid1(SALU_CYCLE_1)
	s_bitset1_b32 s0, 10
	s_mov_b32 m0, s0
	s_sendmsg sendmsg(MSG_INTERRUPT)
	s_mov_b32 m0, ttmp2
.LBB4_11342:                            ; =>This Inner Loop Header: Depth=1
	s_sethalt 5
	s_branch .LBB4_11342
.LBB4_11343:
	s_trap 2
	s_sendmsg_rtn_b32 s0, sendmsg(MSG_RTN_GET_DOORBELL)
	s_mov_b32 ttmp2, m0
	s_waitcnt lgkmcnt(0)
	s_and_b32 s0, s0, 0x3ff
	s_delay_alu instid0(SALU_CYCLE_1) | instskip(NEXT) | instid1(SALU_CYCLE_1)
	s_bitset1_b32 s0, 10
	s_mov_b32 m0, s0
	s_sendmsg sendmsg(MSG_INTERRUPT)
	s_mov_b32 m0, ttmp2
.LBB4_11344:                            ; =>This Inner Loop Header: Depth=1
	s_sethalt 5
	s_branch .LBB4_11344
.LBB4_11345:
	s_trap 2
	s_sendmsg_rtn_b32 s0, sendmsg(MSG_RTN_GET_DOORBELL)
	s_mov_b32 ttmp2, m0
	s_waitcnt lgkmcnt(0)
	s_and_b32 s0, s0, 0x3ff
	s_delay_alu instid0(SALU_CYCLE_1) | instskip(NEXT) | instid1(SALU_CYCLE_1)
	s_bitset1_b32 s0, 10
	s_mov_b32 m0, s0
	s_sendmsg sendmsg(MSG_INTERRUPT)
	s_mov_b32 m0, ttmp2
.LBB4_11346:                            ; =>This Inner Loop Header: Depth=1
	s_sethalt 5
	s_branch .LBB4_11346
.LBB4_11347:
	s_trap 2
	s_sendmsg_rtn_b32 s0, sendmsg(MSG_RTN_GET_DOORBELL)
	s_mov_b32 ttmp2, m0
	s_waitcnt lgkmcnt(0)
	s_and_b32 s0, s0, 0x3ff
	s_delay_alu instid0(SALU_CYCLE_1) | instskip(NEXT) | instid1(SALU_CYCLE_1)
	s_bitset1_b32 s0, 10
	s_mov_b32 m0, s0
	s_sendmsg sendmsg(MSG_INTERRUPT)
	s_mov_b32 m0, ttmp2
.LBB4_11348:                            ; =>This Inner Loop Header: Depth=1
	s_sethalt 5
	s_branch .LBB4_11348
.LBB4_11349:
	s_trap 2
	s_sendmsg_rtn_b32 s0, sendmsg(MSG_RTN_GET_DOORBELL)
	s_mov_b32 ttmp2, m0
	s_waitcnt lgkmcnt(0)
	s_and_b32 s0, s0, 0x3ff
	s_delay_alu instid0(SALU_CYCLE_1) | instskip(NEXT) | instid1(SALU_CYCLE_1)
	s_bitset1_b32 s0, 10
	s_mov_b32 m0, s0
	s_sendmsg sendmsg(MSG_INTERRUPT)
	s_mov_b32 m0, ttmp2
.LBB4_11350:                            ; =>This Inner Loop Header: Depth=1
	s_sethalt 5
	s_branch .LBB4_11350
.LBB4_11351:
	s_trap 2
	s_sendmsg_rtn_b32 s0, sendmsg(MSG_RTN_GET_DOORBELL)
	s_mov_b32 ttmp2, m0
	s_waitcnt lgkmcnt(0)
	s_and_b32 s0, s0, 0x3ff
	s_delay_alu instid0(SALU_CYCLE_1) | instskip(NEXT) | instid1(SALU_CYCLE_1)
	s_bitset1_b32 s0, 10
	s_mov_b32 m0, s0
	s_sendmsg sendmsg(MSG_INTERRUPT)
	s_mov_b32 m0, ttmp2
.LBB4_11352:                            ; =>This Inner Loop Header: Depth=1
	s_sethalt 5
	s_branch .LBB4_11352
.LBB4_11353:
	s_trap 2
	s_sendmsg_rtn_b32 s0, sendmsg(MSG_RTN_GET_DOORBELL)
	s_mov_b32 ttmp2, m0
	s_waitcnt lgkmcnt(0)
	s_and_b32 s0, s0, 0x3ff
	s_delay_alu instid0(SALU_CYCLE_1) | instskip(NEXT) | instid1(SALU_CYCLE_1)
	s_bitset1_b32 s0, 10
	s_mov_b32 m0, s0
	s_sendmsg sendmsg(MSG_INTERRUPT)
	s_mov_b32 m0, ttmp2
.LBB4_11354:                            ; =>This Inner Loop Header: Depth=1
	s_sethalt 5
	s_branch .LBB4_11354
.LBB4_11355:
	s_trap 2
	s_sendmsg_rtn_b32 s0, sendmsg(MSG_RTN_GET_DOORBELL)
	s_mov_b32 ttmp2, m0
	s_waitcnt lgkmcnt(0)
	s_and_b32 s0, s0, 0x3ff
	s_delay_alu instid0(SALU_CYCLE_1) | instskip(NEXT) | instid1(SALU_CYCLE_1)
	s_bitset1_b32 s0, 10
	s_mov_b32 m0, s0
	s_sendmsg sendmsg(MSG_INTERRUPT)
	s_mov_b32 m0, ttmp2
.LBB4_11356:                            ; =>This Inner Loop Header: Depth=1
	s_sethalt 5
	s_branch .LBB4_11356
.LBB4_11357:
	s_trap 2
	s_sendmsg_rtn_b32 s0, sendmsg(MSG_RTN_GET_DOORBELL)
	s_mov_b32 ttmp2, m0
	s_waitcnt lgkmcnt(0)
	s_and_b32 s0, s0, 0x3ff
	s_delay_alu instid0(SALU_CYCLE_1) | instskip(NEXT) | instid1(SALU_CYCLE_1)
	s_bitset1_b32 s0, 10
	s_mov_b32 m0, s0
	s_sendmsg sendmsg(MSG_INTERRUPT)
	s_mov_b32 m0, ttmp2
.LBB4_11358:                            ; =>This Inner Loop Header: Depth=1
	s_sethalt 5
	s_branch .LBB4_11358
.LBB4_11359:
	s_trap 2
	s_sendmsg_rtn_b32 s0, sendmsg(MSG_RTN_GET_DOORBELL)
	s_mov_b32 ttmp2, m0
	s_waitcnt lgkmcnt(0)
	s_and_b32 s0, s0, 0x3ff
	s_delay_alu instid0(SALU_CYCLE_1) | instskip(NEXT) | instid1(SALU_CYCLE_1)
	s_bitset1_b32 s0, 10
	s_mov_b32 m0, s0
	s_sendmsg sendmsg(MSG_INTERRUPT)
	s_mov_b32 m0, ttmp2
.LBB4_11360:                            ; =>This Inner Loop Header: Depth=1
	s_sethalt 5
	s_branch .LBB4_11360
.LBB4_11361:
	s_trap 2
	s_sendmsg_rtn_b32 s0, sendmsg(MSG_RTN_GET_DOORBELL)
	s_mov_b32 ttmp2, m0
	s_waitcnt lgkmcnt(0)
	s_and_b32 s0, s0, 0x3ff
	s_delay_alu instid0(SALU_CYCLE_1) | instskip(NEXT) | instid1(SALU_CYCLE_1)
	s_bitset1_b32 s0, 10
	s_mov_b32 m0, s0
	s_sendmsg sendmsg(MSG_INTERRUPT)
	s_mov_b32 m0, ttmp2
.LBB4_11362:                            ; =>This Inner Loop Header: Depth=1
	s_sethalt 5
	s_branch .LBB4_11362
.LBB4_11363:
	s_trap 2
	s_sendmsg_rtn_b32 s0, sendmsg(MSG_RTN_GET_DOORBELL)
	s_mov_b32 ttmp2, m0
	s_waitcnt lgkmcnt(0)
	s_and_b32 s0, s0, 0x3ff
	s_delay_alu instid0(SALU_CYCLE_1) | instskip(NEXT) | instid1(SALU_CYCLE_1)
	s_bitset1_b32 s0, 10
	s_mov_b32 m0, s0
	s_sendmsg sendmsg(MSG_INTERRUPT)
	s_mov_b32 m0, ttmp2
.LBB4_11364:                            ; =>This Inner Loop Header: Depth=1
	s_sethalt 5
	s_branch .LBB4_11364
.LBB4_11365:
	s_trap 2
	s_sendmsg_rtn_b32 s0, sendmsg(MSG_RTN_GET_DOORBELL)
	s_mov_b32 ttmp2, m0
	s_waitcnt lgkmcnt(0)
	s_and_b32 s0, s0, 0x3ff
	s_delay_alu instid0(SALU_CYCLE_1) | instskip(NEXT) | instid1(SALU_CYCLE_1)
	s_bitset1_b32 s0, 10
	s_mov_b32 m0, s0
	s_sendmsg sendmsg(MSG_INTERRUPT)
	s_mov_b32 m0, ttmp2
.LBB4_11366:                            ; =>This Inner Loop Header: Depth=1
	s_sethalt 5
	s_branch .LBB4_11366
.LBB4_11367:
	s_trap 2
	s_sendmsg_rtn_b32 s0, sendmsg(MSG_RTN_GET_DOORBELL)
	s_mov_b32 ttmp2, m0
	s_waitcnt lgkmcnt(0)
	s_and_b32 s0, s0, 0x3ff
	s_delay_alu instid0(SALU_CYCLE_1) | instskip(NEXT) | instid1(SALU_CYCLE_1)
	s_bitset1_b32 s0, 10
	s_mov_b32 m0, s0
	s_sendmsg sendmsg(MSG_INTERRUPT)
	s_mov_b32 m0, ttmp2
.LBB4_11368:                            ; =>This Inner Loop Header: Depth=1
	s_sethalt 5
	s_branch .LBB4_11368
.LBB4_11369:
	s_trap 2
	s_sendmsg_rtn_b32 s0, sendmsg(MSG_RTN_GET_DOORBELL)
	s_mov_b32 ttmp2, m0
	s_waitcnt lgkmcnt(0)
	s_and_b32 s0, s0, 0x3ff
	s_delay_alu instid0(SALU_CYCLE_1) | instskip(NEXT) | instid1(SALU_CYCLE_1)
	s_bitset1_b32 s0, 10
	s_mov_b32 m0, s0
	s_sendmsg sendmsg(MSG_INTERRUPT)
	s_mov_b32 m0, ttmp2
.LBB4_11370:                            ; =>This Inner Loop Header: Depth=1
	s_sethalt 5
	s_branch .LBB4_11370
.LBB4_11371:
	s_trap 2
	s_sendmsg_rtn_b32 s0, sendmsg(MSG_RTN_GET_DOORBELL)
	s_mov_b32 ttmp2, m0
	s_waitcnt lgkmcnt(0)
	s_and_b32 s0, s0, 0x3ff
	s_delay_alu instid0(SALU_CYCLE_1) | instskip(NEXT) | instid1(SALU_CYCLE_1)
	s_bitset1_b32 s0, 10
	s_mov_b32 m0, s0
	s_sendmsg sendmsg(MSG_INTERRUPT)
	s_mov_b32 m0, ttmp2
.LBB4_11372:                            ; =>This Inner Loop Header: Depth=1
	s_sethalt 5
	s_branch .LBB4_11372
.LBB4_11373:
	s_trap 2
	s_sendmsg_rtn_b32 s0, sendmsg(MSG_RTN_GET_DOORBELL)
	s_mov_b32 ttmp2, m0
	s_waitcnt lgkmcnt(0)
	s_and_b32 s0, s0, 0x3ff
	s_delay_alu instid0(SALU_CYCLE_1) | instskip(NEXT) | instid1(SALU_CYCLE_1)
	s_bitset1_b32 s0, 10
	s_mov_b32 m0, s0
	s_sendmsg sendmsg(MSG_INTERRUPT)
	s_mov_b32 m0, ttmp2
.LBB4_11374:                            ; =>This Inner Loop Header: Depth=1
	s_sethalt 5
	s_branch .LBB4_11374
.LBB4_11375:
	s_trap 2
	s_sendmsg_rtn_b32 s0, sendmsg(MSG_RTN_GET_DOORBELL)
	s_mov_b32 ttmp2, m0
	s_waitcnt lgkmcnt(0)
	s_and_b32 s0, s0, 0x3ff
	s_delay_alu instid0(SALU_CYCLE_1) | instskip(NEXT) | instid1(SALU_CYCLE_1)
	s_bitset1_b32 s0, 10
	s_mov_b32 m0, s0
	s_sendmsg sendmsg(MSG_INTERRUPT)
	s_mov_b32 m0, ttmp2
.LBB4_11376:                            ; =>This Inner Loop Header: Depth=1
	s_sethalt 5
	s_branch .LBB4_11376
.LBB4_11377:
	s_trap 2
	s_sendmsg_rtn_b32 s0, sendmsg(MSG_RTN_GET_DOORBELL)
	s_mov_b32 ttmp2, m0
	s_waitcnt lgkmcnt(0)
	s_and_b32 s0, s0, 0x3ff
	s_delay_alu instid0(SALU_CYCLE_1) | instskip(NEXT) | instid1(SALU_CYCLE_1)
	s_bitset1_b32 s0, 10
	s_mov_b32 m0, s0
	s_sendmsg sendmsg(MSG_INTERRUPT)
	s_mov_b32 m0, ttmp2
.LBB4_11378:                            ; =>This Inner Loop Header: Depth=1
	s_sethalt 5
	s_branch .LBB4_11378
.LBB4_11379:
	s_trap 2
	s_sendmsg_rtn_b32 s0, sendmsg(MSG_RTN_GET_DOORBELL)
	s_mov_b32 ttmp2, m0
	s_waitcnt lgkmcnt(0)
	s_and_b32 s0, s0, 0x3ff
	s_delay_alu instid0(SALU_CYCLE_1) | instskip(NEXT) | instid1(SALU_CYCLE_1)
	s_bitset1_b32 s0, 10
	s_mov_b32 m0, s0
	s_sendmsg sendmsg(MSG_INTERRUPT)
	s_mov_b32 m0, ttmp2
.LBB4_11380:                            ; =>This Inner Loop Header: Depth=1
	s_sethalt 5
	s_branch .LBB4_11380
.LBB4_11381:
	s_trap 2
	s_sendmsg_rtn_b32 s0, sendmsg(MSG_RTN_GET_DOORBELL)
	s_mov_b32 ttmp2, m0
	s_waitcnt lgkmcnt(0)
	s_and_b32 s0, s0, 0x3ff
	s_delay_alu instid0(SALU_CYCLE_1) | instskip(NEXT) | instid1(SALU_CYCLE_1)
	s_bitset1_b32 s0, 10
	s_mov_b32 m0, s0
	s_sendmsg sendmsg(MSG_INTERRUPT)
	s_mov_b32 m0, ttmp2
.LBB4_11382:                            ; =>This Inner Loop Header: Depth=1
	s_sethalt 5
	s_branch .LBB4_11382
.LBB4_11383:
	s_trap 2
	s_sendmsg_rtn_b32 s0, sendmsg(MSG_RTN_GET_DOORBELL)
	s_mov_b32 ttmp2, m0
	s_waitcnt lgkmcnt(0)
	s_and_b32 s0, s0, 0x3ff
	s_delay_alu instid0(SALU_CYCLE_1) | instskip(NEXT) | instid1(SALU_CYCLE_1)
	s_bitset1_b32 s0, 10
	s_mov_b32 m0, s0
	s_sendmsg sendmsg(MSG_INTERRUPT)
	s_mov_b32 m0, ttmp2
.LBB4_11384:                            ; =>This Inner Loop Header: Depth=1
	s_sethalt 5
	s_branch .LBB4_11384
.LBB4_11385:
	s_trap 2
	s_sendmsg_rtn_b32 s0, sendmsg(MSG_RTN_GET_DOORBELL)
	s_mov_b32 ttmp2, m0
	s_waitcnt lgkmcnt(0)
	s_and_b32 s0, s0, 0x3ff
	s_delay_alu instid0(SALU_CYCLE_1) | instskip(NEXT) | instid1(SALU_CYCLE_1)
	s_bitset1_b32 s0, 10
	s_mov_b32 m0, s0
	s_sendmsg sendmsg(MSG_INTERRUPT)
	s_mov_b32 m0, ttmp2
.LBB4_11386:                            ; =>This Inner Loop Header: Depth=1
	s_sethalt 5
	s_branch .LBB4_11386
.LBB4_11387:
	s_trap 2
	s_sendmsg_rtn_b32 s0, sendmsg(MSG_RTN_GET_DOORBELL)
	s_mov_b32 ttmp2, m0
	s_waitcnt lgkmcnt(0)
	s_and_b32 s0, s0, 0x3ff
	s_delay_alu instid0(SALU_CYCLE_1) | instskip(NEXT) | instid1(SALU_CYCLE_1)
	s_bitset1_b32 s0, 10
	s_mov_b32 m0, s0
	s_sendmsg sendmsg(MSG_INTERRUPT)
	s_mov_b32 m0, ttmp2
.LBB4_11388:                            ; =>This Inner Loop Header: Depth=1
	s_sethalt 5
	s_branch .LBB4_11388
.LBB4_11389:
	s_trap 2
	s_sendmsg_rtn_b32 s0, sendmsg(MSG_RTN_GET_DOORBELL)
	s_mov_b32 ttmp2, m0
	s_waitcnt lgkmcnt(0)
	s_and_b32 s0, s0, 0x3ff
	s_delay_alu instid0(SALU_CYCLE_1) | instskip(NEXT) | instid1(SALU_CYCLE_1)
	s_bitset1_b32 s0, 10
	s_mov_b32 m0, s0
	s_sendmsg sendmsg(MSG_INTERRUPT)
	s_mov_b32 m0, ttmp2
.LBB4_11390:                            ; =>This Inner Loop Header: Depth=1
	s_sethalt 5
	s_branch .LBB4_11390
.LBB4_11391:
	s_trap 2
	s_sendmsg_rtn_b32 s0, sendmsg(MSG_RTN_GET_DOORBELL)
	s_mov_b32 ttmp2, m0
	s_waitcnt lgkmcnt(0)
	s_and_b32 s0, s0, 0x3ff
	s_delay_alu instid0(SALU_CYCLE_1) | instskip(NEXT) | instid1(SALU_CYCLE_1)
	s_bitset1_b32 s0, 10
	s_mov_b32 m0, s0
	s_sendmsg sendmsg(MSG_INTERRUPT)
	s_mov_b32 m0, ttmp2
.LBB4_11392:                            ; =>This Inner Loop Header: Depth=1
	s_sethalt 5
	s_branch .LBB4_11392
.LBB4_11393:
	s_trap 2
	s_sendmsg_rtn_b32 s0, sendmsg(MSG_RTN_GET_DOORBELL)
	s_mov_b32 ttmp2, m0
	s_waitcnt lgkmcnt(0)
	s_and_b32 s0, s0, 0x3ff
	s_delay_alu instid0(SALU_CYCLE_1) | instskip(NEXT) | instid1(SALU_CYCLE_1)
	s_bitset1_b32 s0, 10
	s_mov_b32 m0, s0
	s_sendmsg sendmsg(MSG_INTERRUPT)
	s_mov_b32 m0, ttmp2
.LBB4_11394:                            ; =>This Inner Loop Header: Depth=1
	s_sethalt 5
	s_branch .LBB4_11394
.LBB4_11395:
	s_trap 2
	s_sendmsg_rtn_b32 s0, sendmsg(MSG_RTN_GET_DOORBELL)
	s_mov_b32 ttmp2, m0
	s_waitcnt lgkmcnt(0)
	s_and_b32 s0, s0, 0x3ff
	s_delay_alu instid0(SALU_CYCLE_1) | instskip(NEXT) | instid1(SALU_CYCLE_1)
	s_bitset1_b32 s0, 10
	s_mov_b32 m0, s0
	s_sendmsg sendmsg(MSG_INTERRUPT)
	s_mov_b32 m0, ttmp2
.LBB4_11396:                            ; =>This Inner Loop Header: Depth=1
	s_sethalt 5
	s_branch .LBB4_11396
.LBB4_11397:
	s_trap 2
	s_sendmsg_rtn_b32 s0, sendmsg(MSG_RTN_GET_DOORBELL)
	s_mov_b32 ttmp2, m0
	s_waitcnt lgkmcnt(0)
	s_and_b32 s0, s0, 0x3ff
	s_delay_alu instid0(SALU_CYCLE_1) | instskip(NEXT) | instid1(SALU_CYCLE_1)
	s_bitset1_b32 s0, 10
	s_mov_b32 m0, s0
	s_sendmsg sendmsg(MSG_INTERRUPT)
	s_mov_b32 m0, ttmp2
.LBB4_11398:                            ; =>This Inner Loop Header: Depth=1
	s_sethalt 5
	s_branch .LBB4_11398
.LBB4_11399:
	s_trap 2
	s_sendmsg_rtn_b32 s0, sendmsg(MSG_RTN_GET_DOORBELL)
	s_mov_b32 ttmp2, m0
	s_waitcnt lgkmcnt(0)
	s_and_b32 s0, s0, 0x3ff
	s_delay_alu instid0(SALU_CYCLE_1) | instskip(NEXT) | instid1(SALU_CYCLE_1)
	s_bitset1_b32 s0, 10
	s_mov_b32 m0, s0
	s_sendmsg sendmsg(MSG_INTERRUPT)
	s_mov_b32 m0, ttmp2
.LBB4_11400:                            ; =>This Inner Loop Header: Depth=1
	s_sethalt 5
	s_branch .LBB4_11400
.LBB4_11401:
	s_trap 2
	s_sendmsg_rtn_b32 s0, sendmsg(MSG_RTN_GET_DOORBELL)
	s_mov_b32 ttmp2, m0
	s_waitcnt lgkmcnt(0)
	s_and_b32 s0, s0, 0x3ff
	s_delay_alu instid0(SALU_CYCLE_1) | instskip(NEXT) | instid1(SALU_CYCLE_1)
	s_bitset1_b32 s0, 10
	s_mov_b32 m0, s0
	s_sendmsg sendmsg(MSG_INTERRUPT)
	s_mov_b32 m0, ttmp2
.LBB4_11402:                            ; =>This Inner Loop Header: Depth=1
	s_sethalt 5
	s_branch .LBB4_11402
.LBB4_11403:
	s_trap 2
	s_sendmsg_rtn_b32 s0, sendmsg(MSG_RTN_GET_DOORBELL)
	s_mov_b32 ttmp2, m0
	s_waitcnt lgkmcnt(0)
	s_and_b32 s0, s0, 0x3ff
	s_delay_alu instid0(SALU_CYCLE_1) | instskip(NEXT) | instid1(SALU_CYCLE_1)
	s_bitset1_b32 s0, 10
	s_mov_b32 m0, s0
	s_sendmsg sendmsg(MSG_INTERRUPT)
	s_mov_b32 m0, ttmp2
.LBB4_11404:                            ; =>This Inner Loop Header: Depth=1
	s_sethalt 5
	s_branch .LBB4_11404
.LBB4_11405:
	s_trap 2
	s_sendmsg_rtn_b32 s0, sendmsg(MSG_RTN_GET_DOORBELL)
	s_mov_b32 ttmp2, m0
	s_waitcnt lgkmcnt(0)
	s_and_b32 s0, s0, 0x3ff
	s_delay_alu instid0(SALU_CYCLE_1) | instskip(NEXT) | instid1(SALU_CYCLE_1)
	s_bitset1_b32 s0, 10
	s_mov_b32 m0, s0
	s_sendmsg sendmsg(MSG_INTERRUPT)
	s_mov_b32 m0, ttmp2
.LBB4_11406:                            ; =>This Inner Loop Header: Depth=1
	s_sethalt 5
	s_branch .LBB4_11406
.LBB4_11407:
	s_trap 2
	s_sendmsg_rtn_b32 s0, sendmsg(MSG_RTN_GET_DOORBELL)
	s_mov_b32 ttmp2, m0
	s_waitcnt lgkmcnt(0)
	s_and_b32 s0, s0, 0x3ff
	s_delay_alu instid0(SALU_CYCLE_1) | instskip(NEXT) | instid1(SALU_CYCLE_1)
	s_bitset1_b32 s0, 10
	s_mov_b32 m0, s0
	s_sendmsg sendmsg(MSG_INTERRUPT)
	s_mov_b32 m0, ttmp2
.LBB4_11408:                            ; =>This Inner Loop Header: Depth=1
	s_sethalt 5
	s_branch .LBB4_11408
.LBB4_11409:
	s_trap 2
	s_sendmsg_rtn_b32 s0, sendmsg(MSG_RTN_GET_DOORBELL)
	s_mov_b32 ttmp2, m0
	s_waitcnt lgkmcnt(0)
	s_and_b32 s0, s0, 0x3ff
	s_delay_alu instid0(SALU_CYCLE_1) | instskip(NEXT) | instid1(SALU_CYCLE_1)
	s_bitset1_b32 s0, 10
	s_mov_b32 m0, s0
	s_sendmsg sendmsg(MSG_INTERRUPT)
	s_mov_b32 m0, ttmp2
.LBB4_11410:                            ; =>This Inner Loop Header: Depth=1
	s_sethalt 5
	s_branch .LBB4_11410
.LBB4_11411:
	s_trap 2
	s_sendmsg_rtn_b32 s0, sendmsg(MSG_RTN_GET_DOORBELL)
	s_mov_b32 ttmp2, m0
	s_waitcnt lgkmcnt(0)
	s_and_b32 s0, s0, 0x3ff
	s_delay_alu instid0(SALU_CYCLE_1) | instskip(NEXT) | instid1(SALU_CYCLE_1)
	s_bitset1_b32 s0, 10
	s_mov_b32 m0, s0
	s_sendmsg sendmsg(MSG_INTERRUPT)
	s_mov_b32 m0, ttmp2
.LBB4_11412:                            ; =>This Inner Loop Header: Depth=1
	s_sethalt 5
	s_branch .LBB4_11412
.LBB4_11413:
	s_trap 2
	s_sendmsg_rtn_b32 s0, sendmsg(MSG_RTN_GET_DOORBELL)
	s_mov_b32 ttmp2, m0
	s_waitcnt lgkmcnt(0)
	s_and_b32 s0, s0, 0x3ff
	s_delay_alu instid0(SALU_CYCLE_1) | instskip(NEXT) | instid1(SALU_CYCLE_1)
	s_bitset1_b32 s0, 10
	s_mov_b32 m0, s0
	s_sendmsg sendmsg(MSG_INTERRUPT)
	s_mov_b32 m0, ttmp2
.LBB4_11414:                            ; =>This Inner Loop Header: Depth=1
	s_sethalt 5
	s_branch .LBB4_11414
.LBB4_11415:
	s_trap 2
	s_sendmsg_rtn_b32 s0, sendmsg(MSG_RTN_GET_DOORBELL)
	s_mov_b32 ttmp2, m0
	s_waitcnt lgkmcnt(0)
	s_and_b32 s0, s0, 0x3ff
	s_delay_alu instid0(SALU_CYCLE_1) | instskip(NEXT) | instid1(SALU_CYCLE_1)
	s_bitset1_b32 s0, 10
	s_mov_b32 m0, s0
	s_sendmsg sendmsg(MSG_INTERRUPT)
	s_mov_b32 m0, ttmp2
.LBB4_11416:                            ; =>This Inner Loop Header: Depth=1
	s_sethalt 5
	s_branch .LBB4_11416
.LBB4_11417:
	s_trap 2
	s_sendmsg_rtn_b32 s0, sendmsg(MSG_RTN_GET_DOORBELL)
	s_mov_b32 ttmp2, m0
	s_waitcnt lgkmcnt(0)
	s_and_b32 s0, s0, 0x3ff
	s_delay_alu instid0(SALU_CYCLE_1) | instskip(NEXT) | instid1(SALU_CYCLE_1)
	s_bitset1_b32 s0, 10
	s_mov_b32 m0, s0
	s_sendmsg sendmsg(MSG_INTERRUPT)
	s_mov_b32 m0, ttmp2
.LBB4_11418:                            ; =>This Inner Loop Header: Depth=1
	s_sethalt 5
	s_branch .LBB4_11418
.LBB4_11419:
	s_trap 2
	s_sendmsg_rtn_b32 s0, sendmsg(MSG_RTN_GET_DOORBELL)
	s_mov_b32 ttmp2, m0
	s_waitcnt lgkmcnt(0)
	s_and_b32 s0, s0, 0x3ff
	s_delay_alu instid0(SALU_CYCLE_1) | instskip(NEXT) | instid1(SALU_CYCLE_1)
	s_bitset1_b32 s0, 10
	s_mov_b32 m0, s0
	s_sendmsg sendmsg(MSG_INTERRUPT)
	s_mov_b32 m0, ttmp2
.LBB4_11420:                            ; =>This Inner Loop Header: Depth=1
	s_sethalt 5
	s_branch .LBB4_11420
.LBB4_11421:
	s_trap 2
	s_sendmsg_rtn_b32 s0, sendmsg(MSG_RTN_GET_DOORBELL)
	s_mov_b32 ttmp2, m0
	s_waitcnt lgkmcnt(0)
	s_and_b32 s0, s0, 0x3ff
	s_delay_alu instid0(SALU_CYCLE_1) | instskip(NEXT) | instid1(SALU_CYCLE_1)
	s_bitset1_b32 s0, 10
	s_mov_b32 m0, s0
	s_sendmsg sendmsg(MSG_INTERRUPT)
	s_mov_b32 m0, ttmp2
.LBB4_11422:                            ; =>This Inner Loop Header: Depth=1
	s_sethalt 5
	s_branch .LBB4_11422
.LBB4_11423:
	s_trap 2
	s_sendmsg_rtn_b32 s0, sendmsg(MSG_RTN_GET_DOORBELL)
	s_mov_b32 ttmp2, m0
	s_waitcnt lgkmcnt(0)
	s_and_b32 s0, s0, 0x3ff
	s_delay_alu instid0(SALU_CYCLE_1) | instskip(NEXT) | instid1(SALU_CYCLE_1)
	s_bitset1_b32 s0, 10
	s_mov_b32 m0, s0
	s_sendmsg sendmsg(MSG_INTERRUPT)
	s_mov_b32 m0, ttmp2
.LBB4_11424:                            ; =>This Inner Loop Header: Depth=1
	s_sethalt 5
	s_branch .LBB4_11424
.LBB4_11425:
	s_trap 2
	s_sendmsg_rtn_b32 s0, sendmsg(MSG_RTN_GET_DOORBELL)
	s_mov_b32 ttmp2, m0
	s_waitcnt lgkmcnt(0)
	s_and_b32 s0, s0, 0x3ff
	s_delay_alu instid0(SALU_CYCLE_1) | instskip(NEXT) | instid1(SALU_CYCLE_1)
	s_bitset1_b32 s0, 10
	s_mov_b32 m0, s0
	s_sendmsg sendmsg(MSG_INTERRUPT)
	s_mov_b32 m0, ttmp2
.LBB4_11426:                            ; =>This Inner Loop Header: Depth=1
	s_sethalt 5
	s_branch .LBB4_11426
.LBB4_11427:
	s_trap 2
	s_sendmsg_rtn_b32 s0, sendmsg(MSG_RTN_GET_DOORBELL)
	s_mov_b32 ttmp2, m0
	s_waitcnt lgkmcnt(0)
	s_and_b32 s0, s0, 0x3ff
	s_delay_alu instid0(SALU_CYCLE_1) | instskip(NEXT) | instid1(SALU_CYCLE_1)
	s_bitset1_b32 s0, 10
	s_mov_b32 m0, s0
	s_sendmsg sendmsg(MSG_INTERRUPT)
	s_mov_b32 m0, ttmp2
.LBB4_11428:                            ; =>This Inner Loop Header: Depth=1
	s_sethalt 5
	s_branch .LBB4_11428
.LBB4_11429:
	s_trap 2
	s_sendmsg_rtn_b32 s0, sendmsg(MSG_RTN_GET_DOORBELL)
	s_mov_b32 ttmp2, m0
	s_waitcnt lgkmcnt(0)
	s_and_b32 s0, s0, 0x3ff
	s_delay_alu instid0(SALU_CYCLE_1) | instskip(NEXT) | instid1(SALU_CYCLE_1)
	s_bitset1_b32 s0, 10
	s_mov_b32 m0, s0
	s_sendmsg sendmsg(MSG_INTERRUPT)
	s_mov_b32 m0, ttmp2
.LBB4_11430:                            ; =>This Inner Loop Header: Depth=1
	s_sethalt 5
	s_branch .LBB4_11430
.LBB4_11431:
	s_trap 2
	s_sendmsg_rtn_b32 s0, sendmsg(MSG_RTN_GET_DOORBELL)
	s_mov_b32 ttmp2, m0
	s_waitcnt lgkmcnt(0)
	s_and_b32 s0, s0, 0x3ff
	s_delay_alu instid0(SALU_CYCLE_1) | instskip(NEXT) | instid1(SALU_CYCLE_1)
	s_bitset1_b32 s0, 10
	s_mov_b32 m0, s0
	s_sendmsg sendmsg(MSG_INTERRUPT)
	s_mov_b32 m0, ttmp2
.LBB4_11432:                            ; =>This Inner Loop Header: Depth=1
	s_sethalt 5
	s_branch .LBB4_11432
.LBB4_11433:
	s_trap 2
	s_sendmsg_rtn_b32 s0, sendmsg(MSG_RTN_GET_DOORBELL)
	s_mov_b32 ttmp2, m0
	s_waitcnt lgkmcnt(0)
	s_and_b32 s0, s0, 0x3ff
	s_delay_alu instid0(SALU_CYCLE_1) | instskip(NEXT) | instid1(SALU_CYCLE_1)
	s_bitset1_b32 s0, 10
	s_mov_b32 m0, s0
	s_sendmsg sendmsg(MSG_INTERRUPT)
	s_mov_b32 m0, ttmp2
.LBB4_11434:                            ; =>This Inner Loop Header: Depth=1
	s_sethalt 5
	s_branch .LBB4_11434
.LBB4_11435:
	s_trap 2
	s_sendmsg_rtn_b32 s0, sendmsg(MSG_RTN_GET_DOORBELL)
	s_mov_b32 ttmp2, m0
	s_waitcnt lgkmcnt(0)
	s_and_b32 s0, s0, 0x3ff
	s_delay_alu instid0(SALU_CYCLE_1) | instskip(NEXT) | instid1(SALU_CYCLE_1)
	s_bitset1_b32 s0, 10
	s_mov_b32 m0, s0
	s_sendmsg sendmsg(MSG_INTERRUPT)
	s_mov_b32 m0, ttmp2
.LBB4_11436:                            ; =>This Inner Loop Header: Depth=1
	s_sethalt 5
	s_branch .LBB4_11436
.LBB4_11437:
	s_trap 2
	s_sendmsg_rtn_b32 s0, sendmsg(MSG_RTN_GET_DOORBELL)
	s_mov_b32 ttmp2, m0
	s_waitcnt lgkmcnt(0)
	s_and_b32 s0, s0, 0x3ff
	s_delay_alu instid0(SALU_CYCLE_1) | instskip(NEXT) | instid1(SALU_CYCLE_1)
	s_bitset1_b32 s0, 10
	s_mov_b32 m0, s0
	s_sendmsg sendmsg(MSG_INTERRUPT)
	s_mov_b32 m0, ttmp2
.LBB4_11438:                            ; =>This Inner Loop Header: Depth=1
	s_sethalt 5
	s_branch .LBB4_11438
.LBB4_11439:
	s_trap 2
	s_sendmsg_rtn_b32 s0, sendmsg(MSG_RTN_GET_DOORBELL)
	s_mov_b32 ttmp2, m0
	s_waitcnt lgkmcnt(0)
	s_and_b32 s0, s0, 0x3ff
	s_delay_alu instid0(SALU_CYCLE_1) | instskip(NEXT) | instid1(SALU_CYCLE_1)
	s_bitset1_b32 s0, 10
	s_mov_b32 m0, s0
	s_sendmsg sendmsg(MSG_INTERRUPT)
	s_mov_b32 m0, ttmp2
.LBB4_11440:                            ; =>This Inner Loop Header: Depth=1
	s_sethalt 5
	s_branch .LBB4_11440
.LBB4_11441:
	s_trap 2
	s_sendmsg_rtn_b32 s0, sendmsg(MSG_RTN_GET_DOORBELL)
	s_mov_b32 ttmp2, m0
	s_waitcnt lgkmcnt(0)
	s_and_b32 s0, s0, 0x3ff
	s_delay_alu instid0(SALU_CYCLE_1) | instskip(NEXT) | instid1(SALU_CYCLE_1)
	s_bitset1_b32 s0, 10
	s_mov_b32 m0, s0
	s_sendmsg sendmsg(MSG_INTERRUPT)
	s_mov_b32 m0, ttmp2
.LBB4_11442:                            ; =>This Inner Loop Header: Depth=1
	s_sethalt 5
	s_branch .LBB4_11442
.LBB4_11443:
	s_trap 2
	s_sendmsg_rtn_b32 s0, sendmsg(MSG_RTN_GET_DOORBELL)
	s_mov_b32 ttmp2, m0
	s_waitcnt lgkmcnt(0)
	s_and_b32 s0, s0, 0x3ff
	s_delay_alu instid0(SALU_CYCLE_1) | instskip(NEXT) | instid1(SALU_CYCLE_1)
	s_bitset1_b32 s0, 10
	s_mov_b32 m0, s0
	s_sendmsg sendmsg(MSG_INTERRUPT)
	s_mov_b32 m0, ttmp2
.LBB4_11444:                            ; =>This Inner Loop Header: Depth=1
	s_sethalt 5
	s_branch .LBB4_11444
.LBB4_11445:
	s_trap 2
	s_sendmsg_rtn_b32 s0, sendmsg(MSG_RTN_GET_DOORBELL)
	s_mov_b32 ttmp2, m0
	s_waitcnt lgkmcnt(0)
	s_and_b32 s0, s0, 0x3ff
	s_delay_alu instid0(SALU_CYCLE_1) | instskip(NEXT) | instid1(SALU_CYCLE_1)
	s_bitset1_b32 s0, 10
	s_mov_b32 m0, s0
	s_sendmsg sendmsg(MSG_INTERRUPT)
	s_mov_b32 m0, ttmp2
.LBB4_11446:                            ; =>This Inner Loop Header: Depth=1
	s_sethalt 5
	s_branch .LBB4_11446
.LBB4_11447:
	s_trap 2
	s_sendmsg_rtn_b32 s0, sendmsg(MSG_RTN_GET_DOORBELL)
	s_mov_b32 ttmp2, m0
	s_waitcnt lgkmcnt(0)
	s_and_b32 s0, s0, 0x3ff
	s_delay_alu instid0(SALU_CYCLE_1) | instskip(NEXT) | instid1(SALU_CYCLE_1)
	s_bitset1_b32 s0, 10
	s_mov_b32 m0, s0
	s_sendmsg sendmsg(MSG_INTERRUPT)
	s_mov_b32 m0, ttmp2
.LBB4_11448:                            ; =>This Inner Loop Header: Depth=1
	s_sethalt 5
	s_branch .LBB4_11448
.LBB4_11449:
	s_trap 2
	s_sendmsg_rtn_b32 s0, sendmsg(MSG_RTN_GET_DOORBELL)
	s_mov_b32 ttmp2, m0
	s_waitcnt lgkmcnt(0)
	s_and_b32 s0, s0, 0x3ff
	s_delay_alu instid0(SALU_CYCLE_1) | instskip(NEXT) | instid1(SALU_CYCLE_1)
	s_bitset1_b32 s0, 10
	s_mov_b32 m0, s0
	s_sendmsg sendmsg(MSG_INTERRUPT)
	s_mov_b32 m0, ttmp2
.LBB4_11450:                            ; =>This Inner Loop Header: Depth=1
	s_sethalt 5
	s_branch .LBB4_11450
.Lfunc_end4:
	.size	_ZN12_GLOBAL__N_17runRingI12rccl_bfloat813FuncPreMulSumIS1_E11ProtoSimpleILi2ELi2ELi0ELi2ELi0ELi0EELi0ELi0ELi2ELi0EEEviiP15ncclDevWorkColl, .Lfunc_end4-_ZN12_GLOBAL__N_17runRingI12rccl_bfloat813FuncPreMulSumIS1_E11ProtoSimpleILi2ELi2ELi0ELi2ELi0ELi0EELi0ELi0ELi2ELi0EEEviiP15ncclDevWorkColl
                                        ; -- End function
	.section	.AMDGPU.csdata,"",@progbits
; Function info:
; codeLenInByte = 466420
; NumSgprs: 52
; NumVgprs: 184
; ScratchSize: 240
; MemoryBound: 1
	.text
	.p2align	2                               ; -- Begin function _Z56ncclDevFunc_AllReduce_RING_SIMPLE_PreMulSum_f8e5m2_0_0_2v
	.type	_Z56ncclDevFunc_AllReduce_RING_SIMPLE_PreMulSum_f8e5m2_0_0_2v,@function
_Z56ncclDevFunc_AllReduce_RING_SIMPLE_PreMulSum_f8e5m2_0_0_2v: ; @_Z56ncclDevFunc_AllReduce_RING_SIMPLE_PreMulSum_f8e5m2_0_0_2v
; %bb.0:
	s_waitcnt vmcnt(0) expcnt(0) lgkmcnt(0)
	s_mov_b32 s0, s33
	s_mov_b32 s33, s32
	s_or_saveexec_b32 s1, -1
	scratch_store_b32 off, v42, s33 offset:16 ; 4-byte Folded Spill
	s_mov_b32 exec_lo, s1
	v_writelane_b32 v42, s0, 22
	s_add_i32 s32, s32, 32
	s_clause 0x3
	scratch_store_b32 off, v40, s33 offset:12
	; meta instruction
	scratch_store_b32 off, v41, s33 offset:8
	; meta instruction
	;; [unrolled: 2-line block ×3, first 2 shown]
	scratch_store_b32 off, v122, s33
	v_writelane_b32 v42, s34, 0
	v_writelane_b32 v42, s35, 1
	;; [unrolled: 1-line block ×22, first 2 shown]
	s_cbranch_execnz .LBB5_7
; %bb.1:
	ds_load_b32 v0, v0
	v_and_b32_e32 v40, 0x3ff, v31
	s_mov_b32 s0, exec_lo
	s_waitcnt lgkmcnt(0)
	s_delay_alu instid0(VALU_DEP_1)
	v_cmpx_lt_i32_e64 v40, v0
	s_cbranch_execz .LBB5_9
; %bb.2:
	s_load_b32 s1, s[8:9], 0x0
	v_mov_b32_e32 v1, 0
	s_waitcnt lgkmcnt(0)
	s_cmp_lt_u32 s12, s1
	s_cselect_b32 s1, 12, 18
	s_delay_alu instid0(SALU_CYCLE_1)
	s_add_u32 s2, s8, s1
	s_addc_u32 s3, s9, 0
	s_mov_b32 s1, 0
	global_load_u16 v1, v1, s[2:3]
	s_cbranch_execnz .LBB5_24
; %bb.3:
	ds_load_b32 v2, v0
	v_mov_b32_e32 v3, v40
	s_mov_b32 s2, 0
                                        ; implicit-def: $vgpr4
	s_waitcnt vmcnt(0) lgkmcnt(0)
	v_mul_lo_u32 v2, v2, v1
	s_branch .LBB5_5
	.p2align	6
.LBB5_4:                                ;   in Loop: Header=BB5_5 Depth=1
	s_or_b32 exec_lo, exec_lo, s3
	v_add_nc_u32_e32 v3, v3, v1
	v_add_nc_u32_e32 v4, v4, v2
	s_delay_alu instid0(VALU_DEP_2) | instskip(SKIP_1) | instid1(SALU_CYCLE_1)
	v_cmp_ge_i32_e32 vcc_lo, v3, v0
	s_or_b32 s1, vcc_lo, s1
	s_and_not1_b32 exec_lo, exec_lo, s1
	s_cbranch_execz .LBB5_9
.LBB5_5:                                ; =>This Inner Loop Header: Depth=1
	ds_load_b32 v5, v4
	s_mov_b32 s3, exec_lo
	s_waitcnt lgkmcnt(0)
	v_and_b32_e32 v5, 0x1000000, v5
	s_delay_alu instid0(VALU_DEP_1)
	v_cmpx_ne_u32_e32 0, v5
	s_cbranch_execz .LBB5_4
; %bb.6:                                ;   in Loop: Header=BB5_5 Depth=1
	ds_load_b64 v[5:6], v4 offset:104
	s_waitcnt lgkmcnt(0)
	flat_load_u8 v5, v[5:6]
	s_waitcnt vmcnt(0) lgkmcnt(0)
	v_dual_mov_b32 v6, s2 :: v_dual_and_b32 v5, 0xffff, v5
	ds_store_b64 v4, v[5:6] offset:104
	s_branch .LBB5_4
.LBB5_7:
	s_trap 2
	s_sendmsg_rtn_b32 s0, sendmsg(MSG_RTN_GET_DOORBELL)
	s_mov_b32 ttmp2, m0
	s_waitcnt lgkmcnt(0)
	s_and_b32 s0, s0, 0x3ff
	s_delay_alu instid0(SALU_CYCLE_1) | instskip(NEXT) | instid1(SALU_CYCLE_1)
	s_bitset1_b32 s0, 10
	s_mov_b32 m0, s0
	s_sendmsg sendmsg(MSG_INTERRUPT)
	s_mov_b32 m0, ttmp2
.LBB5_8:                                ; =>This Inner Loop Header: Depth=1
	s_sethalt 5
	s_branch .LBB5_8
.LBB5_9:
	s_or_b32 exec_lo, exec_lo, s0
	s_waitcnt lgkmcnt(0)
	s_waitcnt_vscnt null, 0x0
	s_barrier
	buffer_gl0_inv
	s_cbranch_execnz .LBB5_22
; %bb.10:
	ds_load_b32 v0, v0
	s_waitcnt lgkmcnt(0)
	v_cmp_gt_i32_e32 vcc_lo, 1, v0
	s_cbranch_vccnz .LBB5_21
; %bb.11:
	s_mov_b32 s52, 0
	s_mov_b64 s[50:51], src_shared_base
.LBB5_12:                               ; =>This Inner Loop Header: Depth=1
	s_cbranch_execnz .LBB5_26
; %bb.13:                               ;   in Loop: Header=BB5_12 Depth=1
	ds_load_b32 v0, v0
	s_cmp_eq_u32 s52, 0
	s_cbranch_scc1 .LBB5_17
; %bb.14:                               ;   in Loop: Header=BB5_12 Depth=1
	s_cbranch_execnz .LBB5_30
; %bb.15:                               ;   in Loop: Header=BB5_12 Depth=1
	s_waitcnt lgkmcnt(0)
	ds_load_b32 v1, v0
	s_waitcnt lgkmcnt(0)
	v_xor_b32_e32 v1, v1, v0
	s_delay_alu instid0(VALU_DEP_1) | instskip(NEXT) | instid1(VALU_DEP_1)
	v_and_b32_e32 v1, 0xff0000, v1
	v_cmp_eq_u32_e32 vcc_lo, 0, v1
	s_cbranch_vccnz .LBB5_17
; %bb.16:                               ;   in Loop: Header=BB5_12 Depth=1
	s_waitcnt_vscnt null, 0x0
	s_barrier
	buffer_gl0_inv
	ds_load_b32 v0, v0
.LBB5_17:                               ;   in Loop: Header=BB5_12 Depth=1
	s_waitcnt lgkmcnt(0)
	v_lshrrev_b32_e32 v0, 11, v0
	s_mov_b32 s53, exec_lo
	s_delay_alu instid0(VALU_DEP_1) | instskip(NEXT) | instid1(VALU_DEP_1)
	v_and_b32_e32 v1, 0x1fe0, v0
	v_cmpx_lt_u32_e64 v40, v1
	s_cbranch_execz .LBB5_19
; %bb.18:                               ;   in Loop: Header=BB5_12 Depth=1
	v_dual_mov_b32 v41, v31 :: v_dual_mov_b32 v0, v40
	v_mov_b32_e32 v3, s51
	s_getpc_b64 s[0:1]
	s_add_u32 s0, s0, _ZN12_GLOBAL__N_17runRingI12rccl_bfloat813FuncPreMulSumIS1_E11ProtoSimpleILi2ELi2ELi0ELi2ELi0ELi0EELi0ELi0ELi2ELi0EEEviiP15ncclDevWorkColl@rel32@lo+4
	s_addc_u32 s1, s1, _ZN12_GLOBAL__N_17runRingI12rccl_bfloat813FuncPreMulSumIS1_E11ProtoSimpleILi2ELi2ELi0ELi2ELi0ELi0EELi0ELi0ELi2ELi0EEEviiP15ncclDevWorkColl@rel32@hi+12
	s_mov_b64 s[46:47], s[8:9]
	s_mov_b32 s50, s12
	s_swappc_b64 s[30:31], s[0:1]
	v_mov_b32_e32 v31, v41
	s_mov_b32 s12, s50
	s_mov_b64 s[8:9], s[46:47]
.LBB5_19:                               ;   in Loop: Header=BB5_12 Depth=1
	s_or_b32 exec_lo, exec_lo, s53
	s_cbranch_execnz .LBB5_28
; %bb.20:                               ;   in Loop: Header=BB5_12 Depth=1
	ds_load_b32 v0, v0
	s_add_i32 s52, s52, 1
	s_waitcnt lgkmcnt(0)
	v_cmp_lt_i32_e32 vcc_lo, s52, v0
	s_cbranch_vccnz .LBB5_12
.LBB5_21:
	s_clause 0x3
	scratch_load_b32 v122, off, s33
	scratch_load_b32 v121, off, s33 offset:4
	scratch_load_b32 v41, off, s33 offset:8
	;; [unrolled: 1-line block ×3, first 2 shown]
	v_readlane_b32 s30, v42, 20
	v_readlane_b32 s31, v42, 21
	;; [unrolled: 1-line block ×23, first 2 shown]
	s_or_saveexec_b32 s1, -1
	scratch_load_b32 v42, off, s33 offset:16 ; 4-byte Folded Reload
	s_mov_b32 exec_lo, s1
	s_addk_i32 s32, 0xffe0
	s_mov_b32 s33, s0
	s_waitcnt vmcnt(0)
	s_setpc_b64 s[30:31]
.LBB5_22:
	s_trap 2
	s_sendmsg_rtn_b32 s0, sendmsg(MSG_RTN_GET_DOORBELL)
	s_mov_b32 ttmp2, m0
	s_waitcnt lgkmcnt(0)
	s_and_b32 s0, s0, 0x3ff
	s_delay_alu instid0(SALU_CYCLE_1) | instskip(NEXT) | instid1(SALU_CYCLE_1)
	s_bitset1_b32 s0, 10
	s_mov_b32 m0, s0
	s_sendmsg sendmsg(MSG_INTERRUPT)
	s_mov_b32 m0, ttmp2
.LBB5_23:                               ; =>This Inner Loop Header: Depth=1
	s_sethalt 5
	s_branch .LBB5_23
.LBB5_24:
	s_trap 2
	s_sendmsg_rtn_b32 s0, sendmsg(MSG_RTN_GET_DOORBELL)
	s_mov_b32 ttmp2, m0
	s_waitcnt lgkmcnt(0)
	s_and_b32 s0, s0, 0x3ff
	s_delay_alu instid0(SALU_CYCLE_1) | instskip(NEXT) | instid1(SALU_CYCLE_1)
	s_bitset1_b32 s0, 10
	s_mov_b32 m0, s0
	s_sendmsg sendmsg(MSG_INTERRUPT)
	s_mov_b32 m0, ttmp2
.LBB5_25:                               ; =>This Inner Loop Header: Depth=1
	s_sethalt 5
	s_branch .LBB5_25
.LBB5_26:
	s_trap 2
	s_sendmsg_rtn_b32 s0, sendmsg(MSG_RTN_GET_DOORBELL)
	s_mov_b32 ttmp2, m0
	s_waitcnt lgkmcnt(0)
	s_and_b32 s0, s0, 0x3ff
	s_delay_alu instid0(SALU_CYCLE_1) | instskip(NEXT) | instid1(SALU_CYCLE_1)
	s_bitset1_b32 s0, 10
	s_mov_b32 m0, s0
	s_sendmsg sendmsg(MSG_INTERRUPT)
	s_mov_b32 m0, ttmp2
.LBB5_27:                               ; =>This Inner Loop Header: Depth=1
	s_sethalt 5
	s_branch .LBB5_27
.LBB5_28:
	s_trap 2
	s_sendmsg_rtn_b32 s0, sendmsg(MSG_RTN_GET_DOORBELL)
	s_mov_b32 ttmp2, m0
	s_waitcnt lgkmcnt(0)
	s_and_b32 s0, s0, 0x3ff
	s_delay_alu instid0(SALU_CYCLE_1) | instskip(NEXT) | instid1(SALU_CYCLE_1)
	s_bitset1_b32 s0, 10
	s_mov_b32 m0, s0
	s_sendmsg sendmsg(MSG_INTERRUPT)
	s_mov_b32 m0, ttmp2
.LBB5_29:                               ; =>This Inner Loop Header: Depth=1
	s_sethalt 5
	s_branch .LBB5_29
.LBB5_30:
	s_trap 2
	s_sendmsg_rtn_b32 s0, sendmsg(MSG_RTN_GET_DOORBELL)
	s_mov_b32 ttmp2, m0
	s_waitcnt lgkmcnt(0)
	s_and_b32 s0, s0, 0x3ff
	s_delay_alu instid0(SALU_CYCLE_1) | instskip(NEXT) | instid1(SALU_CYCLE_1)
	s_bitset1_b32 s0, 10
	s_mov_b32 m0, s0
	s_sendmsg sendmsg(MSG_INTERRUPT)
	s_mov_b32 m0, ttmp2
.LBB5_31:                               ; =>This Inner Loop Header: Depth=1
	s_sethalt 5
	s_branch .LBB5_31
.Lfunc_end5:
	.size	_Z56ncclDevFunc_AllReduce_RING_SIMPLE_PreMulSum_f8e5m2_0_0_2v, .Lfunc_end5-_Z56ncclDevFunc_AllReduce_RING_SIMPLE_PreMulSum_f8e5m2_0_0_2v
                                        ; -- End function
	.section	.AMDGPU.csdata,"",@progbits
; Function info:
; codeLenInByte = 1328
; NumSgprs: 56
; NumVgprs: 184
; ScratchSize: 272
; MemoryBound: 0
	.text
	.p2align	2                               ; -- Begin function _ZN12_GLOBAL__N_17runRingI12rccl_bfloat813FuncPreMulSumIS1_E11ProtoSimpleILi2ELi2ELi0ELi4ELi0ELi0EELi0ELi0ELi4ELi0EEEviiP15ncclDevWorkColl
	.type	_ZN12_GLOBAL__N_17runRingI12rccl_bfloat813FuncPreMulSumIS1_E11ProtoSimpleILi2ELi2ELi0ELi4ELi0ELi0EELi0ELi0ELi4ELi0EEEviiP15ncclDevWorkColl,@function
_ZN12_GLOBAL__N_17runRingI12rccl_bfloat813FuncPreMulSumIS1_E11ProtoSimpleILi2ELi2ELi0ELi4ELi0ELi0EELi0ELi0ELi4ELi0EEEviiP15ncclDevWorkColl: ; @_ZN12_GLOBAL__N_17runRingI12rccl_bfloat813FuncPreMulSumIS1_E11ProtoSimpleILi2ELi2ELi0ELi4ELi0ELi0EELi0ELi0ELi4ELi0EEEviiP15ncclDevWorkColl
; %bb.0:
	s_waitcnt vmcnt(0) expcnt(0) lgkmcnt(0)
	s_mov_b32 s0, s33
	s_mov_b32 s33, s32
	s_or_saveexec_b32 s1, -1
	s_clause 0x1
	scratch_store_b32 off, v191, s33 offset:652
	; meta instruction
	scratch_store_b32 off, v190, s33 offset:656
	s_mov_b32 exec_lo, s1
	v_writelane_b32 v191, s0, 14
	s_addk_i32 s32, 0x2a0
	s_clause 0x1f
	scratch_store_b32 off, v40, s33 offset:308
	; meta instruction
	scratch_store_b32 off, v41, s33 offset:304
	; meta instruction
	;; [unrolled: 2-line block ×31, first 2 shown]
	scratch_store_b32 off, v95, s33 offset:184
	s_clause 0x1f
	scratch_store_b32 off, v104, s33 offset:180
	; meta instruction
	scratch_store_b32 off, v105, s33 offset:176
	; meta instruction
	;; [unrolled: 2-line block ×31, first 2 shown]
	scratch_store_b32 off, v159, s33 offset:56
	s_clause 0xd
	scratch_store_b32 off, v168, s33 offset:52
	; meta instruction
	scratch_store_b32 off, v169, s33 offset:48
	; meta instruction
	;; [unrolled: 2-line block ×13, first 2 shown]
	scratch_store_b32 off, v189, s33
	v_writelane_b32 v191, s34, 0
	v_writelane_b32 v191, s35, 1
	;; [unrolled: 1-line block ×14, first 2 shown]
	s_cbranch_execz .LBB6_1
; %bb.18493:
	s_getpc_b64 s[48:49]
.Lpost_getpc273:
	s_add_u32 s48, s48, (.LBB6_17939-.Lpost_getpc273)&4294967295
	s_addc_u32 s49, s49, (.LBB6_17939-.Lpost_getpc273)>>32
	s_setpc_b64 s[48:49]
.LBB6_1:
	flat_load_b32 v7, v[2:3]
	ds_load_b32 v6, v0
	s_mov_b32 s0, exec_lo
                                        ; implicit-def: $vgpr14_vgpr15
                                        ; implicit-def: $vgpr24_vgpr25
                                        ; implicit-def: $vgpr4_vgpr5
	s_waitcnt lgkmcnt(0)
	v_readfirstlane_b32 s19, v6
	s_waitcnt vmcnt(0)
	v_and_b32_e32 v8, 0xff, v7
	s_delay_alu instid0(VALU_DEP_1)
	v_cmpx_ne_u32_e64 v8, v6
	s_xor_b32 s0, exec_lo, s0
	s_cbranch_execz .LBB6_2
; %bb.18495:
	s_getpc_b64 s[48:49]
.Lpost_getpc274:
	s_add_u32 s48, s48, (.LBB6_17941-.Lpost_getpc274)&4294967295
	s_addc_u32 s49, s49, (.LBB6_17941-.Lpost_getpc274)>>32
	s_setpc_b64 s[48:49]
.LBB6_2:
	s_and_not1_saveexec_b32 s0, s0
	s_cbranch_execz .LBB6_3
; %bb.18497:
	s_getpc_b64 s[48:49]
.Lpost_getpc275:
	s_add_u32 s48, s48, (.LBB6_17946-.Lpost_getpc275)&4294967295
	s_addc_u32 s49, s49, (.LBB6_17946-.Lpost_getpc275)>>32
	s_setpc_b64 s[48:49]
.LBB6_3:
	s_or_b32 exec_lo, exec_lo, s0
	s_cbranch_execz .LBB6_4
; %bb.18499:
	s_getpc_b64 s[48:49]
.Lpost_getpc276:
	s_add_u32 s48, s48, (.LBB6_17947-.Lpost_getpc276)&4294967295
	s_addc_u32 s49, s49, (.LBB6_17947-.Lpost_getpc276)>>32
	s_setpc_b64 s[48:49]
.LBB6_4:
	ds_load_b64 v[6:7], v0
	s_mov_b32 s1, exec_lo
	s_waitcnt lgkmcnt(0)
	v_cmp_ne_u32_e32 vcc_lo, -1, v6
	v_cndmask_b32_e64 v17, 0, 1, vcc_lo
	v_cmp_ne_u32_e32 vcc_lo, -1, v7
	s_delay_alu instid0(VALU_DEP_2) | instskip(NEXT) | instid1(VALU_DEP_1)
	v_add_co_ci_u32_e64 v8, s0, 0, v17, vcc_lo
	v_lshlrev_b32_e32 v6, 1, v8
	s_delay_alu instid0(VALU_DEP_1)
	v_cmpx_le_i32_e64 v6, v1
	s_xor_b32 s18, exec_lo, s1
	s_cbranch_execnz .LBB6_5
; %bb.18501:
	s_getpc_b64 s[48:49]
.Lpost_getpc277:
	s_add_u32 s48, s48, (.LBB6_18192-.Lpost_getpc277)&4294967295
	s_addc_u32 s49, s49, (.LBB6_18192-.Lpost_getpc277)>>32
	s_setpc_b64 s[48:49]
.LBB6_5:
	s_clause 0x3
	flat_load_b64 v[15:16], v[2:3] offset:104
	flat_load_b128 v[10:13], v[2:3] offset:16
	flat_load_u16 v7, v[2:3] offset:8
	flat_load_b32 v6, v[2:3] offset:4
	s_cbranch_execz .LBB6_6
; %bb.18503:
	s_getpc_b64 s[48:49]
.Lpost_getpc278:
	s_add_u32 s48, s48, (.LBB6_17949-.Lpost_getpc278)&4294967295
	s_addc_u32 s49, s49, (.LBB6_17949-.Lpost_getpc278)>>32
	s_setpc_b64 s[48:49]
.LBB6_6:
	s_load_b32 s0, s[8:9], 0x0
	v_dual_mov_b32 v9, 0 :: v_dual_mov_b32 v30, 4
	s_waitcnt lgkmcnt(0)
	s_cmp_lt_u32 s12, s0
	s_cselect_b32 s0, 12, 18
	s_delay_alu instid0(SALU_CYCLE_1)
	s_add_u32 s0, s8, s0
	s_addc_u32 s1, s9, 0
	global_load_u16 v18, v9, s[0:1]
	ds_load_b32 v9, v0
	s_mov_b32 s1, exec_lo
	s_waitcnt lgkmcnt(0)
	v_readfirstlane_b32 s2, v9
	v_cmpx_ge_i32_e64 v0, v17
	s_cbranch_execz .LBB6_16
; %bb.7:
	v_cmp_le_u32_e64 s0, v8, v0
                                        ; implicit-def: $vgpr30
	s_delay_alu instid0(VALU_DEP_1) | instskip(NEXT) | instid1(SALU_CYCLE_1)
	s_and_saveexec_b32 s3, s0
	s_xor_b32 s0, exec_lo, s3
	s_cbranch_execz .LBB6_13
; %bb.8:
	v_cndmask_b32_e64 v9, 0, 1, vcc_lo
	s_mov_b32 s3, exec_lo
                                        ; implicit-def: $sgpr4
	s_delay_alu instid0(VALU_DEP_1) | instskip(NEXT) | instid1(VALU_DEP_1)
	v_sub_nc_u32_e32 v9, v1, v9
	v_cmpx_ge_u32_e64 v0, v9
	s_xor_b32 s3, exec_lo, s3
; %bb.9:
	s_mov_b32 s4, 16
                                        ; implicit-def: $vgpr8
; %bb.10:
	s_or_saveexec_b32 s3, s3
	v_mov_b32_e32 v30, s4
	s_xor_b32 exec_lo, exec_lo, s3
; %bb.11:
	v_sub_nc_u32_e32 v8, v1, v8
	s_delay_alu instid0(VALU_DEP_1) | instskip(SKIP_1) | instid1(VALU_DEP_1)
	v_cmp_ge_i32_e32 vcc_lo, v0, v8
	v_cndmask_b32_e64 v8, 0, 1, vcc_lo
	v_lshlrev_b32_e32 v30, 5, v8
; %bb.12:
	s_or_b32 exec_lo, exec_lo, s3
.LBB6_13:
	s_and_not1_saveexec_b32 s0, s0
; %bb.14:
	v_mov_b32_e32 v30, 8
; %bb.15:
	s_or_b32 exec_lo, exec_lo, s0
.LBB6_16:
	s_delay_alu instid0(SALU_CYCLE_1) | instskip(NEXT) | instid1(VALU_DEP_1)
	s_or_b32 exec_lo, exec_lo, s1
	v_and_b32_e32 v8, 36, v30
	s_delay_alu instid0(VALU_DEP_1)
	v_cmp_ne_u32_e32 vcc_lo, 0, v8
	v_mov_b32_e32 v8, -1
	s_and_saveexec_b32 s0, vcc_lo
	s_cbranch_execz .LBB6_19
; %bb.17:
	s_cbranch_execz .LBB6_18
; %bb.18505:
	s_getpc_b64 s[48:49]
.Lpost_getpc279:
	s_add_u32 s48, s48, (.LBB6_17951-.Lpost_getpc279)&4294967295
	s_addc_u32 s49, s49, (.LBB6_17951-.Lpost_getpc279)>>32
	s_setpc_b64 s[48:49]
.LBB6_18:
	ds_load_b32 v8, v0
.LBB6_19:
	s_or_b32 exec_lo, exec_lo, s0
	v_and_b32_e32 v9, 24, v30
	s_mov_b32 s1, exec_lo
	s_delay_alu instid0(VALU_DEP_1)
	v_cmpx_ne_u32_e32 0, v9
	s_cbranch_execz .LBB6_22
; %bb.20:
	s_cbranch_execz .LBB6_21
; %bb.18507:
	s_getpc_b64 s[48:49]
.Lpost_getpc280:
	s_add_u32 s48, s48, (.LBB6_17953-.Lpost_getpc280)&4294967295
	s_addc_u32 s49, s49, (.LBB6_17953-.Lpost_getpc280)>>32
	s_setpc_b64 s[48:49]
.LBB6_21:
	s_waitcnt lgkmcnt(0)
	ds_load_b32 v8, v0
.LBB6_22:
	s_or_b32 exec_lo, exec_lo, s1
	s_waitcnt vmcnt(1)
	v_lshrrev_b64 v[6:7], 31, v[6:7]
	v_mov_b32_e32 v28, 0
	v_mov_b32_e32 v29, 0
                                        ; implicit-def: $vgpr137_vgpr138
                                        ; implicit-def: $vgpr139
                                        ; implicit-def: $vgpr34_vgpr35
                                        ; implicit-def: $vgpr141_vgpr142
                                        ; implicit-def: $vgpr118_vgpr119
                                        ; implicit-def: $vgpr32_vgpr33
	s_delay_alu instid0(VALU_DEP_2) | instskip(NEXT) | instid1(VALU_DEP_2)
	v_dual_mov_b32 v6, v28 :: v_dual_and_b32 v19, 3, v6
	v_mov_b32_e32 v7, v29
	s_and_saveexec_b32 s0, vcc_lo
	s_cbranch_execz .LBB6_35
; %bb.23:
	s_cbranch_execz .LBB6_24
; %bb.18509:
	s_getpc_b64 s[48:49]
.Lpost_getpc281:
	s_add_u32 s48, s48, (.LBB6_17955-.Lpost_getpc281)&4294967295
	s_addc_u32 s49, s49, (.LBB6_17955-.Lpost_getpc281)>>32
	s_setpc_b64 s[48:49]
.LBB6_24:
	ds_load_b64 v[6:7], v0
	s_waitcnt lgkmcnt(1)
	v_ashrrev_i32_e32 v9, 31, v8
	s_mov_b32 s1, exec_lo
                                        ; implicit-def: $vgpr137_vgpr138
	s_delay_alu instid0(VALU_DEP_1) | instskip(SKIP_2) | instid1(VALU_DEP_2)
	v_lshlrev_b64 v[20:21], 3, v[8:9]
	v_and_b32_e32 v9, 0xffff, v19
	s_waitcnt lgkmcnt(0)
	v_add_co_u32 v6, vcc_lo, v6, v20
	s_delay_alu instid0(VALU_DEP_3)
	v_add_co_ci_u32_e32 v7, vcc_lo, v7, v21, vcc_lo
	flat_load_b64 v[6:7], v[6:7]
	s_waitcnt vmcnt(0) lgkmcnt(0)
	v_mad_u64_u32 v[20:21], null, 0xa8, v9, v[6:7]
	flat_load_b32 v6, v[20:21] offset:640
	v_add_co_u32 v28, vcc_lo, 0x1f8, v20
	v_add_co_ci_u32_e32 v29, vcc_lo, 0, v21, vcc_lo
	s_waitcnt vmcnt(0) lgkmcnt(0)
	v_cmpx_eq_u32_e32 1, v6
	s_cbranch_execz .LBB6_27
; %bb.25:
	flat_load_b64 v[137:138], v[28:29] offset:144
	s_waitcnt vmcnt(0) lgkmcnt(0)
	flat_load_b64 v[6:7], v[137:138]
	s_cbranch_execz .LBB6_26
; %bb.18511:
	s_getpc_b64 s[48:49]
.Lpost_getpc282:
	s_add_u32 s48, s48, (.LBB6_17963-.Lpost_getpc282)&4294967295
	s_addc_u32 s49, s49, (.LBB6_17963-.Lpost_getpc282)>>32
	s_setpc_b64 s[48:49]
.LBB6_26:
	s_waitcnt vmcnt(0) lgkmcnt(0)
	ds_store_b64 v0, v[6:7]
	flat_load_b64 v[6:7], v[137:138] offset:8
	v_or_b32_e32 v30, 0x2000, v30
	s_waitcnt vmcnt(0) lgkmcnt(0)
	ds_store_b64 v0, v[6:7]
	flat_load_b64 v[6:7], v[137:138] offset:16
	s_waitcnt vmcnt(0) lgkmcnt(0)
	ds_store_b64 v0, v[6:7]
.LBB6_27:
	s_or_b32 exec_lo, exec_lo, s1
	flat_load_b64 v[6:7], v[28:29] offset:104
	v_and_b32_e32 v9, 32, v30
	s_mov_b32 s1, exec_lo
                                        ; implicit-def: $vgpr32_vgpr33
	s_waitcnt vmcnt(0) lgkmcnt(0)
	v_add_co_u32 v6, vcc_lo, v6, 3
	v_add_co_ci_u32_e32 v35, vcc_lo, 0, v7, vcc_lo
	s_delay_alu instid0(VALU_DEP_2)
	v_and_b32_e32 v34, -4, v6
	v_cmpx_ne_u32_e32 0, v9
	s_cbranch_execz .LBB6_29
; %bb.28:
	flat_load_b64 v[32:33], v[28:29] offset:56
	s_waitcnt vmcnt(0) lgkmcnt(0)
	s_waitcnt_vscnt null, 0x0
	flat_store_b64 v[32:33], v[34:35]
.LBB6_29:
	s_or_b32 exec_lo, exec_lo, s1
	v_dual_mov_b32 v6, 0 :: v_dual_and_b32 v9, 4, v30
	v_mov_b32_e32 v7, 0
	s_mov_b32 s1, exec_lo
                                        ; implicit-def: $vgpr139
                                        ; implicit-def: $vgpr141_vgpr142
                                        ; implicit-def: $vgpr118_vgpr119
	s_delay_alu instid0(VALU_DEP_2)
	v_cmpx_ne_u32_e32 0, v9
	s_cbranch_execz .LBB6_34
; %bb.30:
	v_and_b32_e32 v6, 0x800, v30
	s_mov_b32 s3, exec_lo
	s_delay_alu instid0(VALU_DEP_1)
	v_cmpx_eq_u32_e32 0, v6
	s_cbranch_execz .LBB6_33
; %bb.31:
	s_cbranch_execz .LBB6_32
; %bb.18513:
	s_getpc_b64 s[48:49]
.Lpost_getpc283:
	s_add_u32 s48, s48, (.LBB6_17965-.Lpost_getpc283)&4294967295
	s_addc_u32 s49, s49, (.LBB6_17965-.Lpost_getpc283)>>32
	s_setpc_b64 s[48:49]
.LBB6_32:
	ds_store_b64 v0, v[28:29]
.LBB6_33:
	s_or_b32 exec_lo, exec_lo, s3
	flat_load_b64 v[32:33], v[28:29] offset:48
	v_or_b32_e32 v9, 0x100, v30
	s_waitcnt vmcnt(0) lgkmcnt(0)
	flat_load_b64 v[118:119], v[32:33] glc
	s_clause 0x2
	flat_load_b64 v[6:7], v[28:29] offset:96
	flat_load_b32 v139, v[28:29] offset:72
	flat_load_b64 v[141:142], v[28:29] offset:16
	s_waitcnt vmcnt(2) lgkmcnt(2)
	v_cmp_eq_u64_e32 vcc_lo, 0, v[6:7]
	v_cndmask_b32_e32 v30, v9, v30, vcc_lo
.LBB6_34:
	s_or_b32 exec_lo, exec_lo, s1
.LBB6_35:
	s_delay_alu instid0(SALU_CYCLE_1) | instskip(NEXT) | instid1(VALU_DEP_1)
	s_or_b32 exec_lo, exec_lo, s0
	v_and_b32_e32 v9, 24, v30
	s_mov_b32 s0, exec_lo
                                        ; implicit-def: $vgpr152_vgpr153
	s_delay_alu instid0(VALU_DEP_1)
	v_cmpx_ne_u32_e32 0, v9
	s_cbranch_execz .LBB6_45
; %bb.36:
	s_cbranch_execz .LBB6_37
; %bb.18515:
	s_getpc_b64 s[48:49]
.Lpost_getpc284:
	s_add_u32 s48, s48, (.LBB6_17957-.Lpost_getpc284)&4294967295
	s_addc_u32 s49, s49, (.LBB6_17957-.Lpost_getpc284)>>32
	s_setpc_b64 s[48:49]
.LBB6_37:
	ds_load_b64 v[6:7], v0
	s_waitcnt lgkmcnt(1)
	v_ashrrev_i32_e32 v9, 31, v8
	s_mov_b32 s1, exec_lo
                                        ; implicit-def: $vgpr152_vgpr153
	s_delay_alu instid0(VALU_DEP_1) | instskip(SKIP_1) | instid1(VALU_DEP_1)
	v_lshlrev_b64 v[8:9], 3, v[8:9]
	s_waitcnt lgkmcnt(0)
	v_add_co_u32 v6, vcc_lo, v6, v8
	s_delay_alu instid0(VALU_DEP_2)
	v_add_co_ci_u32_e32 v7, vcc_lo, v7, v9, vcc_lo
	v_and_b32_e32 v8, 0xffff, v19
	v_or_b32_e32 v19, 0x100, v30
	flat_load_b64 v[6:7], v[6:7]
	s_waitcnt vmcnt(0) lgkmcnt(0)
	v_mad_u64_u32 v[28:29], null, 0xa8, v8, v[6:7]
	flat_load_b128 v[6:9], v[28:29] offset:96
	s_waitcnt vmcnt(0) lgkmcnt(0)
	v_cmp_eq_u64_e32 vcc_lo, 0, v[6:7]
	v_cndmask_b32_e32 v30, v19, v30, vcc_lo
	s_delay_alu instid0(VALU_DEP_1) | instskip(NEXT) | instid1(VALU_DEP_1)
	v_and_b32_e32 v19, 16, v30
	v_cmpx_ne_u32_e32 0, v19
; %bb.38:
	s_clause 0x2
	flat_load_b64 v[152:153], v[28:29] offset:120
	flat_load_b64 v[32:33], v[28:29] offset:48
	;; [unrolled: 1-line block ×3, first 2 shown]
; %bb.39:
	s_or_b32 exec_lo, exec_lo, s1
	v_and_b32_e32 v19, 8, v30
	s_mov_b32 s1, exec_lo
	s_delay_alu instid0(VALU_DEP_1)
	v_cmpx_ne_u32_e32 0, v19
	s_cbranch_execz .LBB6_44
; %bb.40:
	v_and_b32_e32 v19, 0x800, v30
	s_mov_b32 s3, exec_lo
	s_delay_alu instid0(VALU_DEP_1)
	v_cmpx_eq_u32_e32 0, v19
	s_cbranch_execz .LBB6_43
; %bb.41:
	s_cbranch_execz .LBB6_42
; %bb.18517:
	s_getpc_b64 s[48:49]
.Lpost_getpc285:
	s_add_u32 s48, s48, (.LBB6_17967-.Lpost_getpc285)&4294967295
	s_addc_u32 s49, s49, (.LBB6_17967-.Lpost_getpc285)>>32
	s_setpc_b64 s[48:49]
.LBB6_42:
	ds_store_b64 v0, v[28:29]
.LBB6_43:
	s_or_b32 exec_lo, exec_lo, s3
	s_waitcnt vmcnt(1) lgkmcnt(1)
	flat_load_b64 v[32:33], v[28:29] offset:56
	s_waitcnt vmcnt(0) lgkmcnt(0)
	flat_load_b64 v[118:119], v[32:33] glc
	s_clause 0x1
	flat_load_b32 v139, v[28:29] offset:72
	flat_load_b64 v[141:142], v[28:29] offset:16
.LBB6_44:
	s_or_b32 exec_lo, exec_lo, s1
	v_add_co_u32 v8, vcc_lo, v8, 3
	v_add_co_ci_u32_e32 v35, vcc_lo, 0, v9, vcc_lo
	s_delay_alu instid0(VALU_DEP_2)
	v_and_b32_e32 v34, -4, v8
.LBB6_45:
	s_or_b32 exec_lo, exec_lo, s0
	v_cmp_eq_u32_e64 s0, 0, v0
	s_delay_alu instid0(VALU_DEP_1)
	s_and_saveexec_b32 s1, s0
	s_cbranch_execz .LBB6_48
; %bb.46:
	s_waitcnt lgkmcnt(0)
	flat_load_b64 v[8:9], v[2:3] offset:32
	ds_store_2addr_b64 v0, v[12:13], v[10:11] offset1:1
	s_cbranch_execz .LBB6_47
; %bb.18519:
	s_getpc_b64 s[48:49]
.Lpost_getpc286:
	s_add_u32 s48, s48, (.LBB6_17959-.Lpost_getpc286)&4294967295
	s_addc_u32 s49, s49, (.LBB6_17959-.Lpost_getpc286)>>32
	s_setpc_b64 s[48:49]
.LBB6_47:
	s_waitcnt vmcnt(0) lgkmcnt(1)
	ds_store_b64 v0, v[8:9]
	ds_store_b64 v0, v[15:16]
.LBB6_48:
	s_or_b32 exec_lo, exec_lo, s1
	v_mov_b32_e32 v154, 0
	s_waitcnt vmcnt(0)
	v_dual_mov_b32 v155, 0 :: v_dual_and_b32 v140, 0xffff, v18
	s_mov_b32 s20, exec_lo
	v_cmpx_lt_i64_e32 0, v[4:5]
	s_cbranch_execnz .LBB6_49
; %bb.18521:
	s_getpc_b64 s[48:49]
.Lpost_getpc287:
	s_add_u32 s48, s48, (.LBB6_17933-.Lpost_getpc287)&4294967295
	s_addc_u32 s49, s49, (.LBB6_17933-.Lpost_getpc287)>>32
	s_setpc_b64 s[48:49]
.LBB6_49:
	s_waitcnt lgkmcnt(0)
	flat_load_b32 v8, v[2:3] offset:4
	v_dual_mov_b32 v3, 0 :: v_dual_and_b32 v2, 31, v31
	s_ashr_i32 s21, s19, 31
	s_add_u32 s22, s19, -1
	s_addc_u32 s23, s21, -1
	s_not_b32 s3, s19
	v_cmp_ge_i32_e32 vcc_lo, v0, v1
	v_cmp_eq_u32_e64 s1, 0, v2
	s_cmp_gt_i32 s19, 0
	s_mov_b32 s24, 0
	s_cselect_b32 s26, s3, -1
	s_cbranch_execz .LBB6_50
; %bb.18523:
	s_getpc_b64 s[48:49]
.Lpost_getpc288:
	s_add_u32 s48, s48, (.LBB6_17961-.Lpost_getpc288)&4294967295
	s_addc_u32 s49, s49, (.LBB6_17961-.Lpost_getpc288)>>32
	s_setpc_b64 s[48:49]
.LBB6_50:
	v_ashrrev_i32_e32 v9, 31, v0
	v_lshrrev_b32_e32 v114, 5, v1
	v_dual_mov_b32 v19, 0 :: v_dual_and_b32 v2, 0x3ffffe00, v14
	s_waitcnt vmcnt(0) lgkmcnt(0)
	v_and_b32_e32 v8, 1, v8
	v_lshrrev_b32_e32 v9, 27, v9
	s_ashr_i32 s5, s2, 31
	s_add_i32 s25, s19, s19
	s_lshr_b32 s5, s5, 25
	s_add_i32 s26, s26, s25
	v_dual_mov_b32 v20, 0 :: v_dual_add_nc_u32 v9, v0, v9
	v_lshlrev_b32_e32 v158, 9, v114
	v_and_b32_e32 v171, 0xffffffe0, v1
	s_add_i32 s2, s2, s5
	s_delay_alu instid0(VALU_DEP_3) | instskip(SKIP_3) | instid1(VALU_DEP_4)
	v_dual_mov_b32 v21, 1 :: v_dual_and_b32 v10, 0xffffffe0, v9
	v_ashrrev_i32_e32 v156, 5, v9
	v_lshl_add_u32 v9, v114, 12, 0xfffff000
	v_mov_b32_e32 v155, v20
	v_sub_nc_u32_e32 v157, v0, v10
	v_add_nc_u32_e32 v159, 0xfffffe00, v158
	v_dual_mov_b32 v65, v3 :: v_dual_lshlrev_b32 v10, 12, v156
	v_add_co_u32 v146, s7, 0x1000, v9
	v_mov_b32_e32 v64, v2
	s_delay_alu instid0(VALU_DEP_3)
	v_lshl_add_u32 v11, v157, 4, v10
	v_ashrrev_i32_e32 v10, 31, v9
	v_lshl_add_u32 v9, v114, 10, 0xfffffc00
	v_ashrrev_i32_e32 v170, 31, v159
	v_mov_b32_e32 v154, v19
	v_subrev_nc_u32_e32 v174, 32, v171
	v_add_co_ci_u32_e64 v127, s7, 0, v10, s7
	v_add_co_u32 v172, s7, 0x200, v159
	v_ashrrev_i32_e32 v10, 31, v9
	v_add_co_ci_u32_e64 v173, s7, 0, v170, s7
	v_add_co_u32 v175, s7, 0x400, v9
	v_ashrrev_i32_e32 v185, 31, v174
	s_delay_alu instid0(VALU_DEP_4) | instskip(SKIP_1) | instid1(VALU_DEP_1)
	v_add_co_ci_u32_e64 v184, s7, 0, v10, s7
	v_add_co_u32 v186, s7, v174, 32
	v_add_co_ci_u32_e64 v187, s7, 0, v185, s7
	v_cmp_eq_u32_e64 s7, 1, v8
	v_lshlrev_b32_e32 v8, 11, v156
	s_ashr_i32 s27, s26, 31
	s_ashr_i32 s28, s2, 7
	s_cmp_gt_i32 s19, 2
	v_mad_i64_i32 v[168:169], null, v2, s19, 0
	v_sub_nc_u32_e32 v188, v11, v8
	v_lshl_add_u32 v8, v114, 11, 0xfffff800
	s_cselect_b32 s35, -1, 0
	s_add_i32 s2, s19, 1
	s_xor_b32 vcc_hi, s7, -1
	s_cmp_le_i32 s19, s2
	v_ashrrev_i32_e32 v9, 31, v8
	v_add_co_u32 v183, s13, 0x800, v8
	v_cmp_eq_u64_e64 s10, 0, v[152:153]
	v_cmp_ne_u64_e64 s11, 0, v[152:153]
	s_cselect_b32 s5, s19, 0
	v_ashrrev_i32_e32 v143, 31, v139
	v_cmp_eq_u32_e64 s30, 32, v1
	v_cmp_ne_u32_e64 s3, 32, v1
	v_cmp_ne_u32_e64 s4, v140, v1
	v_cmp_gt_i32_e64 s34, 1, v157
	v_cmp_lt_i32_e64 s31, v157, v17
	v_ashrrev_i32_e32 v12, 31, v11
	v_cmp_le_i32_e64 s12, v157, v17
	v_ashrrev_i32_e32 v189, 31, v188
	v_add_co_ci_u32_e64 v43, s13, 0, v9, s13
	s_sub_i32 s14, s2, s5
	s_add_i32 s37, s19, -2
	s_ashr_i32 s36, s14, 31
	s_xor_b32 s38, vcc_lo, -1
	s_sub_i32 s39, 0, s19
	s_clause 0x1
	scratch_store_b32 off, v12, s33 offset:316
	scratch_store_b32 off, v11, s33 offset:312
.LBB6_51:                               ; =>This Loop Header: Depth=1
                                        ;     Child Loop BB6_59 Depth 2
                                        ;       Child Loop BB6_68 Depth 3
                                        ;       Child Loop BB6_95 Depth 3
	;; [unrolled: 1-line block ×9, first 2 shown]
                                        ;     Child Loop BB6_3092 Depth 2
                                        ;       Child Loop BB6_3098 Depth 3
                                        ;       Child Loop BB6_3125 Depth 3
	;; [unrolled: 1-line block ×3, first 2 shown]
                                        ;     Child Loop BB6_3173 Depth 2
                                        ;       Child Loop BB6_3175 Depth 3
                                        ;         Child Loop BB6_3184 Depth 4
                                        ;         Child Loop BB6_3216 Depth 4
	;; [unrolled: 1-line block ×9, first 2 shown]
                                        ;       Child Loop BB6_7901 Depth 3
                                        ;         Child Loop BB6_7907 Depth 4
                                        ;         Child Loop BB6_7937 Depth 4
	;; [unrolled: 1-line block ×3, first 2 shown]
                                        ;     Child Loop BB6_7988 Depth 2
                                        ;       Child Loop BB6_7997 Depth 3
                                        ;       Child Loop BB6_8027 Depth 3
	;; [unrolled: 1-line block ×5, first 2 shown]
                                        ;         Child Loop BB6_11109 Depth 4
                                        ;       Child Loop BB6_11312 Depth 3
                                        ;       Child Loop BB6_12608 Depth 3
                                        ;         Child Loop BB6_12647 Depth 4
                                        ;       Child Loop BB6_12675 Depth 3
                                        ;       Child Loop BB6_15250 Depth 3
	;; [unrolled: 1-line block ×6, first 2 shown]
                                        ;     Child Loop BB6_17311 Depth 2
                                        ;       Child Loop BB6_17317 Depth 3
                                        ;       Child Loop BB6_17349 Depth 3
	;; [unrolled: 1-line block ×3, first 2 shown]
                                        ;     Child Loop BB6_17397 Depth 2
                                        ;       Child Loop BB6_17399 Depth 3
                                        ;         Child Loop BB6_17408 Depth 4
                                        ;         Child Loop BB6_17440 Depth 4
	;; [unrolled: 1-line block ×5, first 2 shown]
                                        ;           Child Loop BB6_17495 Depth 5
                                        ;         Child Loop BB6_17506 Depth 4
                                        ;         Child Loop BB6_17512 Depth 4
                                        ;           Child Loop BB6_17513 Depth 5
                                        ;         Child Loop BB6_17527 Depth 4
                                        ;         Child Loop BB6_17533 Depth 4
	;; [unrolled: 1-line block ×6, first 2 shown]
                                        ;       Child Loop BB6_17608 Depth 3
                                        ;         Child Loop BB6_17614 Depth 4
                                        ;         Child Loop BB6_17644 Depth 4
	;; [unrolled: 1-line block ×3, first 2 shown]
                                        ;     Child Loop BB6_17693 Depth 2
                                        ;       Child Loop BB6_17702 Depth 3
                                        ;       Child Loop BB6_17729 Depth 3
	;; [unrolled: 1-line block ×9, first 2 shown]
                                        ;     Child Loop BB6_17854 Depth 2
                                        ;       Child Loop BB6_17860 Depth 3
                                        ;       Child Loop BB6_17887 Depth 3
	;; [unrolled: 1-line block ×3, first 2 shown]
	v_sub_co_u32 v66, vcc_lo, v4, v19
	v_sub_co_ci_u32_e32 v67, vcc_lo, v5, v20, vcc_lo
	s_mov_b32 s2, exec_lo
	s_delay_alu instid0(VALU_DEP_1)
	v_cmpx_lt_i64_e64 v[66:67], v[168:169]
	s_cbranch_execz .LBB6_57
; %bb.52:                               ;   in Loop: Header=BB6_51 Depth=1
	v_add_co_u32 v2, vcc_lo, s22, v66
	v_add_co_ci_u32_e32 v10, vcc_lo, s23, v67, vcc_lo
	v_mov_b32_e32 v8, v3
	s_delay_alu instid0(VALU_DEP_2) | instskip(NEXT) | instid1(VALU_DEP_1)
	v_or_b32_e32 v9, s21, v10
	v_cmp_ne_u64_e32 vcc_lo, 0, v[8:9]
                                        ; implicit-def: $vgpr8_vgpr9
	s_and_saveexec_b32 s5, vcc_lo
	s_delay_alu instid0(SALU_CYCLE_1)
	s_xor_b32 s5, exec_lo, s5
	s_cbranch_execz .LBB6_54
; %bb.53:                               ;   in Loop: Header=BB6_51 Depth=1
	s_add_u32 s16, s19, s21
	s_mov_b32 s6, s14
	s_mov_b32 s14, s21
	;; [unrolled: 1-line block ×3, first 2 shown]
	s_addc_u32 s17, s21, s21
	s_delay_alu instid0(SALU_CYCLE_1) | instskip(NEXT) | instid1(SALU_CYCLE_1)
	s_xor_b64 s[16:17], s[16:17], s[14:15]
	v_cvt_f32_u32_e32 v8, s16
	v_cvt_f32_u32_e32 v9, s17
	s_sub_u32 s13, 0, s16
	s_subb_u32 s29, 0, s17
	s_delay_alu instid0(VALU_DEP_1) | instskip(NEXT) | instid1(VALU_DEP_1)
	v_fmac_f32_e32 v8, 0x4f800000, v9
	v_rcp_f32_e32 v8, v8
	s_waitcnt_depctr 0xfff
	v_mul_f32_e32 v8, 0x5f7ffffc, v8
	s_delay_alu instid0(VALU_DEP_1) | instskip(NEXT) | instid1(VALU_DEP_1)
	v_mul_f32_e32 v9, 0x2f800000, v8
	v_trunc_f32_e32 v9, v9
	s_delay_alu instid0(VALU_DEP_1) | instskip(SKIP_1) | instid1(VALU_DEP_2)
	v_fmac_f32_e32 v8, 0xcf800000, v9
	v_cvt_u32_f32_e32 v9, v9
	v_cvt_u32_f32_e32 v8, v8
	s_delay_alu instid0(VALU_DEP_2) | instskip(NEXT) | instid1(VALU_DEP_2)
	v_mul_lo_u32 v11, s13, v9
	v_mul_hi_u32 v12, s13, v8
	v_mul_lo_u32 v13, s29, v8
	s_delay_alu instid0(VALU_DEP_2) | instskip(SKIP_1) | instid1(VALU_DEP_2)
	v_add_nc_u32_e32 v11, v12, v11
	v_mul_lo_u32 v12, s13, v8
	v_add_nc_u32_e32 v11, v11, v13
	s_delay_alu instid0(VALU_DEP_2) | instskip(NEXT) | instid1(VALU_DEP_2)
	v_mul_hi_u32 v13, v8, v12
	v_mul_lo_u32 v14, v8, v11
	v_mul_hi_u32 v15, v8, v11
	v_mul_hi_u32 v16, v9, v12
	v_mul_lo_u32 v12, v9, v12
	v_mul_hi_u32 v17, v9, v11
	v_mul_lo_u32 v11, v9, v11
	v_add_co_u32 v13, vcc_lo, v13, v14
	v_add_co_ci_u32_e32 v14, vcc_lo, 0, v15, vcc_lo
	s_delay_alu instid0(VALU_DEP_2) | instskip(NEXT) | instid1(VALU_DEP_2)
	v_add_co_u32 v12, vcc_lo, v13, v12
	v_add_co_ci_u32_e32 v12, vcc_lo, v14, v16, vcc_lo
	v_add_co_ci_u32_e32 v13, vcc_lo, 0, v17, vcc_lo
	v_ashrrev_i32_e32 v16, 31, v10
	s_delay_alu instid0(VALU_DEP_3) | instskip(NEXT) | instid1(VALU_DEP_3)
	v_add_co_u32 v11, vcc_lo, v12, v11
	v_add_co_ci_u32_e32 v12, vcc_lo, 0, v13, vcc_lo
	s_delay_alu instid0(VALU_DEP_2) | instskip(NEXT) | instid1(VALU_DEP_2)
	v_add_co_u32 v8, vcc_lo, v8, v11
	v_add_co_ci_u32_e32 v9, vcc_lo, v9, v12, vcc_lo
	s_delay_alu instid0(VALU_DEP_2) | instskip(SKIP_1) | instid1(VALU_DEP_3)
	v_mul_hi_u32 v11, s13, v8
	v_mul_lo_u32 v13, s29, v8
	v_mul_lo_u32 v12, s13, v9
	s_delay_alu instid0(VALU_DEP_1) | instskip(SKIP_1) | instid1(VALU_DEP_2)
	v_add_nc_u32_e32 v11, v11, v12
	v_mul_lo_u32 v12, s13, v8
	v_add_nc_u32_e32 v11, v11, v13
	s_delay_alu instid0(VALU_DEP_2) | instskip(NEXT) | instid1(VALU_DEP_2)
	v_mul_hi_u32 v13, v8, v12
	v_mul_lo_u32 v14, v8, v11
	v_mul_hi_u32 v15, v8, v11
	v_mul_hi_u32 v17, v9, v12
	v_mul_lo_u32 v12, v9, v12
	v_mul_hi_u32 v18, v9, v11
	v_mul_lo_u32 v11, v9, v11
	v_add_co_u32 v13, vcc_lo, v13, v14
	v_add_co_ci_u32_e32 v14, vcc_lo, 0, v15, vcc_lo
	s_delay_alu instid0(VALU_DEP_2) | instskip(NEXT) | instid1(VALU_DEP_2)
	v_add_co_u32 v12, vcc_lo, v13, v12
	v_add_co_ci_u32_e32 v12, vcc_lo, v14, v17, vcc_lo
	v_add_co_ci_u32_e32 v13, vcc_lo, 0, v18, vcc_lo
	v_add_co_u32 v2, vcc_lo, v2, v16
	v_add_co_ci_u32_e32 v10, vcc_lo, v10, v16, vcc_lo
	s_delay_alu instid0(VALU_DEP_4) | instskip(NEXT) | instid1(VALU_DEP_4)
	v_add_co_u32 v11, vcc_lo, v12, v11
	v_add_co_ci_u32_e32 v12, vcc_lo, 0, v13, vcc_lo
	s_delay_alu instid0(VALU_DEP_4) | instskip(NEXT) | instid1(VALU_DEP_3)
	v_xor_b32_e32 v2, v2, v16
	v_add_co_u32 v13, vcc_lo, v8, v11
	s_delay_alu instid0(VALU_DEP_3) | instskip(SKIP_1) | instid1(VALU_DEP_3)
	v_add_co_ci_u32_e32 v14, vcc_lo, v9, v12, vcc_lo
	v_xor_b32_e32 v15, v10, v16
	v_mul_hi_u32 v17, v2, v13
	s_delay_alu instid0(VALU_DEP_3) | instskip(NEXT) | instid1(VALU_DEP_3)
	v_mad_u64_u32 v[8:9], null, v2, v14, 0
	v_mad_u64_u32 v[10:11], null, v15, v13, 0
	;; [unrolled: 1-line block ×3, first 2 shown]
	s_delay_alu instid0(VALU_DEP_3) | instskip(NEXT) | instid1(VALU_DEP_4)
	v_add_co_u32 v8, vcc_lo, v17, v8
	v_add_co_ci_u32_e32 v9, vcc_lo, 0, v9, vcc_lo
	s_delay_alu instid0(VALU_DEP_2) | instskip(NEXT) | instid1(VALU_DEP_2)
	v_add_co_u32 v8, vcc_lo, v8, v10
	v_add_co_ci_u32_e32 v8, vcc_lo, v9, v11, vcc_lo
	v_add_co_ci_u32_e32 v9, vcc_lo, 0, v13, vcc_lo
	s_delay_alu instid0(VALU_DEP_2) | instskip(NEXT) | instid1(VALU_DEP_2)
	v_add_co_u32 v10, vcc_lo, v8, v12
	v_add_co_ci_u32_e32 v11, vcc_lo, 0, v9, vcc_lo
	s_delay_alu instid0(VALU_DEP_2) | instskip(SKIP_1) | instid1(VALU_DEP_3)
	v_mul_lo_u32 v12, s17, v10
	v_mad_u64_u32 v[8:9], null, s16, v10, 0
	v_mul_lo_u32 v13, s16, v11
	s_delay_alu instid0(VALU_DEP_2) | instskip(NEXT) | instid1(VALU_DEP_2)
	v_sub_co_u32 v2, vcc_lo, v2, v8
	v_add3_u32 v9, v9, v13, v12
	s_delay_alu instid0(VALU_DEP_1) | instskip(NEXT) | instid1(VALU_DEP_1)
	v_sub_nc_u32_e32 v12, v15, v9
	v_subrev_co_ci_u32_e64 v8, s13, s17, v12, vcc_lo
	v_add_co_u32 v12, s13, v10, 2
	s_delay_alu instid0(VALU_DEP_1) | instskip(SKIP_3) | instid1(VALU_DEP_3)
	v_add_co_ci_u32_e64 v13, s13, 0, v11, s13
	v_sub_co_u32 v14, s13, v2, s16
	v_sub_co_ci_u32_e32 v9, vcc_lo, v15, v9, vcc_lo
	v_subrev_co_ci_u32_e64 v8, s13, 0, v8, s13
	v_cmp_le_u32_e32 vcc_lo, s16, v14
	s_delay_alu instid0(VALU_DEP_3) | instskip(SKIP_1) | instid1(VALU_DEP_4)
	v_cmp_eq_u32_e64 s13, s17, v9
	v_cndmask_b32_e64 v14, 0, -1, vcc_lo
	v_cmp_le_u32_e32 vcc_lo, s17, v8
	v_cndmask_b32_e64 v15, 0, -1, vcc_lo
	v_cmp_le_u32_e32 vcc_lo, s16, v2
	;; [unrolled: 2-line block ×3, first 2 shown]
	v_cndmask_b32_e64 v17, 0, -1, vcc_lo
	v_cmp_eq_u32_e32 vcc_lo, s17, v8
	s_delay_alu instid0(VALU_DEP_2) | instskip(SKIP_3) | instid1(VALU_DEP_3)
	v_cndmask_b32_e64 v2, v17, v2, s13
	v_cndmask_b32_e32 v8, v15, v14, vcc_lo
	v_add_co_u32 v14, vcc_lo, v10, 1
	v_add_co_ci_u32_e32 v15, vcc_lo, 0, v11, vcc_lo
	v_cmp_ne_u32_e32 vcc_lo, 0, v8
	s_delay_alu instid0(VALU_DEP_2) | instskip(SKIP_3) | instid1(VALU_DEP_3)
	v_dual_cndmask_b32 v8, v15, v13 :: v_dual_cndmask_b32 v9, v14, v12
	v_cmp_ne_u32_e32 vcc_lo, 0, v2
	v_xor_b32_e32 v2, s14, v16
	s_mov_b32 s14, s6
	v_dual_cndmask_b32 v8, v11, v8 :: v_dual_cndmask_b32 v9, v10, v9
	v_xor_b32_e32 v10, s15, v16
	s_delay_alu instid0(VALU_DEP_2) | instskip(NEXT) | instid1(VALU_DEP_2)
	v_xor_b32_e32 v9, v9, v2
	v_xor_b32_e32 v11, v8, v10
	s_delay_alu instid0(VALU_DEP_2) | instskip(NEXT) | instid1(VALU_DEP_2)
	v_sub_co_u32 v8, vcc_lo, v9, v2
	v_sub_co_ci_u32_e32 v9, vcc_lo, v11, v10, vcc_lo
                                        ; implicit-def: $vgpr2
.LBB6_54:                               ;   in Loop: Header=BB6_51 Depth=1
	s_and_not1_saveexec_b32 s5, s5
	s_cbranch_execz .LBB6_56
; %bb.55:                               ;   in Loop: Header=BB6_51 Depth=1
	v_cvt_f32_u32_e32 v8, s19
	s_delay_alu instid0(VALU_DEP_1) | instskip(SKIP_2) | instid1(VALU_DEP_1)
	v_rcp_iflag_f32_e32 v8, v8
	s_waitcnt_depctr 0xfff
	v_mul_f32_e32 v8, 0x4f7ffffe, v8
	v_cvt_u32_f32_e32 v8, v8
	s_delay_alu instid0(VALU_DEP_1) | instskip(NEXT) | instid1(VALU_DEP_1)
	v_mul_lo_u32 v9, s39, v8
	v_mul_hi_u32 v9, v8, v9
	s_delay_alu instid0(VALU_DEP_1) | instskip(NEXT) | instid1(VALU_DEP_1)
	v_add_nc_u32_e32 v8, v8, v9
	v_mul_hi_u32 v8, v2, v8
	s_delay_alu instid0(VALU_DEP_1) | instskip(NEXT) | instid1(VALU_DEP_1)
	v_mul_lo_u32 v9, v8, s19
	v_sub_nc_u32_e32 v2, v2, v9
	s_delay_alu instid0(VALU_DEP_1) | instskip(SKIP_1) | instid1(VALU_DEP_2)
	v_subrev_nc_u32_e32 v10, s19, v2
	v_cmp_le_u32_e32 vcc_lo, s19, v2
	v_dual_cndmask_b32 v2, v2, v10 :: v_dual_add_nc_u32 v9, 1, v8
	s_delay_alu instid0(VALU_DEP_1) | instskip(NEXT) | instid1(VALU_DEP_2)
	v_cndmask_b32_e32 v8, v8, v9, vcc_lo
	v_cmp_le_u32_e32 vcc_lo, s19, v2
	s_delay_alu instid0(VALU_DEP_2) | instskip(NEXT) | instid1(VALU_DEP_1)
	v_add_nc_u32_e32 v9, 1, v8
	v_cndmask_b32_e32 v2, v8, v9, vcc_lo
	s_delay_alu instid0(VALU_DEP_1)
	v_dual_mov_b32 v9, v3 :: v_dual_mov_b32 v8, v2
.LBB6_56:                               ;   in Loop: Header=BB6_51 Depth=1
	s_or_b32 exec_lo, exec_lo, s5
	s_delay_alu instid0(VALU_DEP_1) | instskip(NEXT) | instid1(VALU_DEP_2)
	v_add_co_u32 v2, vcc_lo, v8, 15
	v_add_co_ci_u32_e32 v65, vcc_lo, 0, v9, vcc_lo
	s_delay_alu instid0(VALU_DEP_2)
	v_and_b32_e32 v64, -16, v2
.LBB6_57:                               ;   in Loop: Header=BB6_51 Depth=1
	s_or_b32 exec_lo, exec_lo, s2
	s_delay_alu instid0(VALU_DEP_2) | instskip(NEXT) | instid1(VALU_DEP_2)
	v_mul_lo_u32 v2, v65, s26
	v_mul_lo_u32 v8, v64, s27
	v_mad_u64_u32 v[14:15], null, v64, s26, 0
	s_mov_b32 s16, 0
	v_mov_b32_e32 v23, 0
	s_delay_alu instid0(VALU_DEP_2) | instskip(NEXT) | instid1(VALU_DEP_3)
	v_add3_u32 v15, v15, v8, v2
	v_sub_co_u32 v8, vcc_lo, v66, v14
	s_delay_alu instid0(VALU_DEP_2) | instskip(NEXT) | instid1(VALU_DEP_1)
	v_sub_co_ci_u32_e32 v9, vcc_lo, v67, v15, vcc_lo
	v_cmp_lt_i64_e32 vcc_lo, v[64:65], v[8:9]
	v_cndmask_b32_e32 v8, v8, v64, vcc_lo
	v_add_co_u32 v164, vcc_lo, v19, v24
	v_add_co_ci_u32_e32 v167, vcc_lo, v20, v25, vcc_lo
	s_delay_alu instid0(VALU_DEP_3) | instskip(NEXT) | instid1(VALU_DEP_1)
	v_max_i32_e32 v22, 0, v8
	v_add_nc_u32_e32 v2, 31, v22
	s_delay_alu instid0(VALU_DEP_1) | instskip(NEXT) | instid1(VALU_DEP_1)
	v_lshrrev_b32_e32 v2, 1, v2
	v_and_b32_e32 v9, 0x3ffffff0, v2
	v_cmp_lt_i32_e32 vcc_lo, 0, v8
	v_mov_b32_e32 v2, 0
	s_delay_alu instid0(VALU_DEP_3) | instskip(SKIP_1) | instid1(SALU_CYCLE_1)
	v_max_i32_e32 v12, s28, v9
	s_and_b32 s2, s38, vcc_lo
	s_and_saveexec_b32 s15, s2
                                        ; implicit-def: $vgpr190 : SGPR spill to VGPR lane
	s_cbranch_execnz .LBB6_58
; %bb.18525:                            ;   in Loop: Header=BB6_51 Depth=1
	s_getpc_b64 s[48:49]
.Lpost_getpc289:
	s_add_u32 s48, s48, (.LBB6_3090-.Lpost_getpc289)&4294967295
	s_addc_u32 s49, s49, (.LBB6_3090-.Lpost_getpc289)>>32
	s_setpc_b64 s[48:49]
.LBB6_58:                               ;   in Loop: Header=BB6_51 Depth=1
	v_mov_b32_e32 v23, 0
	s_mov_b32 s5, 1
	s_mov_b32 s17, -1
.LBB6_59:                               ;   Parent Loop BB6_51 Depth=1
                                        ; =>  This Loop Header: Depth=2
                                        ;       Child Loop BB6_68 Depth 3
                                        ;       Child Loop BB6_95 Depth 3
                                        ;       Child Loop BB6_118 Depth 3
                                        ;       Child Loop BB6_144 Depth 3
                                        ;       Child Loop BB6_2207 Depth 3
                                        ;       Child Loop BB6_2479 Depth 3
                                        ;       Child Loop BB6_3007 Depth 3
                                        ;       Child Loop BB6_3045 Depth 3
                                        ;       Child Loop BB6_3071 Depth 3
	s_and_saveexec_b32 s2, s0
	s_cbranch_execz .LBB6_62
; %bb.60:                               ;   in Loop: Header=BB6_59 Depth=2
	s_cbranch_execz .LBB6_61
; %bb.18527:
	s_getpc_b64 s[48:49]
.Lpost_getpc290:
	s_add_u32 s48, s48, (.LBB6_17984-.Lpost_getpc290)&4294967295
	s_addc_u32 s49, s49, (.LBB6_17984-.Lpost_getpc290)>>32
	s_setpc_b64 s[48:49]
.LBB6_61:                               ;   in Loop: Header=BB6_59 Depth=2
	ds_load_b64 v[8:9], v0
	s_waitcnt vmcnt(1) lgkmcnt(0)
	v_add_co_u32 v2, vcc_lo, v8, v164
	s_waitcnt vmcnt(0)
	v_add_co_ci_u32_e32 v8, vcc_lo, v9, v167, vcc_lo
	v_ashrrev_i32_e32 v9, 31, v23
	s_delay_alu instid0(VALU_DEP_3) | instskip(NEXT) | instid1(VALU_DEP_3)
	v_add_co_u32 v2, vcc_lo, v2, v14
	v_add_co_ci_u32_e32 v10, vcc_lo, v8, v15, vcc_lo
	s_delay_alu instid0(VALU_DEP_2) | instskip(NEXT) | instid1(VALU_DEP_2)
	v_add_co_u32 v8, vcc_lo, v2, v23
	v_add_co_ci_u32_e32 v9, vcc_lo, v10, v9, vcc_lo
	v_mov_b32_e32 v2, v3
	ds_store_b64 v0, v[8:9]
	ds_store_b64 v0, v[2:3]
.LBB6_62:                               ;   in Loop: Header=BB6_59 Depth=2
	s_or_b32 exec_lo, exec_lo, s2
	v_and_b32_e32 v2, 8, v30
	s_mov_b32 s6, -1
	s_mov_b32 s2, exec_lo
	s_delay_alu instid0(VALU_DEP_1)
	v_cmpx_ne_u32_e32 0, v2
	s_cbranch_execz .LBB6_76
; %bb.63:                               ;   in Loop: Header=BB6_59 Depth=2
	s_waitcnt vmcnt(23)
	v_add_co_u32 v10, vcc_lo, v118, 8
	v_add_co_ci_u32_e32 v11, vcc_lo, 0, v119, vcc_lo
	v_add_co_u32 v8, vcc_lo, v34, 2
	v_add_co_ci_u32_e32 v9, vcc_lo, 0, v35, vcc_lo
	v_mov_b32_e32 v2, 1
	s_mov_b32 s6, exec_lo
	s_delay_alu instid0(VALU_DEP_2)
	v_cmpx_lt_u64_e64 v[10:11], v[8:9]
	s_cbranch_execz .LBB6_75
; %bb.64:                               ;   in Loop: Header=BB6_59 Depth=2
	v_mov_b32_e32 v2, 0
	s_mov_b32 s13, 0
                                        ; implicit-def: $sgpr29
	s_branch .LBB6_68
.LBB6_65:                               ;   in Loop: Header=BB6_68 Depth=3
	s_or_b32 exec_lo, exec_lo, s43
	v_mov_b32_e32 v10, 0
	s_or_not1_b32 s42, s42, exec_lo
.LBB6_66:                               ;   in Loop: Header=BB6_68 Depth=3
	s_or_b32 exec_lo, exec_lo, s41
	s_delay_alu instid0(VALU_DEP_1) | instskip(SKIP_2) | instid1(SALU_CYCLE_1)
	v_mov_b32_e32 v2, v10
	s_and_not1_b32 s29, s29, exec_lo
	s_and_b32 vcc_lo, s42, exec_lo
	s_or_b32 s29, s29, vcc_lo
.LBB6_67:                               ;   in Loop: Header=BB6_68 Depth=3
	s_or_b32 exec_lo, exec_lo, s40
	s_waitcnt vmcnt(0) lgkmcnt(0)
	v_add_co_u32 v10, vcc_lo, v118, 8
	v_add_co_ci_u32_e32 v11, vcc_lo, 0, v119, vcc_lo
	s_xor_b32 s40, s29, -1
	s_delay_alu instid0(VALU_DEP_1) | instskip(SKIP_1) | instid1(SALU_CYCLE_1)
	v_cmp_ge_u64_e32 vcc_lo, v[10:11], v[8:9]
	s_or_b32 vcc_lo, s40, vcc_lo
	s_and_b32 vcc_lo, exec_lo, vcc_lo
	s_delay_alu instid0(SALU_CYCLE_1) | instskip(NEXT) | instid1(SALU_CYCLE_1)
	s_or_b32 s13, vcc_lo, s13
	s_and_not1_b32 exec_lo, exec_lo, s13
	s_cbranch_execz .LBB6_74
.LBB6_68:                               ;   Parent Loop BB6_51 Depth=1
                                        ;     Parent Loop BB6_59 Depth=2
                                        ; =>    This Inner Loop Header: Depth=3
	s_sleep 1
	flat_load_b64 v[118:119], v[32:33] glc
	v_and_b32_e32 v10, 64, v30
	s_and_not1_b32 s29, s29, exec_lo
	s_mov_b32 s40, exec_lo
	s_delay_alu instid0(VALU_DEP_1)
	v_cmpx_eq_u32_e32 0, v10
	s_cbranch_execz .LBB6_67
; %bb.69:                               ;   in Loop: Header=BB6_68 Depth=3
	v_add_nc_u32_e32 v10, 1, v2
	s_mov_b32 s42, -1
	s_mov_b32 s41, exec_lo
	v_cmpx_lt_i32_e32 0x270e, v2
	s_cbranch_execz .LBB6_66
; %bb.70:                               ;   in Loop: Header=BB6_68 Depth=3
	s_cbranch_execz .LBB6_71
; %bb.18529:
	s_getpc_b64 s[48:49]
.Lpost_getpc291:
	s_add_u32 s48, s48, (.LBB6_18006-.Lpost_getpc291)&4294967295
	s_addc_u32 s49, s49, (.LBB6_18006-.Lpost_getpc291)>>32
	s_setpc_b64 s[48:49]
.LBB6_71:                               ;   in Loop: Header=BB6_68 Depth=3
	ds_load_b64 v[10:11], v0
	s_mov_b32 s43, exec_lo
	s_waitcnt vmcnt(0) lgkmcnt(0)
	s_waitcnt_vscnt null, 0x0
	flat_load_b32 v2, v[10:11] glc
	s_waitcnt vmcnt(0) lgkmcnt(0)
	buffer_gl1_inv
	buffer_gl0_inv
	v_cmpx_ne_u32_e32 0, v2
	s_cbranch_execz .LBB6_65
; %bb.72:                               ;   in Loop: Header=BB6_68 Depth=3
	ds_store_b32 v0, v2
	s_cbranch_execz .LBB6_73
; %bb.18531:
	s_getpc_b64 s[48:49]
.Lpost_getpc292:
	s_add_u32 s48, s48, (.LBB6_18025-.Lpost_getpc292)&4294967295
	s_addc_u32 s49, s49, (.LBB6_18025-.Lpost_getpc292)>>32
	s_setpc_b64 s[48:49]
.LBB6_73:                               ;   in Loop: Header=BB6_68 Depth=3
	v_or_b32_e32 v30, 64, v30
	s_xor_b32 s42, exec_lo, -1
	s_branch .LBB6_65
.LBB6_74:                               ;   in Loop: Header=BB6_59 Depth=2
	s_or_b32 exec_lo, exec_lo, s13
	v_and_b32_e32 v2, 8, v30
.LBB6_75:                               ;   in Loop: Header=BB6_59 Depth=2
	s_or_b32 exec_lo, exec_lo, s6
	s_delay_alu instid0(VALU_DEP_1)
	v_cmp_eq_u32_e32 vcc_lo, 0, v2
	;;#ASMSTART
	s_wakeup
	;;#ASMEND
	s_or_not1_b32 s6, vcc_lo, exec_lo
.LBB6_76:                               ;   in Loop: Header=BB6_59 Depth=2
	s_or_b32 exec_lo, exec_lo, s2
	v_sub_nc_u32_e32 v2, v22, v23
	s_xor_b32 s6, s6, -1
	s_delay_alu instid0(VALU_DEP_1)
	v_min_i32_e32 v12, v12, v2
	s_and_saveexec_b32 s2, s6
	s_cbranch_execz .LBB6_86
; %bb.77:                               ;   in Loop: Header=BB6_59 Depth=2
	v_and_b32_e32 v2, 0x100, v30
	s_mov_b32 s13, -1
                                        ; implicit-def: $vgpr8_vgpr9
	s_delay_alu instid0(VALU_DEP_1)
	v_cmp_ne_u32_e32 vcc_lo, 0, v2
	v_and_b32_e32 v2, 7, v34
	s_and_saveexec_b32 s6, vcc_lo
	s_cbranch_execz .LBB6_81
; %bb.78:                               ;   in Loop: Header=BB6_59 Depth=2
	s_delay_alu instid0(VALU_DEP_1)
	v_mad_u64_u32 v[10:11], null, v2, 24, v[6:7]
	v_ashrrev_i32_e32 v13, 31, v12
	flat_load_b32 v8, v[10:11]
	flat_store_b64 v[10:11], v[12:13] offset:8
	s_waitcnt vmcnt(0) lgkmcnt(1)
	v_cmp_ne_u32_e32 vcc_lo, 1, v8
	v_cmp_eq_u32_e64 s13, 1, v8
                                        ; implicit-def: $vgpr8_vgpr9
	s_delay_alu instid0(VALU_DEP_1)
	s_and_saveexec_b32 s29, s13
	s_cbranch_execz .LBB6_80
; %bb.79:                               ;   in Loop: Header=BB6_59 Depth=2
	flat_load_b32 v8, v[10:11] offset:4 glc
	s_waitcnt vmcnt(0) lgkmcnt(0)
	v_ashrrev_i32_e32 v9, 31, v8
.LBB6_80:                               ;   in Loop: Header=BB6_59 Depth=2
	s_or_b32 exec_lo, exec_lo, s29
	s_delay_alu instid0(SALU_CYCLE_1)
	s_or_not1_b32 s13, vcc_lo, exec_lo
.LBB6_81:                               ;   in Loop: Header=BB6_59 Depth=2
	s_or_b32 exec_lo, exec_lo, s6
	s_and_saveexec_b32 s6, s13
	s_cbranch_execz .LBB6_83
; %bb.82:                               ;   in Loop: Header=BB6_59 Depth=2
	s_waitcnt vmcnt(28)
	v_mad_i64_i32 v[8:9], null, v2, v139, 0
.LBB6_83:                               ;   in Loop: Header=BB6_59 Depth=2
	s_or_b32 exec_lo, exec_lo, s6
	s_waitcnt vmcnt(26)
	s_delay_alu instid0(VALU_DEP_1) | instskip(SKIP_1) | instid1(VALU_DEP_3)
	v_add_co_u32 v8, vcc_lo, v141, v8
	v_and_b32_e32 v2, 0x2000, v30
	v_add_co_ci_u32_e32 v9, vcc_lo, v142, v9, vcc_lo
	s_mov_b32 s6, exec_lo
	ds_store_b64 v0, v[8:9] offset:784
	v_cmpx_ne_u32_e32 0, v2
	s_cbranch_execz .LBB6_85
; %bb.84:                               ;   in Loop: Header=BB6_59 Depth=2
	ds_load_b64 v[8:9], v0 offset:584
	s_waitcnt lgkmcnt(0)
	v_add_co_u32 v8, vcc_lo, v8, 1
	v_add_co_ci_u32_e32 v9, vcc_lo, 0, v9, vcc_lo
	ds_store_b64 v0, v[8:9] offset:584
.LBB6_85:                               ;   in Loop: Header=BB6_59 Depth=2
	s_or_b32 exec_lo, exec_lo, s6
	v_add_co_u32 v34, vcc_lo, v34, 2
	v_add_co_ci_u32_e32 v35, vcc_lo, 0, v35, vcc_lo
.LBB6_86:                               ;   in Loop: Header=BB6_59 Depth=2
	s_or_b32 exec_lo, exec_lo, s2
	s_and_saveexec_b32 s2, s3
	s_cbranch_execz .LBB6_108
; %bb.87:                               ;   in Loop: Header=BB6_59 Depth=2
	s_and_saveexec_b32 s6, s4
	s_delay_alu instid0(SALU_CYCLE_1)
	s_xor_b32 s6, exec_lo, s6
	s_cbranch_execz .LBB6_105
; %bb.88:                               ;   in Loop: Header=BB6_59 Depth=2
	s_and_saveexec_b32 s13, s1
	s_cbranch_execz .LBB6_104
; %bb.89:                               ;   in Loop: Header=BB6_59 Depth=2
	s_mov_b32 s40, exec_lo
	s_mov_b32 s29, exec_lo
	v_mbcnt_lo_u32_b32 v2, s40, 0
	s_waitcnt vmcnt(0) lgkmcnt(0)
	s_waitcnt_vscnt null, 0x0
	buffer_gl1_inv
	buffer_gl0_inv
	v_cmpx_eq_u32_e32 0, v2
	s_cbranch_execz .LBB6_91
; %bb.90:                               ;   in Loop: Header=BB6_59 Depth=2
	s_bcnt1_i32_b32 vcc_lo, s40
	s_delay_alu instid0(SALU_CYCLE_1)
	v_mov_b32_e32 v2, vcc_lo
	ds_add_u64 v0, v[2:3]
	s_cbranch_execz .LBB6_91
; %bb.18533:
	s_getpc_b64 s[48:49]
.Lpost_getpc293:
	s_add_u32 s48, s48, (.LBB6_18051-.Lpost_getpc293)&4294967295
	s_addc_u32 s49, s49, (.LBB6_18051-.Lpost_getpc293)>>32
	s_setpc_b64 s[48:49]
.LBB6_91:                               ;   in Loop: Header=BB6_59 Depth=2
	s_or_b32 exec_lo, exec_lo, s29
	v_mov_b32_e32 v16, 1
	s_cbranch_execz .LBB6_92
; %bb.18535:
	s_getpc_b64 s[48:49]
.Lpost_getpc294:
	s_add_u32 s48, s48, (.LBB6_18031-.Lpost_getpc294)&4294967295
	s_addc_u32 s49, s49, (.LBB6_18031-.Lpost_getpc294)>>32
	s_setpc_b64 s[48:49]
.LBB6_92:                               ;   in Loop: Header=BB6_59 Depth=2
	ds_load_b64 v[8:9], v0
	v_add_co_u32 v154, vcc_lo, v154, v114
	v_add_co_ci_u32_e32 v155, vcc_lo, 0, v155, vcc_lo
	v_mov_b32_e32 v13, v114
	s_delay_alu instid0(VALU_DEP_3) | instskip(SKIP_1) | instid1(VALU_DEP_3)
	v_mov_b32_e32 v10, v154
	s_mov_b32 s29, exec_lo
	v_mov_b32_e32 v11, v155
	s_waitcnt lgkmcnt(0)
	v_cmpx_lt_u64_e64 v[8:9], v[154:155]
	s_cbranch_execz .LBB6_103
; %bb.93:                               ;   in Loop: Header=BB6_59 Depth=2
	s_mov_b32 s40, 0
	s_mov_b32 s43, 0
                                        ; implicit-def: $sgpr41
                                        ; implicit-def: $sgpr42
	s_branch .LBB6_95
.LBB6_94:                               ;   in Loop: Header=BB6_95 Depth=3
	s_or_b32 exec_lo, exec_lo, s45
	s_delay_alu instid0(SALU_CYCLE_1) | instskip(NEXT) | instid1(SALU_CYCLE_1)
	s_and_b32 vcc_lo, exec_lo, vcc_lo
	s_or_b32 s40, vcc_lo, s40
	s_and_not1_b32 vcc_lo, s41, exec_lo
	s_and_b32 s41, s42, exec_lo
	s_delay_alu instid0(SALU_CYCLE_1)
	s_or_b32 s41, vcc_lo, s41
	s_and_not1_b32 exec_lo, exec_lo, s40
	s_cbranch_execz .LBB6_101
.LBB6_95:                               ;   Parent Loop BB6_51 Depth=1
                                        ;     Parent Loop BB6_59 Depth=2
                                        ; =>    This Inner Loop Header: Depth=3
	s_add_i32 s43, s43, 1
                                        ; implicit-def: $sgpr45
	s_delay_alu instid0(SALU_CYCLE_1) | instskip(SKIP_1) | instid1(SALU_CYCLE_1)
	s_cmpk_lg_i32 s43, 0x2710
	s_cselect_b32 s44, -1, 0
	s_and_b32 vcc_lo, exec_lo, s44
	s_cbranch_vccz .LBB6_99
.LBB6_96:                               ;   in Loop: Header=BB6_95 Depth=3
	s_and_not1_b32 s42, s42, exec_lo
	s_and_b32 s45, s45, exec_lo
	s_mov_b32 vcc_lo, -1
	s_or_b32 s42, s42, s45
	s_and_saveexec_b32 s45, s44
	s_cbranch_execz .LBB6_94
; %bb.97:                               ;   in Loop: Header=BB6_95 Depth=3
	s_sleep 1
	s_cbranch_execz .LBB6_98
; %bb.18537:
	s_getpc_b64 s[48:49]
.Lpost_getpc295:
	s_add_u32 s48, s48, (.LBB6_18079-.Lpost_getpc295)&4294967295
	s_addc_u32 s49, s49, (.LBB6_18079-.Lpost_getpc295)>>32
	s_setpc_b64 s[48:49]
.LBB6_98:                               ;   in Loop: Header=BB6_95 Depth=3
	ds_load_b64 v[8:9], v0
	s_and_not1_b32 s42, s42, exec_lo
	s_waitcnt lgkmcnt(0)
	v_cmp_ge_u64_e32 vcc_lo, v[8:9], v[10:11]
	s_or_not1_b32 vcc_lo, vcc_lo, exec_lo
	s_branch .LBB6_94
.LBB6_99:                               ;   in Loop: Header=BB6_95 Depth=3
	s_cbranch_execz .LBB6_100
; %bb.18539:
	s_getpc_b64 s[48:49]
.Lpost_getpc296:
	s_add_u32 s48, s48, (.LBB6_18087-.Lpost_getpc296)&4294967295
	s_addc_u32 s49, s49, (.LBB6_18087-.Lpost_getpc296)>>32
	s_setpc_b64 s[48:49]
.LBB6_100:                              ;   in Loop: Header=BB6_95 Depth=3
	ds_load_b64 v[8:9], v0
	s_and_not1_b32 s44, s44, exec_lo
	s_mov_b32 s43, 0
	s_mov_b32 s45, -1
	s_waitcnt lgkmcnt(0)
	flat_load_b32 v2, v[8:9] glc
	s_waitcnt vmcnt(0) lgkmcnt(0)
	buffer_gl1_inv
	buffer_gl0_inv
	v_cmp_eq_u32_e32 vcc_lo, 0, v2
	s_and_b32 vcc_lo, vcc_lo, exec_lo
	s_delay_alu instid0(SALU_CYCLE_1)
	s_or_b32 s44, s44, vcc_lo
	s_branch .LBB6_96
.LBB6_101:                              ;   in Loop: Header=BB6_59 Depth=2
	s_or_b32 exec_lo, exec_lo, s40
	s_and_saveexec_b32 vcc_lo, s41
	s_delay_alu instid0(SALU_CYCLE_1)
	s_xor_b32 vcc_lo, exec_lo, vcc_lo
	s_cbranch_execz .LBB6_103
; %bb.102:                              ;   in Loop: Header=BB6_59 Depth=2
	ds_store_b32 v0, v16
	s_cbranch_execz .LBB6_103
; %bb.18541:
	s_getpc_b64 s[48:49]
.Lpost_getpc297:
	s_add_u32 s48, s48, (.LBB6_18307-.Lpost_getpc297)&4294967295
	s_addc_u32 s49, s49, (.LBB6_18307-.Lpost_getpc297)>>32
	s_setpc_b64 s[48:49]
.LBB6_103:                              ;   in Loop: Header=BB6_59 Depth=2
	s_or_b32 exec_lo, exec_lo, s29
	v_dual_mov_b32 v155, v11 :: v_dual_mov_b32 v154, v10
	v_dual_mov_b32 v114, v13 :: v_dual_mov_b32 v21, 1
	;;#ASMSTART
	s_wakeup
	;;#ASMEND
.LBB6_104:                              ;   in Loop: Header=BB6_59 Depth=2
	s_or_b32 exec_lo, exec_lo, s13
.LBB6_105:                              ;   in Loop: Header=BB6_59 Depth=2
	s_and_not1_saveexec_b32 s6, s6
	s_cbranch_execz .LBB6_107
; %bb.106:                              ;   in Loop: Header=BB6_59 Depth=2
	s_waitcnt vmcnt(0) lgkmcnt(0)
	s_waitcnt_vscnt null, 0x0
	buffer_gl1_inv
	buffer_gl0_inv
	s_barrier
.LBB6_107:                              ;   in Loop: Header=BB6_59 Depth=2
	s_or_b32 exec_lo, exec_lo, s6
.LBB6_108:                              ;   in Loop: Header=BB6_59 Depth=2
	s_delay_alu instid0(SALU_CYCLE_1)
	s_or_b32 exec_lo, exec_lo, s2
	s_cbranch_execz .LBB6_109
; %bb.18543:
	s_getpc_b64 s[48:49]
.Lpost_getpc298:
	s_add_u32 s48, s48, (.LBB6_17982-.Lpost_getpc298)&4294967295
	s_addc_u32 s49, s49, (.LBB6_17982-.Lpost_getpc298)>>32
	s_setpc_b64 s[48:49]
.LBB6_109:                              ;   in Loop: Header=BB6_59 Depth=2
	ds_load_b32 v8, v0
	v_and_b32_e32 v2, 0x4000, v30
	s_xor_b32 s2, s30, -1
	s_delay_alu instid0(VALU_DEP_1) | instskip(SKIP_1) | instid1(SALU_CYCLE_1)
	v_cmp_ne_u32_e32 vcc_lo, 0, v2
	s_and_b32 s6, s2, vcc_lo
	s_and_saveexec_b32 s2, s6
	s_cbranch_execz .LBB6_131
; %bb.110:                              ;   in Loop: Header=BB6_59 Depth=2
	s_and_saveexec_b32 s6, s4
	s_delay_alu instid0(SALU_CYCLE_1)
	s_xor_b32 s6, exec_lo, s6
	s_cbranch_execz .LBB6_128
; %bb.111:                              ;   in Loop: Header=BB6_59 Depth=2
	s_and_saveexec_b32 s13, s1
	s_cbranch_execz .LBB6_127
; %bb.112:                              ;   in Loop: Header=BB6_59 Depth=2
	s_mov_b32 s40, exec_lo
	v_mov_b32_e32 v11, 1
	v_mbcnt_lo_u32_b32 v2, s40, 0
	s_mov_b32 s29, exec_lo
	s_waitcnt vmcnt(0) lgkmcnt(0)
	s_waitcnt_vscnt null, 0x0
	buffer_gl1_inv
	buffer_gl0_inv
	v_cmpx_eq_u32_e32 0, v2
	s_cbranch_execz .LBB6_114
; %bb.113:                              ;   in Loop: Header=BB6_59 Depth=2
	s_bcnt1_i32_b32 vcc_lo, s40
	s_delay_alu instid0(SALU_CYCLE_1)
	v_mov_b32_e32 v2, vcc_lo
	ds_add_u64 v0, v[2:3]
	s_cbranch_execz .LBB6_114
; %bb.18545:
	s_getpc_b64 s[48:49]
.Lpost_getpc299:
	s_add_u32 s48, s48, (.LBB6_18077-.Lpost_getpc299)&4294967295
	s_addc_u32 s49, s49, (.LBB6_18077-.Lpost_getpc299)>>32
	s_setpc_b64 s[48:49]
.LBB6_114:                              ;   in Loop: Header=BB6_59 Depth=2
	s_or_b32 exec_lo, exec_lo, s29
	s_cbranch_execz .LBB6_115
; %bb.18547:
	s_getpc_b64 s[48:49]
.Lpost_getpc300:
	s_add_u32 s48, s48, (.LBB6_18065-.Lpost_getpc300)&4294967295
	s_addc_u32 s49, s49, (.LBB6_18065-.Lpost_getpc300)>>32
	s_setpc_b64 s[48:49]
.LBB6_115:                              ;   in Loop: Header=BB6_59 Depth=2
	ds_load_b64 v[9:10], v0
	v_dual_mov_b32 v16, v154 :: v_dual_mov_b32 v17, v155
	s_mov_b32 s29, exec_lo
	s_delay_alu instid0(VALU_DEP_1) | instskip(NEXT) | instid1(VALU_DEP_2)
	v_add_co_u32 v16, vcc_lo, v16, v114
	v_add_co_ci_u32_e32 v17, vcc_lo, 0, v17, vcc_lo
	s_delay_alu instid0(VALU_DEP_1)
	v_dual_mov_b32 v155, v17 :: v_dual_mov_b32 v154, v16
	s_waitcnt lgkmcnt(0)
	v_cmpx_lt_u64_e64 v[9:10], v[16:17]
	s_cbranch_execz .LBB6_126
; %bb.116:                              ;   in Loop: Header=BB6_59 Depth=2
	s_mov_b32 s40, 0
	s_mov_b32 s43, 0
                                        ; implicit-def: $sgpr41
                                        ; implicit-def: $sgpr42
	s_branch .LBB6_118
.LBB6_117:                              ;   in Loop: Header=BB6_118 Depth=3
	s_or_b32 exec_lo, exec_lo, s45
	s_delay_alu instid0(SALU_CYCLE_1) | instskip(NEXT) | instid1(SALU_CYCLE_1)
	s_and_b32 vcc_lo, exec_lo, vcc_lo
	s_or_b32 s40, vcc_lo, s40
	s_and_not1_b32 vcc_lo, s41, exec_lo
	s_and_b32 s41, s42, exec_lo
	s_delay_alu instid0(SALU_CYCLE_1)
	s_or_b32 s41, vcc_lo, s41
	s_and_not1_b32 exec_lo, exec_lo, s40
	s_cbranch_execz .LBB6_124
.LBB6_118:                              ;   Parent Loop BB6_51 Depth=1
                                        ;     Parent Loop BB6_59 Depth=2
                                        ; =>    This Inner Loop Header: Depth=3
	s_add_i32 s43, s43, 1
                                        ; implicit-def: $sgpr45
	s_delay_alu instid0(SALU_CYCLE_1) | instskip(SKIP_1) | instid1(SALU_CYCLE_1)
	s_cmpk_lg_i32 s43, 0x2710
	s_cselect_b32 s44, -1, 0
	s_and_b32 vcc_lo, exec_lo, s44
	s_cbranch_vccz .LBB6_122
.LBB6_119:                              ;   in Loop: Header=BB6_118 Depth=3
	s_and_not1_b32 s42, s42, exec_lo
	s_and_b32 s45, s45, exec_lo
	s_mov_b32 vcc_lo, -1
	s_or_b32 s42, s42, s45
	s_and_saveexec_b32 s45, s44
	s_cbranch_execz .LBB6_117
; %bb.120:                              ;   in Loop: Header=BB6_118 Depth=3
	s_sleep 1
	s_cbranch_execz .LBB6_121
; %bb.18549:
	s_getpc_b64 s[48:49]
.Lpost_getpc301:
	s_add_u32 s48, s48, (.LBB6_18119-.Lpost_getpc301)&4294967295
	s_addc_u32 s49, s49, (.LBB6_18119-.Lpost_getpc301)>>32
	s_setpc_b64 s[48:49]
.LBB6_121:                              ;   in Loop: Header=BB6_118 Depth=3
	ds_load_b64 v[9:10], v0
	s_and_not1_b32 s42, s42, exec_lo
	s_waitcnt lgkmcnt(0)
	v_cmp_ge_u64_e32 vcc_lo, v[9:10], v[154:155]
	s_or_not1_b32 vcc_lo, vcc_lo, exec_lo
	s_branch .LBB6_117
.LBB6_122:                              ;   in Loop: Header=BB6_118 Depth=3
	s_cbranch_execz .LBB6_123
; %bb.18551:
	s_getpc_b64 s[48:49]
.Lpost_getpc302:
	s_add_u32 s48, s48, (.LBB6_18137-.Lpost_getpc302)&4294967295
	s_addc_u32 s49, s49, (.LBB6_18137-.Lpost_getpc302)>>32
	s_setpc_b64 s[48:49]
.LBB6_123:                              ;   in Loop: Header=BB6_118 Depth=3
	ds_load_b64 v[9:10], v0
	s_and_not1_b32 s44, s44, exec_lo
	s_mov_b32 s43, 0
	s_mov_b32 s45, -1
	s_waitcnt lgkmcnt(0)
	flat_load_b32 v2, v[9:10] glc
	s_waitcnt vmcnt(0) lgkmcnt(0)
	buffer_gl1_inv
	buffer_gl0_inv
	v_cmp_eq_u32_e32 vcc_lo, 0, v2
	s_and_b32 vcc_lo, vcc_lo, exec_lo
	s_delay_alu instid0(SALU_CYCLE_1)
	s_or_b32 s44, s44, vcc_lo
	s_branch .LBB6_119
.LBB6_124:                              ;   in Loop: Header=BB6_59 Depth=2
	s_or_b32 exec_lo, exec_lo, s40
	s_and_saveexec_b32 vcc_lo, s41
	s_delay_alu instid0(SALU_CYCLE_1)
	s_xor_b32 vcc_lo, exec_lo, vcc_lo
	s_cbranch_execz .LBB6_126
; %bb.125:                              ;   in Loop: Header=BB6_59 Depth=2
	ds_store_b32 v0, v11
	s_cbranch_execz .LBB6_126
; %bb.18553:
	s_getpc_b64 s[48:49]
.Lpost_getpc303:
	s_add_u32 s48, s48, (.LBB6_18359-.Lpost_getpc303)&4294967295
	s_addc_u32 s49, s49, (.LBB6_18359-.Lpost_getpc303)>>32
	s_setpc_b64 s[48:49]
.LBB6_126:                              ;   in Loop: Header=BB6_59 Depth=2
	s_or_b32 exec_lo, exec_lo, s29
	v_mov_b32_e32 v21, 1
	;;#ASMSTART
	s_wakeup
	;;#ASMEND
.LBB6_127:                              ;   in Loop: Header=BB6_59 Depth=2
	s_or_b32 exec_lo, exec_lo, s13
.LBB6_128:                              ;   in Loop: Header=BB6_59 Depth=2
	s_and_not1_saveexec_b32 s6, s6
	s_cbranch_execz .LBB6_130
; %bb.129:                              ;   in Loop: Header=BB6_59 Depth=2
	s_waitcnt vmcnt(0) lgkmcnt(0)
	s_waitcnt_vscnt null, 0x0
	buffer_gl1_inv
	buffer_gl0_inv
	s_barrier
.LBB6_130:                              ;   in Loop: Header=BB6_59 Depth=2
	s_or_b32 exec_lo, exec_lo, s6
.LBB6_131:                              ;   in Loop: Header=BB6_59 Depth=2
	s_delay_alu instid0(SALU_CYCLE_1)
	s_or_b32 exec_lo, exec_lo, s2
	s_cbranch_execz .LBB6_132
; %bb.18555:
	s_getpc_b64 s[48:49]
.Lpost_getpc304:
	s_add_u32 s48, s48, (.LBB6_18008-.Lpost_getpc304)&4294967295
	s_addc_u32 s49, s49, (.LBB6_18008-.Lpost_getpc304)>>32
	s_setpc_b64 s[48:49]
.LBB6_132:                              ;   in Loop: Header=BB6_59 Depth=2
	ds_load_b64 v[9:10], v0
	s_waitcnt vmcnt(30)
	v_mov_b32_e32 v16, 0
	s_waitcnt lgkmcnt(0)
	v_cmp_eq_u64_e32 vcc_lo, 0, v[9:10]
	s_or_b32 s2, vcc_lo, vcc_lo
	s_delay_alu instid0(SALU_CYCLE_1)
	s_and_b32 vcc_lo, exec_lo, s2
	s_cbranch_vccz .LBB6_133
; %bb.18557:                            ;   in Loop: Header=BB6_59 Depth=2
	s_getpc_b64 s[48:49]
.Lpost_getpc305:
	s_add_u32 s48, s48, (.LBB6_3036-.Lpost_getpc305)&4294967295
	s_addc_u32 s49, s49, (.LBB6_3036-.Lpost_getpc305)>>32
	s_setpc_b64 s[48:49]
.LBB6_133:                              ;   in Loop: Header=BB6_59 Depth=2
	v_writelane_b32 v190, s5, 0
	s_mov_b32 s29, s35
	s_mov_b32 s2, s30
	s_mov_b32 s13, -1
	s_mov_b32 s5, s34
	v_writelane_b32 v190, s39, 1
	s_waitcnt vmcnt(0)
	s_clause 0x1e
	scratch_store_b32 off, v167, s33 offset:640
	scratch_store_b32 off, v164, s33 offset:636
	scratch_store_b32 off, v43, s33 offset:632
	scratch_store_b32 off, v183, s33 offset:628
	scratch_store_b64 off, v[19:20], s33 offset:620
	scratch_store_b32 off, v189, s33 offset:616
	scratch_store_b32 off, v188, s33 offset:612
	;; [unrolled: 1-line block ×14, first 2 shown]
	scratch_store_b64 off, v[168:169], s33 offset:588
	scratch_store_b32 off, v158, s33 offset:500
	scratch_store_b32 off, v157, s33 offset:516
	scratch_store_b32 off, v156, s33 offset:512
	scratch_store_b32 off, v143, s33 offset:584
	scratch_store_b64 off, v[118:119], s33 offset:576
	scratch_store_b64 off, v[154:155], s33 offset:568
	;; [unrolled: 1-line block ×4, first 2 shown]
	scratch_store_b32 off, v140, s33 offset:548
	scratch_store_b32 off, v139, s33 offset:544
	scratch_store_b64 off, v[137:138], s33 offset:536
	v_writelane_b32 v190, s38, 2
	v_writelane_b32 v190, s37, 3
	;; [unrolled: 1-line block ×4, first 2 shown]
	s_and_saveexec_b32 s6, s34
	s_cbranch_execz .LBB6_135
; %bb.134:                              ;   in Loop: Header=BB6_59 Depth=2
	ds_load_b32 v2, v0 offset:720
	s_waitcnt lgkmcnt(0)
	v_and_b32_e32 v2, 15, v2
	s_delay_alu instid0(VALU_DEP_1)
	v_cmp_eq_u32_e32 vcc_lo, 0, v2
	s_or_not1_b32 s13, vcc_lo, exec_lo
.LBB6_135:                              ;   in Loop: Header=BB6_59 Depth=2
	s_or_b32 exec_lo, exec_lo, s6
	s_mov_b32 s6, s31
	s_and_saveexec_b32 s14, s31
	s_cbranch_execz .LBB6_137
; %bb.136:                              ;   in Loop: Header=BB6_59 Depth=2
	ds_load_b32 v2, v0 offset:784
	s_waitcnt lgkmcnt(0)
	v_and_b32_e32 v2, 15, v2
	s_delay_alu instid0(VALU_DEP_1) | instskip(SKIP_3) | instid1(SALU_CYCLE_1)
	v_cmp_eq_u32_e32 vcc_lo, 0, v2
	s_and_b32 vcc_lo, s13, vcc_lo
	s_and_not1_b32 s13, s13, exec_lo
	s_and_b32 vcc_lo, vcc_lo, exec_lo
	s_or_b32 s13, s13, vcc_lo
.LBB6_137:                              ;   in Loop: Header=BB6_59 Depth=2
	s_or_b32 exec_lo, exec_lo, s14
	s_xor_b32 s13, s13, -1
	v_cmp_eq_u32_e32 vcc_lo, 0, v8
	v_cndmask_b32_e64 v2, 0, 1, s13
	;;#ASMSTART
	;;#ASMEND
	scratch_load_b32 v156, off, s33 offset:512 ; 4-byte Folded Reload
	v_mov_b32_e32 v20, v0
	v_cndmask_b32_e32 v16, 0, v12, vcc_lo
	v_cmp_ne_u32_e32 vcc_lo, 0, v2
	v_mov_b32_e32 v18, 0
	s_mov_b32 s13, -1
	s_delay_alu instid0(VALU_DEP_3)
	v_mov_b32_e32 v19, v16
	s_waitcnt vmcnt(0)
	v_mov_b32_e32 v10, v156
	s_cbranch_vccnz .LBB6_2475
; %bb.138:                              ;   in Loop: Header=BB6_59 Depth=2
	v_ashrrev_i32_e32 v2, 31, v16
	s_mov_b32 s14, exec_lo
	s_delay_alu instid0(VALU_DEP_1) | instskip(NEXT) | instid1(VALU_DEP_1)
	v_lshrrev_b32_e32 v2, 20, v2
	v_add_nc_u32_e32 v2, v16, v2
	s_delay_alu instid0(VALU_DEP_1)
	v_ashrrev_i32_e32 v2, 12, v2
	scratch_store_b32 off, v2, s33 offset:648 ; 4-byte Folded Spill
	v_sub_nc_u32_e32 v2, v2, v156
	s_clause 0x1
	scratch_store_b32 off, v16, s33 offset:644
	scratch_store_b32 off, v2, s33 offset:412
	v_cmpx_lt_i32_e32 0, v2
	s_cbranch_execz .LBB6_2200
; %bb.139:                              ;   in Loop: Header=BB6_59 Depth=2
	s_cbranch_execz .LBB6_140
; %bb.18559:
	s_getpc_b64 s[48:49]
.Lpost_getpc306:
	s_add_u32 s48, s48, (.LBB6_18091-.Lpost_getpc306)&4294967295
	s_addc_u32 s49, s49, (.LBB6_18091-.Lpost_getpc306)>>32
	s_setpc_b64 s[48:49]
.LBB6_140:                              ;   in Loop: Header=BB6_59 Depth=2
	ds_load_b64 v[16:17], v0
	s_waitcnt lgkmcnt(0)
	v_readfirstlane_b32 s13, v16
	v_and_b32_e32 v51, 0xff, v16
	v_dual_mov_b32 v19, v17 :: v_dual_mov_b32 v18, v16
	s_delay_alu instid0(VALU_DEP_3) | instskip(NEXT) | instid1(VALU_DEP_2)
	s_and_b32 vcc_lo, s13, 3
	v_mov_b32_e32 v128, v51
	s_clz_i32_u32 s30, vcc_lo
	s_bfe_u32 s34, s13, 0x50002
	s_min_u32 s30, s30, 32
	s_delay_alu instid0(SALU_CYCLE_1) | instskip(SKIP_2) | instid1(SALU_CYCLE_1)
	s_sub_i32 s31, s30, 29
	s_sub_i32 s30, 30, s30
	s_lshl_b32 s31, s13, s31
	s_and_b32 s31, s31, 3
	s_cmp_eq_u32 s34, 0
	s_cselect_b32 s30, s30, s34
	s_cselect_b32 vcc_lo, s31, vcc_lo
	s_lshl_b32 s13, s13, 24
	s_lshl_b32 s30, s30, 23
	s_and_b32 s13, s13, 0x80000000
	s_add_i32 s30, s30, 0x37800000
	s_lshl_b32 vcc_lo, vcc_lo, 21
	s_or_b32 s13, s13, s30
	s_mov_b32 s30, 0
	s_or_b32 s31, s13, vcc_lo
	s_branch .LBB6_144
.LBB6_141:                              ;   in Loop: Header=BB6_144 Depth=3
	s_or_b32 exec_lo, exec_lo, s13
	s_clause 0x2
	scratch_load_b32 v68, off, s33 offset:320
	scratch_load_b32 v40, off, s33 offset:324
	;; [unrolled: 1-line block ×3, first 2 shown]
	v_lshrrev_b32_e32 v27, 21, v37
	v_min_i32_e32 v37, 31, v39
	v_cmp_gt_i32_e32 vcc_lo, 32, v39
	v_lshrrev_b32_e32 v11, 24, v130
	v_mov_b32_e32 v44, v134
	s_delay_alu instid0(VALU_DEP_4) | instskip(SKIP_1) | instid1(VALU_DEP_4)
	v_dual_mov_b32 v56, v13 :: v_dual_lshlrev_b32 v37, 2, v37
	v_cndmask_b32_e32 v27, 3, v27, vcc_lo
	v_dual_mov_b32 v42, v131 :: v_dual_and_b32 v11, 0x80, v11
	s_delay_alu instid0(VALU_DEP_3) | instskip(SKIP_1) | instid1(VALU_DEP_4)
	v_dual_mov_b32 v46, v116 :: v_dual_and_b32 v37, 0xfc, v37
	v_mov_b32_e32 v58, v112
	v_or_b32_e32 v39, v39, v27
	v_and_b32_e32 v27, 3, v27
	v_dual_mov_b32 v43, v100 :: v_dual_mov_b32 v72, v101
	v_dual_mov_b32 v45, v135 :: v_dual_mov_b32 v74, v52
	s_delay_alu instid0(VALU_DEP_3) | instskip(SKIP_3) | instid1(VALU_DEP_4)
	v_or3_b32 v11, v11, v37, v27
	v_cmp_ne_u32_e32 vcc_lo, 0, v39
	v_dual_mov_b32 v47, v117 :: v_dual_mov_b32 v76, v71
	v_dual_mov_b32 v57, v113 :: v_dual_mov_b32 v88, v83
	v_dual_mov_b32 v60, v146 :: v_dual_lshlrev_b32 v11, 8, v11
	v_dual_mov_b32 v59, v145 :: v_dual_mov_b32 v90, v84
	v_dual_mov_b32 v61, v102 :: v_dual_mov_b32 v78, v81
	s_delay_alu instid0(VALU_DEP_3)
	v_dual_cndmask_b32 v11, 0, v11 :: v_dual_mov_b32 v62, v118
	v_dual_mov_b32 v63, v98 :: v_dual_mov_b32 v92, v149
	v_dual_mov_b32 v53, v73 :: v_dual_mov_b32 v94, v150
	;; [unrolled: 1-line block ×17, first 2 shown]
	v_mov_b32_e32 v153, v182
	v_mov_b32_e32 v155, v183
	;; [unrolled: 1-line block ×14, first 2 shown]
.LBB6_142:                              ;   in Loop: Header=BB6_144 Depth=3
	s_or_b32 exec_lo, exec_lo, s35
.LBB6_143:                              ;   in Loop: Header=BB6_144 Depth=3
	s_delay_alu instid0(SALU_CYCLE_1)
	s_or_b32 exec_lo, exec_lo, s34
	s_clause 0x1
	scratch_load_b32 v13, off, s33 offset:348
	scratch_load_b32 v26, off, s33 offset:424
	v_lshlrev_b32_e32 v8, 24, v8
	v_or_b32_e32 v9, v9, v115
	v_or_b32_e32 v11, v11, v55
	v_lshlrev_b32_e32 v10, 24, v10
	s_clause 0x1
	scratch_load_b32 v38, off, s33 offset:416
	scratch_load_b32 v36, off, s33 offset:332
	v_lshlrev_b32_e32 v9, 16, v9
	v_lshlrev_b32_e32 v11, 16, v11
	s_delay_alu instid0(VALU_DEP_2) | instskip(NEXT) | instid1(VALU_DEP_2)
	v_or3_b32 v9, v132, v129, v9
	v_or3_b32 v11, v54, v2, v11
	v_lshrrev_b32_e32 v2, 5, v1
	s_waitcnt vmcnt(2)
	v_or_b32_e32 v13, v26, v13
	scratch_load_b32 v26, off, s33 offset:336 ; 4-byte Folded Reload
	v_lshlrev_b32_e32 v13, 16, v13
	s_waitcnt vmcnt(2)
	v_lshlrev_b32_e32 v38, 24, v38
	s_waitcnt vmcnt(0)
	v_lshlrev_b32_e32 v26, 8, v26
	s_delay_alu instid0(VALU_DEP_1)
	v_perm_b32 v26, v26, v36, 0xc0c0500
	s_clause 0x2
	scratch_load_b32 v36, off, s33 offset:340
	scratch_load_b32 v48, off, s33 offset:344
	;; [unrolled: 1-line block ×3, first 2 shown]
	s_waitcnt vmcnt(2)
	v_and_b32_e32 v36, 0xff, v36
	s_waitcnt vmcnt(0)
	v_or3_b32 v81, v50, v48, v13
	scratch_load_b32 v13, off, s33 offset:428 ; 4-byte Folded Reload
	v_lshlrev_b32_e32 v36, 16, v36
	s_delay_alu instid0(VALU_DEP_1)
	v_or3_b32 v80, v38, v36, v26
	s_clause 0x1
	scratch_load_b32 v26, off, s33 offset:352
	scratch_load_b32 v36, off, s33 offset:432
	s_waitcnt vmcnt(2)
	v_lshlrev_b32_e32 v13, 8, v13
	s_waitcnt vmcnt(1)
	s_delay_alu instid0(VALU_DEP_1)
	v_perm_b32 v13, v13, v26, 0xc0c0500
	scratch_load_b32 v26, off, s33 offset:356 ; 4-byte Folded Reload
	s_waitcnt vmcnt(1)
	v_lshlrev_b32_e32 v36, 24, v36
	s_waitcnt vmcnt(0)
	v_and_b32_e32 v26, 0xff, v26
	s_delay_alu instid0(VALU_DEP_1) | instskip(NEXT) | instid1(VALU_DEP_1)
	v_lshlrev_b32_e32 v26, 16, v26
	v_or3_b32 v82, v36, v26, v13
	s_clause 0x1
	scratch_load_b32 v13, off, s33 offset:440
	scratch_load_b32 v26, off, s33 offset:444
	s_waitcnt vmcnt(0)
	v_or_b32_e32 v13, v26, v13
	s_clause 0x1
	scratch_load_b32 v26, off, s33 offset:360
	scratch_load_b32 v36, off, s33 offset:436
	v_lshlrev_b32_e32 v13, 16, v13
	s_waitcnt vmcnt(0)
	s_delay_alu instid0(VALU_DEP_1)
	v_or3_b32 v83, v36, v26, v13
	scratch_load_b32 v13, off, s33 offset:312 ; 4-byte Folded Reload
	s_waitcnt vmcnt(0)
	v_add_co_u32 v70, vcc_lo, v13, v16
	scratch_load_b32 v13, off, s33 offset:316 ; 4-byte Folded Reload
	s_waitcnt vmcnt(0)
	v_add_co_ci_u32_e32 v71, vcc_lo, v13, v17, vcc_lo
	global_store_b128 v[70:71], v[80:83], off glc slc dlc
	s_clause 0x3
	scratch_load_b32 v13, off, s33 offset:376
	scratch_load_b32 v26, off, s33 offset:460
	;; [unrolled: 1-line block ×4, first 2 shown]
	s_waitcnt vmcnt(2)
	v_or_b32_e32 v13, v26, v13
	scratch_load_b32 v26, off, s33 offset:448 ; 4-byte Folded Reload
	s_waitcnt vmcnt(1)
	v_lshlrev_b32_e32 v38, 24, v38
	v_lshlrev_b32_e32 v13, 16, v13
	s_waitcnt vmcnt(0)
	v_lshlrev_b32_e32 v26, 8, v26
	s_delay_alu instid0(VALU_DEP_1)
	v_perm_b32 v26, v26, v36, 0xc0c0500
	s_clause 0x2
	scratch_load_b32 v36, off, s33 offset:368
	scratch_load_b32 v48, off, s33 offset:372
	;; [unrolled: 1-line block ×3, first 2 shown]
	s_waitcnt vmcnt(2)
	v_and_b32_e32 v36, 0xff, v36
	s_waitcnt vmcnt(0)
	v_or3_b32 v81, v50, v48, v13
	scratch_load_b32 v13, off, s33 offset:464 ; 4-byte Folded Reload
	v_lshlrev_b32_e32 v36, 16, v36
	s_delay_alu instid0(VALU_DEP_1)
	v_or3_b32 v80, v38, v36, v26
	scratch_load_b32 v26, off, s33 offset:380 ; 4-byte Folded Reload
	v_lshlrev_b32_e32 v38, 24, v45
	scratch_load_b32 v36, off, s33 offset:468 ; 4-byte Folded Reload
	s_waitcnt vmcnt(2)
	v_lshlrev_b32_e32 v13, 8, v13
	s_waitcnt vmcnt(1)
	s_delay_alu instid0(VALU_DEP_1)
	v_perm_b32 v13, v13, v26, 0xc0c0500
	scratch_load_b32 v26, off, s33 offset:384 ; 4-byte Folded Reload
	s_waitcnt vmcnt(1)
	v_lshlrev_b32_e32 v36, 24, v36
	s_waitcnt vmcnt(0)
	v_and_b32_e32 v26, 0xff, v26
	s_delay_alu instid0(VALU_DEP_1) | instskip(NEXT) | instid1(VALU_DEP_1)
	v_lshlrev_b32_e32 v26, 16, v26
	v_or3_b32 v82, v36, v26, v13
	scratch_load_b32 v26, off, s33 offset:388 ; 4-byte Folded Reload
	v_or_b32_e32 v13, v41, v40
	v_and_b32_e32 v36, 0xff, v44
	s_delay_alu instid0(VALU_DEP_2) | instskip(NEXT) | instid1(VALU_DEP_2)
	v_lshlrev_b32_e32 v13, 16, v13
	v_lshlrev_b32_e32 v36, 16, v36
	s_waitcnt vmcnt(0)
	s_delay_alu instid0(VALU_DEP_2)
	v_or3_b32 v83, v68, v26, v13
	v_or_b32_e32 v13, v57, v56
	v_lshlrev_b32_e32 v26, 8, v43
	global_store_b128 v[70:71], v[80:83], off offset:512 glc slc dlc
	v_lshlrev_b32_e32 v13, 16, v13
	v_perm_b32 v26, v26, v42, 0xc0c0500
	s_delay_alu instid0(VALU_DEP_2) | instskip(NEXT) | instid1(VALU_DEP_2)
	v_or3_b32 v81, v47, v46, v13
	v_or3_b32 v80, v38, v36, v26
	v_lshlrev_b32_e32 v13, 8, v59
	v_and_b32_e32 v26, 0xff, v60
	v_lshlrev_b32_e32 v36, 24, v61
	v_lshlrev_b32_e32 v38, 24, v77
	s_delay_alu instid0(VALU_DEP_4) | instskip(NEXT) | instid1(VALU_DEP_4)
	v_perm_b32 v13, v13, v58, 0xc0c0500
	v_lshlrev_b32_e32 v26, 16, v26
	s_delay_alu instid0(VALU_DEP_1) | instskip(SKIP_3) | instid1(VALU_DEP_3)
	v_or3_b32 v82, v36, v26, v13
	v_or_b32_e32 v13, v53, v72
	v_lshlrev_b32_e32 v26, 8, v75
	v_and_b32_e32 v36, 0xff, v76
	v_lshlrev_b32_e32 v13, 16, v13
	s_delay_alu instid0(VALU_DEP_3) | instskip(NEXT) | instid1(VALU_DEP_3)
	v_perm_b32 v26, v26, v74, 0xc0c0500
	v_lshlrev_b32_e32 v36, 16, v36
	s_delay_alu instid0(VALU_DEP_3)
	v_or3_b32 v83, v63, v62, v13
	v_or_b32_e32 v13, v89, v88
	global_store_b128 v[70:71], v[80:83], off offset:1024 glc slc dlc
	v_lshlrev_b32_e32 v13, 16, v13
	v_or3_b32 v80, v38, v36, v26
	v_and_b32_e32 v26, 0xff, v92
	v_lshlrev_b32_e32 v36, 24, v93
	v_lshlrev_b32_e32 v38, 24, v111
	v_or3_b32 v81, v79, v78, v13
	v_lshlrev_b32_e32 v13, 8, v91
	v_lshlrev_b32_e32 v26, 16, v26
	s_delay_alu instid0(VALU_DEP_2) | instskip(NEXT) | instid1(VALU_DEP_1)
	v_perm_b32 v13, v13, v90, 0xc0c0500
	v_or3_b32 v82, v36, v26, v13
	v_or_b32_e32 v13, v105, v104
	v_and_b32_e32 v36, 0xff, v109
	s_delay_alu instid0(VALU_DEP_2) | instskip(NEXT) | instid1(VALU_DEP_2)
	v_lshlrev_b32_e32 v13, 16, v13
	v_lshlrev_b32_e32 v36, 16, v36
	s_delay_alu instid0(VALU_DEP_2)
	v_or3_b32 v83, v95, v94, v13
	global_store_b128 v[70:71], v[80:83], off offset:1536 glc slc dlc
	s_clause 0x3
	scratch_load_b32 v13, off, s33 offset:396
	scratch_load_b32 v26, off, s33 offset:476
	;; [unrolled: 1-line block ×4, first 2 shown]
	s_waitcnt vmcnt(2)
	v_or_b32_e32 v13, v26, v13
	v_lshlrev_b32_e32 v26, 8, v107
	s_delay_alu instid0(VALU_DEP_2) | instskip(NEXT) | instid1(VALU_DEP_2)
	v_lshlrev_b32_e32 v13, 16, v13
	v_perm_b32 v26, v26, v106, 0xc0c0500
	s_waitcnt vmcnt(0)
	s_delay_alu instid0(VALU_DEP_2)
	v_or3_b32 v81, v50, v48, v13
	scratch_load_b32 v13, off, s33 offset:480 ; 4-byte Folded Reload
	v_or3_b32 v80, v38, v36, v26
	scratch_load_b32 v26, off, s33 offset:400 ; 4-byte Folded Reload
	v_lshlrev_b32_e32 v38, 24, v141
	scratch_load_b32 v36, off, s33 offset:484 ; 4-byte Folded Reload
	s_waitcnt vmcnt(2)
	v_lshlrev_b32_e32 v13, 8, v13
	s_waitcnt vmcnt(0)
	v_lshlrev_b32_e32 v36, 24, v36
	s_delay_alu instid0(VALU_DEP_2) | instskip(SKIP_3) | instid1(VALU_DEP_1)
	v_perm_b32 v13, v13, v26, 0xc0c0500
	scratch_load_b32 v26, off, s33 offset:404 ; 4-byte Folded Reload
	s_waitcnt vmcnt(0)
	v_and_b32_e32 v26, 0xff, v26
	v_lshlrev_b32_e32 v26, 16, v26
	s_delay_alu instid0(VALU_DEP_1) | instskip(SKIP_4) | instid1(VALU_DEP_1)
	v_or3_b32 v82, v36, v26, v13
	s_clause 0x1
	scratch_load_b32 v26, off, s33 offset:408
	scratch_load_b32 v36, off, s33 offset:488
	v_or_b32_e32 v13, v137, v108
	v_lshlrev_b32_e32 v13, 16, v13
	s_waitcnt vmcnt(0)
	s_delay_alu instid0(VALU_DEP_1)
	v_or3_b32 v83, v36, v26, v13
	v_or_b32_e32 v13, v153, v152
	v_lshlrev_b32_e32 v26, 8, v139
	v_and_b32_e32 v36, 0xff, v140
	global_store_b128 v[70:71], v[80:83], off offset:2048 glc slc dlc
	v_lshlrev_b32_e32 v13, 16, v13
	v_perm_b32 v26, v26, v138, 0xc0c0500
	v_lshlrev_b32_e32 v36, 16, v36
	s_delay_alu instid0(VALU_DEP_3) | instskip(SKIP_1) | instid1(VALU_DEP_3)
	v_or3_b32 v81, v143, v142, v13
	v_lshlrev_b32_e32 v13, 8, v155
	v_or3_b32 v80, v38, v36, v26
	v_and_b32_e32 v26, 0xff, v156
	v_lshlrev_b32_e32 v36, 24, v39
	v_lshlrev_b32_e32 v38, 24, v173
	v_perm_b32 v13, v13, v154, 0xc0c0500
	s_delay_alu instid0(VALU_DEP_4) | instskip(NEXT) | instid1(VALU_DEP_1)
	v_lshlrev_b32_e32 v26, 16, v26
	v_or3_b32 v82, v36, v26, v13
	v_or_b32_e32 v13, v169, v37
	v_lshlrev_b32_e32 v26, 8, v171
	v_and_b32_e32 v36, 0xff, v172
	s_delay_alu instid0(VALU_DEP_3) | instskip(NEXT) | instid1(VALU_DEP_3)
	v_lshlrev_b32_e32 v13, 16, v13
	v_perm_b32 v26, v26, v170, 0xc0c0500
	s_delay_alu instid0(VALU_DEP_3) | instskip(NEXT) | instid1(VALU_DEP_3)
	v_lshlrev_b32_e32 v36, 16, v36
	v_or3_b32 v83, v159, v158, v13
	v_or_b32_e32 v13, v185, v184
	s_delay_alu instid0(VALU_DEP_3) | instskip(SKIP_1) | instid1(VALU_DEP_3)
	v_or3_b32 v36, v38, v36, v26
	v_and_b32_e32 v26, 0xff, v188
	v_lshlrev_b32_e32 v13, 16, v13
	s_delay_alu instid0(VALU_DEP_2) | instskip(NEXT) | instid1(VALU_DEP_2)
	v_lshlrev_b32_e32 v26, 16, v26
	v_or3_b32 v37, v175, v27, v13
	v_lshlrev_b32_e32 v13, 8, v187
	v_lshlrev_b32_e32 v27, 24, v133
	s_delay_alu instid0(VALU_DEP_2) | instskip(NEXT) | instid1(VALU_DEP_1)
	v_perm_b32 v13, v13, v186, 0xc0c0500
	v_or3_b32 v38, v27, v26, v13
	v_or_b32_e32 v13, v103, v144
	s_delay_alu instid0(VALU_DEP_1) | instskip(NEXT) | instid1(VALU_DEP_1)
	v_lshlrev_b32_e32 v13, 16, v13
	v_or3_b32 v39, v96, v189, v13
	v_lshlrev_b32_e32 v13, 8, v21
	s_clause 0x1
	global_store_b128 v[70:71], v[80:83], off offset:2560 glc slc dlc
	global_store_b128 v[70:71], v[36:39], off offset:3072 glc slc dlc
	v_perm_b32 v13, v13, v20, 0xc0c0500
	v_and_b32_e32 v20, 0xff, v69
	s_delay_alu instid0(VALU_DEP_1) | instskip(NEXT) | instid1(VALU_DEP_1)
	v_lshlrev_b32_e32 v20, 16, v20
	v_or3_b32 v8, v8, v20, v13
	v_lshlrev_b32_e32 v13, 8, v85
	v_and_b32_e32 v20, 0xff, v49
	s_delay_alu instid0(VALU_DEP_2) | instskip(NEXT) | instid1(VALU_DEP_2)
	v_perm_b32 v13, v13, v114, 0xc0c0500
	v_lshlrev_b32_e32 v20, 16, v20
	s_delay_alu instid0(VALU_DEP_1)
	v_or3_b32 v10, v10, v20, v13
	global_store_b128 v[70:71], v[8:11], off offset:3584 glc slc dlc
	s_clause 0x1
	scratch_load_b32 v9, off, s33 offset:412
	scratch_load_b32 v8, off, s33 offset:496
	s_waitcnt vmcnt(1)
	v_sub_nc_u32_e32 v9, v9, v2
	scratch_load_b32 v2, off, s33 offset:492 ; 4-byte Folded Reload
	scratch_store_b32 off, v9, s33 offset:412 ; 4-byte Folded Spill
	s_waitcnt vmcnt(0)
	v_add_co_u32 v18, vcc_lo, v18, v2
	v_add_co_ci_u32_e32 v19, vcc_lo, v19, v8, vcc_lo
	v_cmp_gt_i32_e32 vcc_lo, 1, v9
	v_add_co_u32 v16, s13, v16, v2
	s_delay_alu instid0(VALU_DEP_1) | instskip(SKIP_1) | instid1(SALU_CYCLE_1)
	v_add_co_ci_u32_e64 v17, s13, v17, v8, s13
	s_or_b32 s30, vcc_lo, s30
	s_and_not1_b32 exec_lo, exec_lo, s30
	s_cbranch_execz .LBB6_2199
.LBB6_144:                              ;   Parent Loop BB6_51 Depth=1
                                        ;     Parent Loop BB6_59 Depth=2
                                        ; =>    This Inner Loop Header: Depth=3
	v_cmp_gt_i16_e32 vcc_lo, 0x80, v51
	s_cbranch_vccnz .LBB6_148
; %bb.145:                              ;   in Loop: Header=BB6_144 Depth=3
	v_cmp_eq_u16_e32 vcc_lo, 0x80, v51
	s_mov_b32 s13, -1
                                        ; implicit-def: $sgpr34
	s_cbranch_vccz .LBB6_147
; %bb.146:                              ;   in Loop: Header=BB6_144 Depth=3
	s_mov_b32 s13, 0
	s_mov_b32 s34, 0x7f800001
.LBB6_147:                              ;   in Loop: Header=BB6_144 Depth=3
	s_mov_b32 vcc_lo, 0
	s_branch .LBB6_149
.LBB6_148:                              ;   in Loop: Header=BB6_144 Depth=3
	s_mov_b32 vcc_lo, -1
	s_mov_b32 s13, 0
                                        ; implicit-def: $sgpr34
.LBB6_149:                              ;   in Loop: Header=BB6_144 Depth=3
	s_and_b32 vcc_lo, exec_lo, vcc_lo
	s_cbranch_vccz .LBB6_151
; %bb.150:                              ;   in Loop: Header=BB6_144 Depth=3
	v_cmp_ne_u16_e64 s13, 0, v51
	s_mov_b32 s34, 0
.LBB6_151:                              ;   in Loop: Header=BB6_144 Depth=3
	s_delay_alu instid0(VALU_DEP_1)
	s_and_not1_b32 vcc_lo, exec_lo, s13
	s_cbranch_vccnz .LBB6_153
; %bb.152:                              ;   in Loop: Header=BB6_144 Depth=3
	s_mov_b32 s34, s31
.LBB6_153:                              ;   in Loop: Header=BB6_144 Depth=3
	scratch_load_b32 v2, off, s33 offset:312 ; 4-byte Folded Reload
	s_mov_b32 s13, 0
	s_mov_b32 s36, exec_lo
                                        ; implicit-def: $sgpr35
	s_waitcnt vmcnt(0)
	v_add_co_u32 v20, vcc_lo, v2, v18
	scratch_load_b32 v2, off, s33 offset:316 ; 4-byte Folded Reload
	s_waitcnt vmcnt(0)
	v_add_co_ci_u32_e32 v21, vcc_lo, v2, v19, vcc_lo
	global_load_b128 v[8:11], v[20:21], off slc dlc
	s_waitcnt vmcnt(0)
	v_and_b32_e32 v13, 0xff, v8
	s_delay_alu instid0(VALU_DEP_1)
	v_cmpx_lt_i16_e32 0x7f, v13
	s_xor_b32 s36, exec_lo, s36
	s_cbranch_execnz .LBB6_1687
; %bb.154:                              ;   in Loop: Header=BB6_144 Depth=3
	s_or_saveexec_b32 s36, s36
	v_mov_b32_e32 v2, s35
	s_xor_b32 exec_lo, exec_lo, s36
	s_cbranch_execnz .LBB6_1690
.LBB6_155:                              ;   in Loop: Header=BB6_144 Depth=3
	s_or_b32 exec_lo, exec_lo, s36
	s_and_saveexec_b32 s35, s13
	s_cbranch_execz .LBB6_157
.LBB6_156:                              ;   in Loop: Header=BB6_144 Depth=3
	v_bfe_u32 v27, v8, 2, 5
	v_lshlrev_b32_e32 v36, 24, v8
	s_delay_alu instid0(VALU_DEP_2) | instskip(SKIP_1) | instid1(VALU_DEP_1)
	v_cmp_eq_u32_e32 vcc_lo, 0, v27
	v_and_b32_e32 v2, 3, v8
	v_clz_i32_u32_e32 v13, v2
	s_delay_alu instid0(VALU_DEP_1) | instskip(NEXT) | instid1(VALU_DEP_1)
	v_min_u32_e32 v13, 32, v13
	v_subrev_nc_u32_e32 v26, 29, v13
	v_sub_nc_u32_e32 v13, 30, v13
	s_delay_alu instid0(VALU_DEP_1) | instskip(NEXT) | instid1(VALU_DEP_1)
	v_dual_cndmask_b32 v13, v27, v13 :: v_dual_lshlrev_b32 v26, v26, v8
	v_and_b32_e32 v26, 3, v26
	s_delay_alu instid0(VALU_DEP_2) | instskip(NEXT) | instid1(VALU_DEP_2)
	v_lshl_add_u32 v13, v13, 23, 0x37800000
	v_cndmask_b32_e32 v2, v2, v26, vcc_lo
	v_and_b32_e32 v26, 0x80000000, v36
	s_delay_alu instid0(VALU_DEP_2) | instskip(NEXT) | instid1(VALU_DEP_1)
	v_lshlrev_b32_e32 v2, 21, v2
	v_or3_b32 v2, v26, v13, v2
.LBB6_157:                              ;   in Loop: Header=BB6_144 Depth=3
	s_or_b32 exec_lo, exec_lo, s35
	s_delay_alu instid0(VALU_DEP_1) | instskip(NEXT) | instid1(VALU_DEP_1)
	v_mul_f32_e32 v2, s34, v2
	v_and_b32_e32 v13, 0x7f800000, v2
	s_delay_alu instid0(VALU_DEP_1)
	v_cmp_ne_u32_e32 vcc_lo, 0x7f800000, v13
	v_mov_b32_e32 v13, 0x80
	scratch_store_b32 off, v13, s33 offset:332 ; 4-byte Folded Spill
	s_and_saveexec_b32 s35, vcc_lo
	s_cbranch_execz .LBB6_165
; %bb.158:                              ;   in Loop: Header=BB6_144 Depth=3
	v_mov_b32_e32 v13, 0
	s_mov_b32 s36, exec_lo
	scratch_store_b32 off, v13, s33 offset:332 ; 4-byte Folded Spill
	v_cmpx_ne_u32_e32 0, v2
	s_cbranch_execz .LBB6_164
; %bb.159:                              ;   in Loop: Header=BB6_144 Depth=3
	v_bfe_u32 v13, v2, 23, 8
	s_delay_alu instid0(VALU_DEP_1) | instskip(SKIP_1) | instid1(VALU_DEP_2)
	v_sub_nc_u32_e32 v27, 0x70, v13
	v_cmp_gt_u32_e32 vcc_lo, 0x71, v13
	v_dual_cndmask_b32 v27, 0, v27 :: v_dual_and_b32 v26, 0x7fffff, v2
	s_delay_alu instid0(VALU_DEP_1) | instskip(SKIP_2) | instid1(VALU_DEP_4)
	v_or_b32_e32 v36, 0x800000, v26
	v_cmp_eq_u32_e32 vcc_lo, 0, v13
	v_add_nc_u32_e32 v13, 0xffffff91, v13
	v_cndmask_b32_e64 v27, v27, 0x6f, vcc_lo
	s_delay_alu instid0(VALU_DEP_4) | instskip(NEXT) | instid1(VALU_DEP_3)
	v_cndmask_b32_e32 v26, v36, v26, vcc_lo
	v_cndmask_b32_e64 v13, v13, 0xffffff92, vcc_lo
	s_delay_alu instid0(VALU_DEP_3) | instskip(NEXT) | instid1(VALU_DEP_3)
	v_lshl_add_u32 v36, 0x200000, v27, -1
	v_lshrrev_b32_e32 v37, v27, v26
	v_lshlrev_b32_e64 v39, v27, 0x100000
	s_delay_alu instid0(VALU_DEP_4) | instskip(NEXT) | instid1(VALU_DEP_4)
	v_add_nc_u32_e32 v27, v27, v13
	v_and_b32_e32 v26, v36, v26
	s_delay_alu instid0(VALU_DEP_4) | instskip(NEXT) | instid1(VALU_DEP_2)
	v_bfe_u32 v38, v37, 21, 1
	v_cmp_eq_u32_e64 s13, v26, v39
	s_delay_alu instid0(VALU_DEP_2) | instskip(NEXT) | instid1(VALU_DEP_1)
	v_add_nc_u32_e32 v36, -1, v38
	v_cndmask_b32_e64 v26, 0, v36, s13
	v_lshrrev_b32_e32 v36, 23, v37
	s_mov_b32 s13, exec_lo
	s_delay_alu instid0(VALU_DEP_2) | instskip(NEXT) | instid1(VALU_DEP_2)
	v_add_nc_u32_e32 v26, v26, v37
	v_xor_b32_e32 v36, 1, v36
	s_delay_alu instid0(VALU_DEP_2) | instskip(NEXT) | instid1(VALU_DEP_1)
	v_and_b32_e32 v13, 0x1fffff, v26
	v_add_nc_u32_e32 v26, v13, v37
                                        ; implicit-def: $vgpr13
	s_delay_alu instid0(VALU_DEP_3)
	v_cmpx_ne_u32_e64 v27, v36
	s_xor_b32 s13, exec_lo, s13
; %bb.160:                              ;   in Loop: Header=BB6_144 Depth=3
	s_delay_alu instid0(VALU_DEP_2) | instskip(SKIP_2) | instid1(VALU_DEP_2)
	v_cmp_lt_u32_e32 vcc_lo, 0xffffff, v26
	v_sub_nc_u32_e32 v13, v27, v36
	v_cndmask_b32_e64 v27, 0, 1, vcc_lo
	v_add_co_ci_u32_e32 v13, vcc_lo, 0, v13, vcc_lo
	s_delay_alu instid0(VALU_DEP_2)
	v_lshrrev_b32_e32 v26, v27, v26
; %bb.161:                              ;   in Loop: Header=BB6_144 Depth=3
	s_and_not1_saveexec_b32 s13, s13
; %bb.162:                              ;   in Loop: Header=BB6_144 Depth=3
	s_delay_alu instid0(VALU_DEP_1)
	v_bfe_u32 v13, v26, 23, 1
; %bb.163:                              ;   in Loop: Header=BB6_144 Depth=3
	s_or_b32 exec_lo, exec_lo, s13
	v_lshrrev_b32_e32 v26, 21, v26
	s_delay_alu instid0(VALU_DEP_2) | instskip(SKIP_2) | instid1(VALU_DEP_4)
	v_cmp_gt_i32_e32 vcc_lo, 32, v13
	v_lshrrev_b32_e32 v2, 24, v2
	v_min_i32_e32 v27, 31, v13
	v_dual_mov_b32 v51, v128 :: v_dual_cndmask_b32 v26, 3, v26
	s_delay_alu instid0(VALU_DEP_3) | instskip(NEXT) | instid1(VALU_DEP_3)
	v_and_b32_e32 v2, 0x80, v2
	v_lshlrev_b32_e32 v27, 2, v27
	s_delay_alu instid0(VALU_DEP_3) | instskip(SKIP_1) | instid1(VALU_DEP_2)
	v_and_b32_e32 v36, 3, v26
	v_or_b32_e32 v13, v13, v26
	v_or3_b32 v2, v27, v2, v36
	s_delay_alu instid0(VALU_DEP_2) | instskip(NEXT) | instid1(VALU_DEP_2)
	v_cmp_ne_u32_e32 vcc_lo, 0, v13
	v_cndmask_b32_e32 v2, 0, v2, vcc_lo
	scratch_store_b32 off, v2, s33 offset:332 ; 4-byte Folded Spill
.LBB6_164:                              ;   in Loop: Header=BB6_144 Depth=3
	s_or_b32 exec_lo, exec_lo, s36
.LBB6_165:                              ;   in Loop: Header=BB6_144 Depth=3
	s_delay_alu instid0(SALU_CYCLE_1) | instskip(SKIP_3) | instid1(VALU_DEP_1)
	s_or_b32 exec_lo, exec_lo, s35
	v_lshrrev_b16 v2, 8, v8
	s_mov_b32 s13, 0
	s_mov_b32 s36, exec_lo
                                        ; implicit-def: $sgpr35
	v_cmpx_lt_i16_e32 0x7f, v2
	s_xor_b32 s36, exec_lo, s36
	s_cbranch_execnz .LBB6_1691
; %bb.166:                              ;   in Loop: Header=BB6_144 Depth=3
	s_or_saveexec_b32 s36, s36
	v_mov_b32_e32 v13, s35
	s_xor_b32 exec_lo, exec_lo, s36
	s_cbranch_execnz .LBB6_1694
.LBB6_167:                              ;   in Loop: Header=BB6_144 Depth=3
	s_or_b32 exec_lo, exec_lo, s36
	s_and_saveexec_b32 s35, s13
	s_cbranch_execz .LBB6_169
.LBB6_168:                              ;   in Loop: Header=BB6_144 Depth=3
	v_and_b32_e32 v13, 0xffff, v2
	v_lshlrev_b32_e32 v2, 24, v2
	s_delay_alu instid0(VALU_DEP_2) | instskip(NEXT) | instid1(VALU_DEP_2)
	v_and_b32_e32 v26, 3, v13
	v_and_b32_e32 v2, 0x80000000, v2
	s_delay_alu instid0(VALU_DEP_2) | instskip(NEXT) | instid1(VALU_DEP_1)
	v_clz_i32_u32_e32 v27, v26
	v_min_u32_e32 v27, 32, v27
	s_delay_alu instid0(VALU_DEP_1) | instskip(SKIP_1) | instid1(VALU_DEP_2)
	v_subrev_nc_u32_e32 v36, 29, v27
	v_sub_nc_u32_e32 v27, 30, v27
	v_lshlrev_b32_e32 v36, v36, v13
	v_bfe_u32 v13, v13, 2, 5
	s_delay_alu instid0(VALU_DEP_2) | instskip(NEXT) | instid1(VALU_DEP_2)
	v_and_b32_e32 v36, 3, v36
	v_cmp_eq_u32_e32 vcc_lo, 0, v13
	s_delay_alu instid0(VALU_DEP_2) | instskip(NEXT) | instid1(VALU_DEP_1)
	v_dual_cndmask_b32 v13, v13, v27 :: v_dual_cndmask_b32 v26, v26, v36
	v_lshl_add_u32 v13, v13, 23, 0x37800000
	s_delay_alu instid0(VALU_DEP_2) | instskip(NEXT) | instid1(VALU_DEP_1)
	v_lshlrev_b32_e32 v26, 21, v26
	v_or3_b32 v13, v2, v13, v26
.LBB6_169:                              ;   in Loop: Header=BB6_144 Depth=3
	s_or_b32 exec_lo, exec_lo, s35
	s_delay_alu instid0(VALU_DEP_1) | instskip(NEXT) | instid1(VALU_DEP_1)
	v_mul_f32_e32 v2, s34, v13
	v_and_b32_e32 v13, 0x7f800000, v2
	s_delay_alu instid0(VALU_DEP_1)
	v_cmp_ne_u32_e32 vcc_lo, 0x7f800000, v13
	v_mov_b32_e32 v13, 0x80
	scratch_store_b32 off, v13, s33 offset:336 ; 4-byte Folded Spill
	s_and_saveexec_b32 s35, vcc_lo
	s_cbranch_execz .LBB6_177
; %bb.170:                              ;   in Loop: Header=BB6_144 Depth=3
	v_mov_b32_e32 v13, 0
	s_mov_b32 s36, exec_lo
	scratch_store_b32 off, v13, s33 offset:336 ; 4-byte Folded Spill
	v_cmpx_ne_u32_e32 0, v2
	s_cbranch_execz .LBB6_176
; %bb.171:                              ;   in Loop: Header=BB6_144 Depth=3
	v_bfe_u32 v13, v2, 23, 8
	s_delay_alu instid0(VALU_DEP_1) | instskip(SKIP_1) | instid1(VALU_DEP_2)
	v_sub_nc_u32_e32 v27, 0x70, v13
	v_cmp_gt_u32_e32 vcc_lo, 0x71, v13
	v_dual_cndmask_b32 v27, 0, v27 :: v_dual_and_b32 v26, 0x7fffff, v2
	s_delay_alu instid0(VALU_DEP_1) | instskip(SKIP_2) | instid1(VALU_DEP_4)
	v_or_b32_e32 v36, 0x800000, v26
	v_cmp_eq_u32_e32 vcc_lo, 0, v13
	v_add_nc_u32_e32 v13, 0xffffff91, v13
	v_cndmask_b32_e64 v27, v27, 0x6f, vcc_lo
	s_delay_alu instid0(VALU_DEP_4) | instskip(NEXT) | instid1(VALU_DEP_3)
	v_cndmask_b32_e32 v26, v36, v26, vcc_lo
	v_cndmask_b32_e64 v13, v13, 0xffffff92, vcc_lo
	s_delay_alu instid0(VALU_DEP_3) | instskip(NEXT) | instid1(VALU_DEP_3)
	v_lshl_add_u32 v36, 0x200000, v27, -1
	v_lshrrev_b32_e32 v37, v27, v26
	v_lshlrev_b32_e64 v39, v27, 0x100000
	s_delay_alu instid0(VALU_DEP_4) | instskip(NEXT) | instid1(VALU_DEP_4)
	v_add_nc_u32_e32 v27, v27, v13
	v_and_b32_e32 v26, v36, v26
	s_delay_alu instid0(VALU_DEP_4) | instskip(NEXT) | instid1(VALU_DEP_2)
	v_bfe_u32 v38, v37, 21, 1
	v_cmp_eq_u32_e64 s13, v26, v39
	s_delay_alu instid0(VALU_DEP_2) | instskip(NEXT) | instid1(VALU_DEP_1)
	v_add_nc_u32_e32 v36, -1, v38
	v_cndmask_b32_e64 v26, 0, v36, s13
	v_lshrrev_b32_e32 v36, 23, v37
	s_mov_b32 s13, exec_lo
	s_delay_alu instid0(VALU_DEP_2) | instskip(NEXT) | instid1(VALU_DEP_2)
	v_add_nc_u32_e32 v26, v26, v37
	v_xor_b32_e32 v36, 1, v36
	s_delay_alu instid0(VALU_DEP_2) | instskip(NEXT) | instid1(VALU_DEP_1)
	v_and_b32_e32 v13, 0x1fffff, v26
	v_add_nc_u32_e32 v26, v13, v37
                                        ; implicit-def: $vgpr13
	s_delay_alu instid0(VALU_DEP_3)
	v_cmpx_ne_u32_e64 v27, v36
	s_xor_b32 s13, exec_lo, s13
; %bb.172:                              ;   in Loop: Header=BB6_144 Depth=3
	s_delay_alu instid0(VALU_DEP_2) | instskip(SKIP_2) | instid1(VALU_DEP_2)
	v_cmp_lt_u32_e32 vcc_lo, 0xffffff, v26
	v_sub_nc_u32_e32 v13, v27, v36
	v_cndmask_b32_e64 v27, 0, 1, vcc_lo
	v_add_co_ci_u32_e32 v13, vcc_lo, 0, v13, vcc_lo
	s_delay_alu instid0(VALU_DEP_2)
	v_lshrrev_b32_e32 v26, v27, v26
; %bb.173:                              ;   in Loop: Header=BB6_144 Depth=3
	s_and_not1_saveexec_b32 s13, s13
; %bb.174:                              ;   in Loop: Header=BB6_144 Depth=3
	s_delay_alu instid0(VALU_DEP_1)
	v_bfe_u32 v13, v26, 23, 1
; %bb.175:                              ;   in Loop: Header=BB6_144 Depth=3
	s_or_b32 exec_lo, exec_lo, s13
	v_lshrrev_b32_e32 v26, 21, v26
	s_delay_alu instid0(VALU_DEP_2) | instskip(SKIP_2) | instid1(VALU_DEP_4)
	v_cmp_gt_i32_e32 vcc_lo, 32, v13
	v_lshrrev_b32_e32 v2, 24, v2
	v_min_i32_e32 v27, 31, v13
	v_dual_mov_b32 v51, v128 :: v_dual_cndmask_b32 v26, 3, v26
	s_delay_alu instid0(VALU_DEP_3) | instskip(NEXT) | instid1(VALU_DEP_3)
	v_and_b32_e32 v2, 0x80, v2
	v_lshlrev_b32_e32 v27, 2, v27
	s_delay_alu instid0(VALU_DEP_3) | instskip(SKIP_1) | instid1(VALU_DEP_2)
	v_and_b32_e32 v36, 3, v26
	v_or_b32_e32 v13, v13, v26
	v_or3_b32 v2, v27, v2, v36
	s_delay_alu instid0(VALU_DEP_2) | instskip(NEXT) | instid1(VALU_DEP_2)
	v_cmp_ne_u32_e32 vcc_lo, 0, v13
	v_cndmask_b32_e32 v2, 0, v2, vcc_lo
	scratch_store_b32 off, v2, s33 offset:336 ; 4-byte Folded Spill
.LBB6_176:                              ;   in Loop: Header=BB6_144 Depth=3
	s_or_b32 exec_lo, exec_lo, s36
.LBB6_177:                              ;   in Loop: Header=BB6_144 Depth=3
	s_delay_alu instid0(SALU_CYCLE_1) | instskip(SKIP_3) | instid1(VALU_DEP_1)
	s_or_b32 exec_lo, exec_lo, s35
	v_lshrrev_b32_e32 v2, 16, v8
	s_mov_b32 s13, 0
	s_mov_b32 s36, exec_lo
                                        ; implicit-def: $sgpr35
	v_and_b32_e32 v26, 0xff, v2
	s_delay_alu instid0(VALU_DEP_1)
	v_cmpx_lt_i16_e32 0x7f, v26
	s_xor_b32 s36, exec_lo, s36
	s_cbranch_execnz .LBB6_1695
; %bb.178:                              ;   in Loop: Header=BB6_144 Depth=3
	s_or_saveexec_b32 s36, s36
	v_mov_b32_e32 v13, s35
	s_xor_b32 exec_lo, exec_lo, s36
	s_cbranch_execnz .LBB6_1698
.LBB6_179:                              ;   in Loop: Header=BB6_144 Depth=3
	s_or_b32 exec_lo, exec_lo, s36
	s_and_saveexec_b32 s35, s13
	s_cbranch_execz .LBB6_181
.LBB6_180:                              ;   in Loop: Header=BB6_144 Depth=3
	v_bfe_u32 v13, v8, 16, 2
	v_lshlrev_b32_e32 v36, 8, v8
	s_delay_alu instid0(VALU_DEP_2) | instskip(NEXT) | instid1(VALU_DEP_1)
	v_clz_i32_u32_e32 v26, v13
	v_min_u32_e32 v26, 32, v26
	s_delay_alu instid0(VALU_DEP_1) | instskip(SKIP_1) | instid1(VALU_DEP_2)
	v_subrev_nc_u32_e32 v27, 29, v26
	v_sub_nc_u32_e32 v26, 30, v26
	v_lshlrev_b32_e32 v2, v27, v2
	v_bfe_u32 v27, v8, 18, 5
	s_delay_alu instid0(VALU_DEP_2) | instskip(NEXT) | instid1(VALU_DEP_2)
	v_and_b32_e32 v2, 3, v2
	v_cmp_eq_u32_e32 vcc_lo, 0, v27
	v_cndmask_b32_e32 v26, v27, v26, vcc_lo
	s_delay_alu instid0(VALU_DEP_3) | instskip(NEXT) | instid1(VALU_DEP_2)
	v_dual_cndmask_b32 v2, v13, v2 :: v_dual_and_b32 v13, 0x80000000, v36
	v_lshl_add_u32 v26, v26, 23, 0x37800000
	s_delay_alu instid0(VALU_DEP_2) | instskip(NEXT) | instid1(VALU_DEP_1)
	v_lshlrev_b32_e32 v2, 21, v2
	v_or3_b32 v13, v13, v26, v2
.LBB6_181:                              ;   in Loop: Header=BB6_144 Depth=3
	s_or_b32 exec_lo, exec_lo, s35
	s_delay_alu instid0(VALU_DEP_1) | instskip(NEXT) | instid1(VALU_DEP_1)
	v_mul_f32_e32 v2, s34, v13
	v_and_b32_e32 v13, 0x7f800000, v2
	s_delay_alu instid0(VALU_DEP_1)
	v_cmp_ne_u32_e32 vcc_lo, 0x7f800000, v13
	v_mov_b32_e32 v13, 0x80
	scratch_store_b32 off, v13, s33 offset:340 ; 4-byte Folded Spill
	s_and_saveexec_b32 s35, vcc_lo
	s_cbranch_execz .LBB6_189
; %bb.182:                              ;   in Loop: Header=BB6_144 Depth=3
	v_mov_b32_e32 v13, 0
	s_mov_b32 s36, exec_lo
	scratch_store_b32 off, v13, s33 offset:340 ; 4-byte Folded Spill
	v_cmpx_ne_u32_e32 0, v2
	s_cbranch_execz .LBB6_188
; %bb.183:                              ;   in Loop: Header=BB6_144 Depth=3
	v_bfe_u32 v13, v2, 23, 8
	s_delay_alu instid0(VALU_DEP_1) | instskip(SKIP_1) | instid1(VALU_DEP_2)
	v_sub_nc_u32_e32 v27, 0x70, v13
	v_cmp_gt_u32_e32 vcc_lo, 0x71, v13
	v_dual_cndmask_b32 v27, 0, v27 :: v_dual_and_b32 v26, 0x7fffff, v2
	s_delay_alu instid0(VALU_DEP_1) | instskip(SKIP_2) | instid1(VALU_DEP_4)
	v_or_b32_e32 v36, 0x800000, v26
	v_cmp_eq_u32_e32 vcc_lo, 0, v13
	v_add_nc_u32_e32 v13, 0xffffff91, v13
	v_cndmask_b32_e64 v27, v27, 0x6f, vcc_lo
	s_delay_alu instid0(VALU_DEP_4) | instskip(NEXT) | instid1(VALU_DEP_3)
	v_cndmask_b32_e32 v26, v36, v26, vcc_lo
	v_cndmask_b32_e64 v13, v13, 0xffffff92, vcc_lo
	s_delay_alu instid0(VALU_DEP_3) | instskip(NEXT) | instid1(VALU_DEP_3)
	v_lshl_add_u32 v36, 0x200000, v27, -1
	v_lshrrev_b32_e32 v37, v27, v26
	v_lshlrev_b32_e64 v39, v27, 0x100000
	s_delay_alu instid0(VALU_DEP_4) | instskip(NEXT) | instid1(VALU_DEP_4)
	v_add_nc_u32_e32 v27, v27, v13
	v_and_b32_e32 v26, v36, v26
	s_delay_alu instid0(VALU_DEP_4) | instskip(NEXT) | instid1(VALU_DEP_2)
	v_bfe_u32 v38, v37, 21, 1
	v_cmp_eq_u32_e64 s13, v26, v39
	s_delay_alu instid0(VALU_DEP_2) | instskip(NEXT) | instid1(VALU_DEP_1)
	v_add_nc_u32_e32 v36, -1, v38
	v_cndmask_b32_e64 v26, 0, v36, s13
	v_lshrrev_b32_e32 v36, 23, v37
	s_mov_b32 s13, exec_lo
	s_delay_alu instid0(VALU_DEP_2) | instskip(NEXT) | instid1(VALU_DEP_2)
	v_add_nc_u32_e32 v26, v26, v37
	v_xor_b32_e32 v36, 1, v36
	s_delay_alu instid0(VALU_DEP_2) | instskip(NEXT) | instid1(VALU_DEP_1)
	v_and_b32_e32 v13, 0x1fffff, v26
	v_add_nc_u32_e32 v26, v13, v37
                                        ; implicit-def: $vgpr13
	s_delay_alu instid0(VALU_DEP_3)
	v_cmpx_ne_u32_e64 v27, v36
	s_xor_b32 s13, exec_lo, s13
; %bb.184:                              ;   in Loop: Header=BB6_144 Depth=3
	s_delay_alu instid0(VALU_DEP_2) | instskip(SKIP_2) | instid1(VALU_DEP_2)
	v_cmp_lt_u32_e32 vcc_lo, 0xffffff, v26
	v_sub_nc_u32_e32 v13, v27, v36
	v_cndmask_b32_e64 v27, 0, 1, vcc_lo
	v_add_co_ci_u32_e32 v13, vcc_lo, 0, v13, vcc_lo
	s_delay_alu instid0(VALU_DEP_2)
	v_lshrrev_b32_e32 v26, v27, v26
; %bb.185:                              ;   in Loop: Header=BB6_144 Depth=3
	s_and_not1_saveexec_b32 s13, s13
; %bb.186:                              ;   in Loop: Header=BB6_144 Depth=3
	s_delay_alu instid0(VALU_DEP_1)
	v_bfe_u32 v13, v26, 23, 1
; %bb.187:                              ;   in Loop: Header=BB6_144 Depth=3
	s_or_b32 exec_lo, exec_lo, s13
	v_lshrrev_b32_e32 v26, 21, v26
	s_delay_alu instid0(VALU_DEP_2) | instskip(SKIP_2) | instid1(VALU_DEP_4)
	v_cmp_gt_i32_e32 vcc_lo, 32, v13
	v_lshrrev_b32_e32 v2, 24, v2
	v_min_i32_e32 v27, 31, v13
	v_dual_mov_b32 v51, v128 :: v_dual_cndmask_b32 v26, 3, v26
	s_delay_alu instid0(VALU_DEP_3) | instskip(NEXT) | instid1(VALU_DEP_3)
	v_and_b32_e32 v2, 0x80, v2
	v_lshlrev_b32_e32 v27, 2, v27
	s_delay_alu instid0(VALU_DEP_3) | instskip(SKIP_1) | instid1(VALU_DEP_2)
	v_and_b32_e32 v36, 3, v26
	v_or_b32_e32 v13, v13, v26
	v_or3_b32 v2, v27, v2, v36
	s_delay_alu instid0(VALU_DEP_2) | instskip(NEXT) | instid1(VALU_DEP_2)
	v_cmp_ne_u32_e32 vcc_lo, 0, v13
	v_cndmask_b32_e32 v2, 0, v2, vcc_lo
	scratch_store_b32 off, v2, s33 offset:340 ; 4-byte Folded Spill
.LBB6_188:                              ;   in Loop: Header=BB6_144 Depth=3
	s_or_b32 exec_lo, exec_lo, s36
.LBB6_189:                              ;   in Loop: Header=BB6_144 Depth=3
	s_delay_alu instid0(SALU_CYCLE_1) | instskip(SKIP_3) | instid1(VALU_DEP_1)
	s_or_b32 exec_lo, exec_lo, s35
	v_lshrrev_b32_e32 v2, 24, v8
	s_mov_b32 s13, 0
	s_mov_b32 s36, exec_lo
                                        ; implicit-def: $sgpr35
	v_cmpx_lt_i16_e32 0x7f, v2
	s_xor_b32 s36, exec_lo, s36
	s_cbranch_execnz .LBB6_1699
; %bb.190:                              ;   in Loop: Header=BB6_144 Depth=3
	s_or_saveexec_b32 s36, s36
	v_mov_b32_e32 v13, s35
	s_xor_b32 exec_lo, exec_lo, s36
	s_cbranch_execnz .LBB6_1702
.LBB6_191:                              ;   in Loop: Header=BB6_144 Depth=3
	s_or_b32 exec_lo, exec_lo, s36
	s_and_saveexec_b32 s35, s13
	s_cbranch_execz .LBB6_193
.LBB6_192:                              ;   in Loop: Header=BB6_144 Depth=3
	v_bfe_u32 v13, v8, 24, 2
	s_delay_alu instid0(VALU_DEP_1) | instskip(NEXT) | instid1(VALU_DEP_1)
	v_clz_i32_u32_e32 v26, v13
	v_min_u32_e32 v26, 32, v26
	s_delay_alu instid0(VALU_DEP_1) | instskip(SKIP_1) | instid1(VALU_DEP_2)
	v_subrev_nc_u32_e32 v27, 29, v26
	v_sub_nc_u32_e32 v26, 30, v26
	v_lshlrev_b32_e32 v2, v27, v2
	v_bfe_u32 v27, v8, 26, 5
	v_and_b32_e32 v8, 0x80000000, v8
	s_delay_alu instid0(VALU_DEP_3) | instskip(NEXT) | instid1(VALU_DEP_3)
	v_and_b32_e32 v2, 3, v2
	v_cmp_eq_u32_e32 vcc_lo, 0, v27
	v_cndmask_b32_e32 v26, v27, v26, vcc_lo
	s_delay_alu instid0(VALU_DEP_3) | instskip(NEXT) | instid1(VALU_DEP_2)
	v_cndmask_b32_e32 v2, v13, v2, vcc_lo
	v_lshl_add_u32 v13, v26, 23, 0x37800000
	s_delay_alu instid0(VALU_DEP_2) | instskip(NEXT) | instid1(VALU_DEP_1)
	v_lshlrev_b32_e32 v2, 21, v2
	v_or3_b32 v13, v8, v13, v2
.LBB6_193:                              ;   in Loop: Header=BB6_144 Depth=3
	s_or_b32 exec_lo, exec_lo, s35
	s_delay_alu instid0(VALU_DEP_1) | instskip(NEXT) | instid1(VALU_DEP_1)
	v_mul_f32_e32 v2, s34, v13
	v_and_b32_e32 v8, 0x7f800000, v2
	s_delay_alu instid0(VALU_DEP_1)
	v_cmp_ne_u32_e32 vcc_lo, 0x7f800000, v8
	v_mov_b32_e32 v8, 0x80
	s_and_saveexec_b32 s35, vcc_lo
	s_cbranch_execz .LBB6_201
; %bb.194:                              ;   in Loop: Header=BB6_144 Depth=3
	v_mov_b32_e32 v8, 0
	s_mov_b32 s36, exec_lo
	v_cmpx_ne_u32_e32 0, v2
	s_cbranch_execz .LBB6_200
; %bb.195:                              ;   in Loop: Header=BB6_144 Depth=3
	v_bfe_u32 v8, v2, 23, 8
	v_and_b32_e32 v13, 0x7fffff, v2
	s_delay_alu instid0(VALU_DEP_2) | instskip(SKIP_1) | instid1(VALU_DEP_3)
	v_sub_nc_u32_e32 v26, 0x70, v8
	v_cmp_gt_u32_e32 vcc_lo, 0x71, v8
	v_or_b32_e32 v27, 0x800000, v13
	s_delay_alu instid0(VALU_DEP_3) | instskip(SKIP_1) | instid1(VALU_DEP_3)
	v_cndmask_b32_e32 v26, 0, v26, vcc_lo
	v_cmp_eq_u32_e32 vcc_lo, 0, v8
	v_dual_cndmask_b32 v13, v27, v13 :: v_dual_add_nc_u32 v8, 0xffffff91, v8
	s_delay_alu instid0(VALU_DEP_3) | instskip(NEXT) | instid1(VALU_DEP_2)
	v_cndmask_b32_e64 v26, v26, 0x6f, vcc_lo
	v_cndmask_b32_e64 v8, v8, 0xffffff92, vcc_lo
	s_delay_alu instid0(VALU_DEP_2) | instskip(SKIP_2) | instid1(VALU_DEP_4)
	v_lshrrev_b32_e32 v36, v26, v13
	v_lshl_add_u32 v27, 0x200000, v26, -1
	v_lshlrev_b32_e64 v38, v26, 0x100000
	v_add_nc_u32_e32 v26, v26, v8
	s_delay_alu instid0(VALU_DEP_4) | instskip(NEXT) | instid1(VALU_DEP_4)
	v_bfe_u32 v37, v36, 21, 1
	v_and_b32_e32 v13, v27, v13
	s_delay_alu instid0(VALU_DEP_2) | instskip(NEXT) | instid1(VALU_DEP_2)
	v_add_nc_u32_e32 v27, -1, v37
	v_cmp_eq_u32_e64 s13, v13, v38
	s_delay_alu instid0(VALU_DEP_1) | instskip(SKIP_2) | instid1(VALU_DEP_2)
	v_cndmask_b32_e64 v13, 0, v27, s13
	v_lshrrev_b32_e32 v27, 23, v36
	s_mov_b32 s13, exec_lo
	v_add_nc_u32_e32 v13, v13, v36
	s_delay_alu instid0(VALU_DEP_2) | instskip(NEXT) | instid1(VALU_DEP_2)
	v_xor_b32_e32 v27, 1, v27
	v_and_b32_e32 v8, 0x1fffff, v13
	s_delay_alu instid0(VALU_DEP_1) | instskip(NEXT) | instid1(VALU_DEP_3)
	v_add_nc_u32_e32 v13, v8, v36
                                        ; implicit-def: $vgpr8
	v_cmpx_ne_u32_e64 v26, v27
	s_xor_b32 s13, exec_lo, s13
; %bb.196:                              ;   in Loop: Header=BB6_144 Depth=3
	s_delay_alu instid0(VALU_DEP_2) | instskip(SKIP_2) | instid1(VALU_DEP_2)
	v_cmp_lt_u32_e32 vcc_lo, 0xffffff, v13
	v_sub_nc_u32_e32 v8, v26, v27
	v_cndmask_b32_e64 v26, 0, 1, vcc_lo
	v_add_co_ci_u32_e32 v8, vcc_lo, 0, v8, vcc_lo
	s_delay_alu instid0(VALU_DEP_2)
	v_lshrrev_b32_e32 v13, v26, v13
; %bb.197:                              ;   in Loop: Header=BB6_144 Depth=3
	s_and_not1_saveexec_b32 s13, s13
; %bb.198:                              ;   in Loop: Header=BB6_144 Depth=3
	s_delay_alu instid0(VALU_DEP_1)
	v_bfe_u32 v8, v13, 23, 1
; %bb.199:                              ;   in Loop: Header=BB6_144 Depth=3
	s_or_b32 exec_lo, exec_lo, s13
	v_lshrrev_b32_e32 v13, 21, v13
	s_delay_alu instid0(VALU_DEP_2) | instskip(SKIP_3) | instid1(VALU_DEP_3)
	v_cmp_gt_i32_e32 vcc_lo, 32, v8
	v_lshrrev_b32_e32 v2, 24, v2
	v_min_i32_e32 v26, 31, v8
	v_mov_b32_e32 v51, v128
	v_dual_cndmask_b32 v13, 3, v13 :: v_dual_and_b32 v2, 0x80, v2
	s_delay_alu instid0(VALU_DEP_3) | instskip(NEXT) | instid1(VALU_DEP_2)
	v_lshlrev_b32_e32 v26, 2, v26
	v_or_b32_e32 v8, v8, v13
	s_delay_alu instid0(VALU_DEP_1) | instskip(SKIP_1) | instid1(VALU_DEP_1)
	v_cmp_ne_u32_e32 vcc_lo, 0, v8
	v_and_b32_e32 v27, 3, v13
	v_or3_b32 v2, v26, v2, v27
	s_delay_alu instid0(VALU_DEP_1)
	v_cndmask_b32_e32 v8, 0, v2, vcc_lo
.LBB6_200:                              ;   in Loop: Header=BB6_144 Depth=3
	s_or_b32 exec_lo, exec_lo, s36
.LBB6_201:                              ;   in Loop: Header=BB6_144 Depth=3
	s_delay_alu instid0(SALU_CYCLE_1) | instskip(SKIP_4) | instid1(VALU_DEP_1)
	s_or_b32 exec_lo, exec_lo, s35
	scratch_store_b32 off, v8, s33 offset:416 ; 4-byte Folded Spill
	v_and_b32_e32 v8, 0xff, v9
	s_mov_b32 s13, 0
	s_mov_b32 s36, exec_lo
                                        ; implicit-def: $sgpr35
	v_cmpx_lt_i16_e32 0x7f, v8
	s_xor_b32 s36, exec_lo, s36
	s_cbranch_execnz .LBB6_1703
; %bb.202:                              ;   in Loop: Header=BB6_144 Depth=3
	s_or_saveexec_b32 s36, s36
	v_mov_b32_e32 v2, s35
	s_xor_b32 exec_lo, exec_lo, s36
	s_cbranch_execnz .LBB6_1706
.LBB6_203:                              ;   in Loop: Header=BB6_144 Depth=3
	s_or_b32 exec_lo, exec_lo, s36
	s_and_saveexec_b32 s35, s13
	s_cbranch_execz .LBB6_205
.LBB6_204:                              ;   in Loop: Header=BB6_144 Depth=3
	v_and_b32_e32 v2, 3, v9
	v_bfe_u32 v26, v9, 2, 5
	v_lshlrev_b32_e32 v27, 24, v9
	s_delay_alu instid0(VALU_DEP_3) | instskip(NEXT) | instid1(VALU_DEP_3)
	v_clz_i32_u32_e32 v8, v2
	v_cmp_eq_u32_e32 vcc_lo, 0, v26
	s_delay_alu instid0(VALU_DEP_2) | instskip(NEXT) | instid1(VALU_DEP_1)
	v_min_u32_e32 v8, 32, v8
	v_subrev_nc_u32_e32 v13, 29, v8
	v_sub_nc_u32_e32 v8, 30, v8
	s_delay_alu instid0(VALU_DEP_1) | instskip(NEXT) | instid1(VALU_DEP_1)
	v_dual_cndmask_b32 v8, v26, v8 :: v_dual_lshlrev_b32 v13, v13, v9
	v_and_b32_e32 v13, 3, v13
	s_delay_alu instid0(VALU_DEP_2) | instskip(NEXT) | instid1(VALU_DEP_2)
	v_lshl_add_u32 v8, v8, 23, 0x37800000
	v_dual_cndmask_b32 v2, v2, v13 :: v_dual_and_b32 v13, 0x80000000, v27
	s_delay_alu instid0(VALU_DEP_1) | instskip(NEXT) | instid1(VALU_DEP_1)
	v_lshlrev_b32_e32 v2, 21, v2
	v_or3_b32 v2, v13, v8, v2
.LBB6_205:                              ;   in Loop: Header=BB6_144 Depth=3
	s_or_b32 exec_lo, exec_lo, s35
	s_delay_alu instid0(VALU_DEP_1) | instskip(NEXT) | instid1(VALU_DEP_1)
	v_mul_f32_e32 v2, s34, v2
	v_and_b32_e32 v8, 0x7f800000, v2
	s_delay_alu instid0(VALU_DEP_1)
	v_cmp_ne_u32_e32 vcc_lo, 0x7f800000, v8
	v_mov_b32_e32 v8, 0x80
	scratch_store_b32 off, v8, s33 offset:344 ; 4-byte Folded Spill
	s_and_saveexec_b32 s35, vcc_lo
	s_cbranch_execz .LBB6_213
; %bb.206:                              ;   in Loop: Header=BB6_144 Depth=3
	v_mov_b32_e32 v8, 0
	s_mov_b32 s36, exec_lo
	scratch_store_b32 off, v8, s33 offset:344 ; 4-byte Folded Spill
	v_cmpx_ne_u32_e32 0, v2
	s_cbranch_execz .LBB6_212
; %bb.207:                              ;   in Loop: Header=BB6_144 Depth=3
	v_bfe_u32 v8, v2, 23, 8
	v_and_b32_e32 v13, 0x7fffff, v2
	s_delay_alu instid0(VALU_DEP_2) | instskip(SKIP_1) | instid1(VALU_DEP_3)
	v_sub_nc_u32_e32 v26, 0x70, v8
	v_cmp_gt_u32_e32 vcc_lo, 0x71, v8
	v_or_b32_e32 v27, 0x800000, v13
	s_delay_alu instid0(VALU_DEP_3) | instskip(SKIP_1) | instid1(VALU_DEP_3)
	v_cndmask_b32_e32 v26, 0, v26, vcc_lo
	v_cmp_eq_u32_e32 vcc_lo, 0, v8
	v_dual_cndmask_b32 v13, v27, v13 :: v_dual_add_nc_u32 v8, 0xffffff91, v8
	s_delay_alu instid0(VALU_DEP_3) | instskip(NEXT) | instid1(VALU_DEP_2)
	v_cndmask_b32_e64 v26, v26, 0x6f, vcc_lo
	v_cndmask_b32_e64 v8, v8, 0xffffff92, vcc_lo
	s_delay_alu instid0(VALU_DEP_2) | instskip(SKIP_2) | instid1(VALU_DEP_4)
	v_lshrrev_b32_e32 v36, v26, v13
	v_lshl_add_u32 v27, 0x200000, v26, -1
	v_lshlrev_b32_e64 v38, v26, 0x100000
	v_add_nc_u32_e32 v26, v26, v8
	s_delay_alu instid0(VALU_DEP_4) | instskip(NEXT) | instid1(VALU_DEP_4)
	v_bfe_u32 v37, v36, 21, 1
	v_and_b32_e32 v13, v27, v13
	s_delay_alu instid0(VALU_DEP_2) | instskip(NEXT) | instid1(VALU_DEP_2)
	v_add_nc_u32_e32 v27, -1, v37
	v_cmp_eq_u32_e64 s13, v13, v38
	s_delay_alu instid0(VALU_DEP_1) | instskip(SKIP_2) | instid1(VALU_DEP_2)
	v_cndmask_b32_e64 v13, 0, v27, s13
	v_lshrrev_b32_e32 v27, 23, v36
	s_mov_b32 s13, exec_lo
	v_add_nc_u32_e32 v13, v13, v36
	s_delay_alu instid0(VALU_DEP_2) | instskip(NEXT) | instid1(VALU_DEP_2)
	v_xor_b32_e32 v27, 1, v27
	v_and_b32_e32 v8, 0x1fffff, v13
	s_delay_alu instid0(VALU_DEP_1) | instskip(NEXT) | instid1(VALU_DEP_3)
	v_add_nc_u32_e32 v13, v8, v36
                                        ; implicit-def: $vgpr8
	v_cmpx_ne_u32_e64 v26, v27
	s_xor_b32 s13, exec_lo, s13
; %bb.208:                              ;   in Loop: Header=BB6_144 Depth=3
	s_delay_alu instid0(VALU_DEP_2) | instskip(SKIP_2) | instid1(VALU_DEP_2)
	v_cmp_lt_u32_e32 vcc_lo, 0xffffff, v13
	v_sub_nc_u32_e32 v8, v26, v27
	v_cndmask_b32_e64 v26, 0, 1, vcc_lo
	v_add_co_ci_u32_e32 v8, vcc_lo, 0, v8, vcc_lo
	s_delay_alu instid0(VALU_DEP_2)
	v_lshrrev_b32_e32 v13, v26, v13
; %bb.209:                              ;   in Loop: Header=BB6_144 Depth=3
	s_and_not1_saveexec_b32 s13, s13
; %bb.210:                              ;   in Loop: Header=BB6_144 Depth=3
	s_delay_alu instid0(VALU_DEP_1)
	v_bfe_u32 v8, v13, 23, 1
; %bb.211:                              ;   in Loop: Header=BB6_144 Depth=3
	s_or_b32 exec_lo, exec_lo, s13
	v_lshrrev_b32_e32 v13, 21, v13
	s_delay_alu instid0(VALU_DEP_2) | instskip(SKIP_3) | instid1(VALU_DEP_3)
	v_cmp_gt_i32_e32 vcc_lo, 32, v8
	v_min_i32_e32 v26, 31, v8
	v_lshrrev_b32_e32 v2, 24, v2
	v_mov_b32_e32 v51, v128
	v_dual_cndmask_b32 v13, 3, v13 :: v_dual_lshlrev_b32 v26, 2, v26
	s_delay_alu instid0(VALU_DEP_3) | instskip(NEXT) | instid1(VALU_DEP_2)
	v_and_b32_e32 v2, 0x80, v2
	v_or_b32_e32 v8, v8, v13
	s_delay_alu instid0(VALU_DEP_3) | instskip(NEXT) | instid1(VALU_DEP_2)
	v_and_b32_e32 v26, 0xfc, v26
	v_cmp_ne_u32_e32 vcc_lo, 0, v8
	v_and_b32_e32 v27, 3, v13
	s_delay_alu instid0(VALU_DEP_1) | instskip(NEXT) | instid1(VALU_DEP_1)
	v_or3_b32 v2, v26, v2, v27
	v_cndmask_b32_e32 v2, 0, v2, vcc_lo
	scratch_store_b32 off, v2, s33 offset:344 ; 4-byte Folded Spill
.LBB6_212:                              ;   in Loop: Header=BB6_144 Depth=3
	s_or_b32 exec_lo, exec_lo, s36
.LBB6_213:                              ;   in Loop: Header=BB6_144 Depth=3
	s_delay_alu instid0(SALU_CYCLE_1) | instskip(SKIP_3) | instid1(VALU_DEP_1)
	s_or_b32 exec_lo, exec_lo, s35
	v_lshrrev_b16 v2, 8, v9
	s_mov_b32 s13, 0
	s_mov_b32 s36, exec_lo
                                        ; implicit-def: $sgpr35
	v_cmpx_lt_i16_e32 0x7f, v2
	s_xor_b32 s36, exec_lo, s36
	s_cbranch_execnz .LBB6_1707
; %bb.214:                              ;   in Loop: Header=BB6_144 Depth=3
	s_or_saveexec_b32 s36, s36
	v_mov_b32_e32 v8, s35
	s_xor_b32 exec_lo, exec_lo, s36
	s_cbranch_execnz .LBB6_1710
.LBB6_215:                              ;   in Loop: Header=BB6_144 Depth=3
	s_or_b32 exec_lo, exec_lo, s36
	s_and_saveexec_b32 s35, s13
	s_cbranch_execz .LBB6_217
.LBB6_216:                              ;   in Loop: Header=BB6_144 Depth=3
	v_and_b32_e32 v8, 0xffff, v2
	v_lshlrev_b32_e32 v2, 24, v2
	s_delay_alu instid0(VALU_DEP_2) | instskip(NEXT) | instid1(VALU_DEP_2)
	v_and_b32_e32 v13, 3, v8
	v_and_b32_e32 v2, 0x80000000, v2
	s_delay_alu instid0(VALU_DEP_2) | instskip(NEXT) | instid1(VALU_DEP_1)
	v_clz_i32_u32_e32 v26, v13
	v_min_u32_e32 v26, 32, v26
	s_delay_alu instid0(VALU_DEP_1) | instskip(SKIP_1) | instid1(VALU_DEP_2)
	v_subrev_nc_u32_e32 v27, 29, v26
	v_sub_nc_u32_e32 v26, 30, v26
	v_lshlrev_b32_e32 v27, v27, v8
	v_bfe_u32 v8, v8, 2, 5
	s_delay_alu instid0(VALU_DEP_2) | instskip(NEXT) | instid1(VALU_DEP_2)
	v_and_b32_e32 v27, 3, v27
	v_cmp_eq_u32_e32 vcc_lo, 0, v8
	s_delay_alu instid0(VALU_DEP_2) | instskip(NEXT) | instid1(VALU_DEP_1)
	v_dual_cndmask_b32 v8, v8, v26 :: v_dual_cndmask_b32 v13, v13, v27
	v_lshl_add_u32 v8, v8, 23, 0x37800000
	s_delay_alu instid0(VALU_DEP_2) | instskip(NEXT) | instid1(VALU_DEP_1)
	v_lshlrev_b32_e32 v13, 21, v13
	v_or3_b32 v8, v2, v8, v13
.LBB6_217:                              ;   in Loop: Header=BB6_144 Depth=3
	s_or_b32 exec_lo, exec_lo, s35
	s_delay_alu instid0(VALU_DEP_1) | instskip(NEXT) | instid1(VALU_DEP_1)
	v_mul_f32_e32 v2, s34, v8
	v_and_b32_e32 v8, 0x7f800000, v2
	s_delay_alu instid0(VALU_DEP_1)
	v_cmp_ne_u32_e32 vcc_lo, 0x7f800000, v8
	v_mov_b32_e32 v8, 0x8000
	s_and_saveexec_b32 s35, vcc_lo
	s_cbranch_execz .LBB6_225
; %bb.218:                              ;   in Loop: Header=BB6_144 Depth=3
	v_mov_b32_e32 v8, 0
	s_mov_b32 s36, exec_lo
	v_cmpx_ne_u32_e32 0, v2
	s_cbranch_execz .LBB6_224
; %bb.219:                              ;   in Loop: Header=BB6_144 Depth=3
	v_bfe_u32 v8, v2, 23, 8
	v_and_b32_e32 v13, 0x7fffff, v2
	s_delay_alu instid0(VALU_DEP_2) | instskip(SKIP_1) | instid1(VALU_DEP_3)
	v_sub_nc_u32_e32 v26, 0x70, v8
	v_cmp_gt_u32_e32 vcc_lo, 0x71, v8
	v_or_b32_e32 v27, 0x800000, v13
	s_delay_alu instid0(VALU_DEP_3) | instskip(SKIP_1) | instid1(VALU_DEP_3)
	v_cndmask_b32_e32 v26, 0, v26, vcc_lo
	v_cmp_eq_u32_e32 vcc_lo, 0, v8
	v_dual_cndmask_b32 v13, v27, v13 :: v_dual_add_nc_u32 v8, 0xffffff91, v8
	s_delay_alu instid0(VALU_DEP_3) | instskip(NEXT) | instid1(VALU_DEP_2)
	v_cndmask_b32_e64 v26, v26, 0x6f, vcc_lo
	v_cndmask_b32_e64 v8, v8, 0xffffff92, vcc_lo
	s_delay_alu instid0(VALU_DEP_2) | instskip(SKIP_2) | instid1(VALU_DEP_4)
	v_lshrrev_b32_e32 v36, v26, v13
	v_lshl_add_u32 v27, 0x200000, v26, -1
	v_lshlrev_b32_e64 v38, v26, 0x100000
	v_add_nc_u32_e32 v26, v26, v8
	s_delay_alu instid0(VALU_DEP_4) | instskip(NEXT) | instid1(VALU_DEP_4)
	v_bfe_u32 v37, v36, 21, 1
	v_and_b32_e32 v13, v27, v13
	s_delay_alu instid0(VALU_DEP_2) | instskip(NEXT) | instid1(VALU_DEP_2)
	v_add_nc_u32_e32 v27, -1, v37
	v_cmp_eq_u32_e64 s13, v13, v38
	s_delay_alu instid0(VALU_DEP_1) | instskip(SKIP_2) | instid1(VALU_DEP_2)
	v_cndmask_b32_e64 v13, 0, v27, s13
	v_lshrrev_b32_e32 v27, 23, v36
	s_mov_b32 s13, exec_lo
	v_add_nc_u32_e32 v13, v13, v36
	s_delay_alu instid0(VALU_DEP_2) | instskip(NEXT) | instid1(VALU_DEP_2)
	v_xor_b32_e32 v27, 1, v27
	v_and_b32_e32 v8, 0x1fffff, v13
	s_delay_alu instid0(VALU_DEP_1) | instskip(NEXT) | instid1(VALU_DEP_3)
	v_add_nc_u32_e32 v13, v8, v36
                                        ; implicit-def: $vgpr8
	v_cmpx_ne_u32_e64 v26, v27
	s_xor_b32 s13, exec_lo, s13
; %bb.220:                              ;   in Loop: Header=BB6_144 Depth=3
	s_delay_alu instid0(VALU_DEP_2) | instskip(SKIP_2) | instid1(VALU_DEP_2)
	v_cmp_lt_u32_e32 vcc_lo, 0xffffff, v13
	v_sub_nc_u32_e32 v8, v26, v27
	v_cndmask_b32_e64 v26, 0, 1, vcc_lo
	v_add_co_ci_u32_e32 v8, vcc_lo, 0, v8, vcc_lo
	s_delay_alu instid0(VALU_DEP_2)
	v_lshrrev_b32_e32 v13, v26, v13
; %bb.221:                              ;   in Loop: Header=BB6_144 Depth=3
	s_and_not1_saveexec_b32 s13, s13
; %bb.222:                              ;   in Loop: Header=BB6_144 Depth=3
	s_delay_alu instid0(VALU_DEP_1)
	v_bfe_u32 v8, v13, 23, 1
; %bb.223:                              ;   in Loop: Header=BB6_144 Depth=3
	s_or_b32 exec_lo, exec_lo, s13
	v_lshrrev_b32_e32 v13, 21, v13
	s_delay_alu instid0(VALU_DEP_2) | instskip(SKIP_3) | instid1(VALU_DEP_3)
	v_cmp_gt_i32_e32 vcc_lo, 32, v8
	v_min_i32_e32 v26, 31, v8
	v_lshrrev_b32_e32 v2, 24, v2
	v_mov_b32_e32 v51, v128
	v_dual_cndmask_b32 v13, 3, v13 :: v_dual_lshlrev_b32 v26, 2, v26
	s_delay_alu instid0(VALU_DEP_3) | instskip(NEXT) | instid1(VALU_DEP_2)
	v_and_b32_e32 v2, 0x80, v2
	v_or_b32_e32 v8, v8, v13
	s_delay_alu instid0(VALU_DEP_3) | instskip(NEXT) | instid1(VALU_DEP_2)
	v_and_b32_e32 v26, 0xfc, v26
	v_cmp_ne_u32_e32 vcc_lo, 0, v8
	v_and_b32_e32 v27, 3, v13
	s_delay_alu instid0(VALU_DEP_1) | instskip(NEXT) | instid1(VALU_DEP_1)
	v_or3_b32 v2, v2, v26, v27
	v_lshlrev_b32_e32 v2, 8, v2
	s_delay_alu instid0(VALU_DEP_1)
	v_cndmask_b32_e32 v8, 0, v2, vcc_lo
.LBB6_224:                              ;   in Loop: Header=BB6_144 Depth=3
	s_or_b32 exec_lo, exec_lo, s36
.LBB6_225:                              ;   in Loop: Header=BB6_144 Depth=3
	s_delay_alu instid0(SALU_CYCLE_1)
	s_or_b32 exec_lo, exec_lo, s35
	v_lshrrev_b32_e32 v2, 16, v9
	s_mov_b32 s13, 0
	s_mov_b32 s36, exec_lo
	scratch_store_b32 off, v8, s33 offset:420 ; 4-byte Folded Spill
                                        ; implicit-def: $sgpr35
	v_and_b32_e32 v13, 0xff, v2
	s_delay_alu instid0(VALU_DEP_1)
	v_cmpx_lt_i16_e32 0x7f, v13
	s_xor_b32 s36, exec_lo, s36
	s_cbranch_execnz .LBB6_1711
; %bb.226:                              ;   in Loop: Header=BB6_144 Depth=3
	s_or_saveexec_b32 s36, s36
	v_mov_b32_e32 v8, s35
	s_xor_b32 exec_lo, exec_lo, s36
	s_cbranch_execnz .LBB6_1714
.LBB6_227:                              ;   in Loop: Header=BB6_144 Depth=3
	s_or_b32 exec_lo, exec_lo, s36
	s_and_saveexec_b32 s35, s13
	s_cbranch_execz .LBB6_229
.LBB6_228:                              ;   in Loop: Header=BB6_144 Depth=3
	v_bfe_u32 v8, v9, 16, 2
	s_delay_alu instid0(VALU_DEP_1) | instskip(NEXT) | instid1(VALU_DEP_1)
	v_clz_i32_u32_e32 v13, v8
	v_min_u32_e32 v13, 32, v13
	s_delay_alu instid0(VALU_DEP_1) | instskip(SKIP_1) | instid1(VALU_DEP_2)
	v_subrev_nc_u32_e32 v26, 29, v13
	v_sub_nc_u32_e32 v13, 30, v13
	v_lshlrev_b32_e32 v2, v26, v2
	v_bfe_u32 v26, v9, 18, 5
	s_delay_alu instid0(VALU_DEP_1) | instskip(NEXT) | instid1(VALU_DEP_3)
	v_cmp_eq_u32_e32 vcc_lo, 0, v26
	v_dual_cndmask_b32 v13, v26, v13 :: v_dual_and_b32 v2, 3, v2
	s_delay_alu instid0(VALU_DEP_1) | instskip(NEXT) | instid1(VALU_DEP_2)
	v_dual_cndmask_b32 v2, v8, v2 :: v_dual_lshlrev_b32 v27, 8, v9
	v_lshl_add_u32 v13, v13, 23, 0x37800000
	s_delay_alu instid0(VALU_DEP_2) | instskip(NEXT) | instid1(VALU_DEP_3)
	v_and_b32_e32 v8, 0x80000000, v27
	v_lshlrev_b32_e32 v2, 21, v2
	s_delay_alu instid0(VALU_DEP_1)
	v_or3_b32 v8, v8, v13, v2
.LBB6_229:                              ;   in Loop: Header=BB6_144 Depth=3
	s_or_b32 exec_lo, exec_lo, s35
	s_delay_alu instid0(VALU_DEP_1) | instskip(NEXT) | instid1(VALU_DEP_1)
	v_mul_f32_e32 v2, s34, v8
	v_and_b32_e32 v8, 0x7f800000, v2
	s_delay_alu instid0(VALU_DEP_1)
	v_cmp_ne_u32_e32 vcc_lo, 0x7f800000, v8
	v_mov_b32_e32 v8, 0x80
	scratch_store_b32 off, v8, s33 offset:348 ; 4-byte Folded Spill
	s_and_saveexec_b32 s35, vcc_lo
	s_cbranch_execz .LBB6_237
; %bb.230:                              ;   in Loop: Header=BB6_144 Depth=3
	v_mov_b32_e32 v8, 0
	s_mov_b32 s36, exec_lo
	scratch_store_b32 off, v8, s33 offset:348 ; 4-byte Folded Spill
	v_cmpx_ne_u32_e32 0, v2
	s_cbranch_execz .LBB6_236
; %bb.231:                              ;   in Loop: Header=BB6_144 Depth=3
	v_bfe_u32 v8, v2, 23, 8
	v_and_b32_e32 v13, 0x7fffff, v2
	s_delay_alu instid0(VALU_DEP_2) | instskip(SKIP_1) | instid1(VALU_DEP_3)
	v_sub_nc_u32_e32 v26, 0x70, v8
	v_cmp_gt_u32_e32 vcc_lo, 0x71, v8
	v_or_b32_e32 v27, 0x800000, v13
	s_delay_alu instid0(VALU_DEP_3) | instskip(SKIP_1) | instid1(VALU_DEP_3)
	v_cndmask_b32_e32 v26, 0, v26, vcc_lo
	v_cmp_eq_u32_e32 vcc_lo, 0, v8
	v_dual_cndmask_b32 v13, v27, v13 :: v_dual_add_nc_u32 v8, 0xffffff91, v8
	s_delay_alu instid0(VALU_DEP_3) | instskip(NEXT) | instid1(VALU_DEP_2)
	v_cndmask_b32_e64 v26, v26, 0x6f, vcc_lo
	v_cndmask_b32_e64 v8, v8, 0xffffff92, vcc_lo
	s_delay_alu instid0(VALU_DEP_2) | instskip(SKIP_2) | instid1(VALU_DEP_4)
	v_lshrrev_b32_e32 v36, v26, v13
	v_lshl_add_u32 v27, 0x200000, v26, -1
	v_lshlrev_b32_e64 v38, v26, 0x100000
	v_add_nc_u32_e32 v26, v26, v8
	s_delay_alu instid0(VALU_DEP_4) | instskip(NEXT) | instid1(VALU_DEP_4)
	v_bfe_u32 v37, v36, 21, 1
	v_and_b32_e32 v13, v27, v13
	s_delay_alu instid0(VALU_DEP_2) | instskip(NEXT) | instid1(VALU_DEP_2)
	v_add_nc_u32_e32 v27, -1, v37
	v_cmp_eq_u32_e64 s13, v13, v38
	s_delay_alu instid0(VALU_DEP_1) | instskip(SKIP_2) | instid1(VALU_DEP_2)
	v_cndmask_b32_e64 v13, 0, v27, s13
	v_lshrrev_b32_e32 v27, 23, v36
	s_mov_b32 s13, exec_lo
	v_add_nc_u32_e32 v13, v13, v36
	s_delay_alu instid0(VALU_DEP_2) | instskip(NEXT) | instid1(VALU_DEP_2)
	v_xor_b32_e32 v27, 1, v27
	v_and_b32_e32 v8, 0x1fffff, v13
	s_delay_alu instid0(VALU_DEP_1) | instskip(NEXT) | instid1(VALU_DEP_3)
	v_add_nc_u32_e32 v13, v8, v36
                                        ; implicit-def: $vgpr8
	v_cmpx_ne_u32_e64 v26, v27
	s_xor_b32 s13, exec_lo, s13
; %bb.232:                              ;   in Loop: Header=BB6_144 Depth=3
	s_delay_alu instid0(VALU_DEP_2) | instskip(SKIP_2) | instid1(VALU_DEP_2)
	v_cmp_lt_u32_e32 vcc_lo, 0xffffff, v13
	v_sub_nc_u32_e32 v8, v26, v27
	v_cndmask_b32_e64 v26, 0, 1, vcc_lo
	v_add_co_ci_u32_e32 v8, vcc_lo, 0, v8, vcc_lo
	s_delay_alu instid0(VALU_DEP_2)
	v_lshrrev_b32_e32 v13, v26, v13
; %bb.233:                              ;   in Loop: Header=BB6_144 Depth=3
	s_and_not1_saveexec_b32 s13, s13
; %bb.234:                              ;   in Loop: Header=BB6_144 Depth=3
	s_delay_alu instid0(VALU_DEP_1)
	v_bfe_u32 v8, v13, 23, 1
; %bb.235:                              ;   in Loop: Header=BB6_144 Depth=3
	s_or_b32 exec_lo, exec_lo, s13
	v_lshrrev_b32_e32 v13, 21, v13
	s_delay_alu instid0(VALU_DEP_2) | instskip(SKIP_3) | instid1(VALU_DEP_3)
	v_cmp_gt_i32_e32 vcc_lo, 32, v8
	v_min_i32_e32 v26, 31, v8
	v_lshrrev_b32_e32 v2, 24, v2
	v_mov_b32_e32 v51, v128
	v_dual_cndmask_b32 v13, 3, v13 :: v_dual_lshlrev_b32 v26, 2, v26
	s_delay_alu instid0(VALU_DEP_3) | instskip(NEXT) | instid1(VALU_DEP_2)
	v_and_b32_e32 v2, 0x80, v2
	v_or_b32_e32 v8, v8, v13
	s_delay_alu instid0(VALU_DEP_3) | instskip(NEXT) | instid1(VALU_DEP_2)
	v_and_b32_e32 v26, 0xfc, v26
	v_cmp_ne_u32_e32 vcc_lo, 0, v8
	v_and_b32_e32 v27, 3, v13
	s_delay_alu instid0(VALU_DEP_1) | instskip(NEXT) | instid1(VALU_DEP_1)
	v_or3_b32 v2, v26, v2, v27
	v_cndmask_b32_e32 v2, 0, v2, vcc_lo
	scratch_store_b32 off, v2, s33 offset:348 ; 4-byte Folded Spill
.LBB6_236:                              ;   in Loop: Header=BB6_144 Depth=3
	s_or_b32 exec_lo, exec_lo, s36
.LBB6_237:                              ;   in Loop: Header=BB6_144 Depth=3
	s_delay_alu instid0(SALU_CYCLE_1) | instskip(SKIP_3) | instid1(VALU_DEP_1)
	s_or_b32 exec_lo, exec_lo, s35
	v_lshrrev_b32_e32 v2, 24, v9
	s_mov_b32 s13, 0
	s_mov_b32 s36, exec_lo
                                        ; implicit-def: $sgpr35
	v_cmpx_lt_i16_e32 0x7f, v2
	s_xor_b32 s36, exec_lo, s36
	s_cbranch_execnz .LBB6_1715
; %bb.238:                              ;   in Loop: Header=BB6_144 Depth=3
	s_or_saveexec_b32 s36, s36
	v_mov_b32_e32 v8, s35
	s_xor_b32 exec_lo, exec_lo, s36
	s_cbranch_execnz .LBB6_1718
.LBB6_239:                              ;   in Loop: Header=BB6_144 Depth=3
	s_or_b32 exec_lo, exec_lo, s36
	s_and_saveexec_b32 s35, s13
	s_cbranch_execz .LBB6_241
.LBB6_240:                              ;   in Loop: Header=BB6_144 Depth=3
	v_bfe_u32 v8, v9, 24, 2
	s_delay_alu instid0(VALU_DEP_1) | instskip(NEXT) | instid1(VALU_DEP_1)
	v_clz_i32_u32_e32 v13, v8
	v_min_u32_e32 v13, 32, v13
	s_delay_alu instid0(VALU_DEP_1) | instskip(SKIP_1) | instid1(VALU_DEP_2)
	v_subrev_nc_u32_e32 v26, 29, v13
	v_sub_nc_u32_e32 v13, 30, v13
	v_lshlrev_b32_e32 v2, v26, v2
	v_bfe_u32 v26, v9, 26, 5
	s_delay_alu instid0(VALU_DEP_1) | instskip(NEXT) | instid1(VALU_DEP_3)
	v_cmp_eq_u32_e32 vcc_lo, 0, v26
	v_dual_cndmask_b32 v13, v26, v13 :: v_dual_and_b32 v2, 3, v2
	s_delay_alu instid0(VALU_DEP_1) | instskip(SKIP_1) | instid1(VALU_DEP_3)
	v_cndmask_b32_e32 v2, v8, v2, vcc_lo
	v_and_b32_e32 v8, 0x80000000, v9
	v_lshl_add_u32 v9, v13, 23, 0x37800000
	s_delay_alu instid0(VALU_DEP_3) | instskip(NEXT) | instid1(VALU_DEP_1)
	v_lshlrev_b32_e32 v2, 21, v2
	v_or3_b32 v8, v8, v9, v2
.LBB6_241:                              ;   in Loop: Header=BB6_144 Depth=3
	s_or_b32 exec_lo, exec_lo, s35
	s_delay_alu instid0(VALU_DEP_1) | instskip(NEXT) | instid1(VALU_DEP_1)
	v_mul_f32_e32 v2, s34, v8
	v_and_b32_e32 v8, 0x7f800000, v2
	s_delay_alu instid0(VALU_DEP_1)
	v_cmp_ne_u32_e32 vcc_lo, 0x7f800000, v8
	v_mov_b32_e32 v8, 0x8000
	s_and_saveexec_b32 s35, vcc_lo
	s_cbranch_execz .LBB6_249
; %bb.242:                              ;   in Loop: Header=BB6_144 Depth=3
	v_mov_b32_e32 v8, 0
	s_mov_b32 s36, exec_lo
	v_cmpx_ne_u32_e32 0, v2
	s_cbranch_execz .LBB6_248
; %bb.243:                              ;   in Loop: Header=BB6_144 Depth=3
	v_bfe_u32 v8, v2, 23, 8
	v_and_b32_e32 v9, 0x7fffff, v2
	s_delay_alu instid0(VALU_DEP_2) | instskip(SKIP_1) | instid1(VALU_DEP_3)
	v_sub_nc_u32_e32 v13, 0x70, v8
	v_cmp_gt_u32_e32 vcc_lo, 0x71, v8
	v_or_b32_e32 v26, 0x800000, v9
	s_delay_alu instid0(VALU_DEP_3) | instskip(SKIP_2) | instid1(VALU_DEP_3)
	v_cndmask_b32_e32 v13, 0, v13, vcc_lo
	v_cmp_eq_u32_e32 vcc_lo, 0, v8
	v_add_nc_u32_e32 v8, 0xffffff91, v8
	v_cndmask_b32_e64 v13, v13, 0x6f, vcc_lo
	v_cndmask_b32_e32 v9, v26, v9, vcc_lo
	s_delay_alu instid0(VALU_DEP_3) | instskip(NEXT) | instid1(VALU_DEP_3)
	v_cndmask_b32_e64 v8, v8, 0xffffff92, vcc_lo
	v_lshl_add_u32 v26, 0x200000, v13, -1
	s_delay_alu instid0(VALU_DEP_3) | instskip(SKIP_1) | instid1(VALU_DEP_4)
	v_lshrrev_b32_e32 v27, v13, v9
	v_lshlrev_b32_e64 v37, v13, 0x100000
	v_add_nc_u32_e32 v13, v13, v8
	s_delay_alu instid0(VALU_DEP_4) | instskip(NEXT) | instid1(VALU_DEP_4)
	v_and_b32_e32 v9, v26, v9
	v_bfe_u32 v36, v27, 21, 1
	s_delay_alu instid0(VALU_DEP_2) | instskip(NEXT) | instid1(VALU_DEP_2)
	v_cmp_eq_u32_e64 s13, v9, v37
	v_add_nc_u32_e32 v26, -1, v36
	s_delay_alu instid0(VALU_DEP_1) | instskip(SKIP_2) | instid1(VALU_DEP_2)
	v_cndmask_b32_e64 v9, 0, v26, s13
	v_lshrrev_b32_e32 v26, 23, v27
	s_mov_b32 s13, exec_lo
	v_add_nc_u32_e32 v9, v9, v27
	s_delay_alu instid0(VALU_DEP_2) | instskip(NEXT) | instid1(VALU_DEP_2)
	v_xor_b32_e32 v26, 1, v26
	v_and_b32_e32 v8, 0x1fffff, v9
	s_delay_alu instid0(VALU_DEP_1) | instskip(NEXT) | instid1(VALU_DEP_3)
	v_add_nc_u32_e32 v9, v8, v27
                                        ; implicit-def: $vgpr8
	v_cmpx_ne_u32_e64 v13, v26
	s_xor_b32 s13, exec_lo, s13
; %bb.244:                              ;   in Loop: Header=BB6_144 Depth=3
	s_delay_alu instid0(VALU_DEP_2) | instskip(SKIP_2) | instid1(VALU_DEP_2)
	v_cmp_lt_u32_e32 vcc_lo, 0xffffff, v9
	v_sub_nc_u32_e32 v8, v13, v26
	v_cndmask_b32_e64 v13, 0, 1, vcc_lo
	v_add_co_ci_u32_e32 v8, vcc_lo, 0, v8, vcc_lo
	s_delay_alu instid0(VALU_DEP_2)
	v_lshrrev_b32_e32 v9, v13, v9
; %bb.245:                              ;   in Loop: Header=BB6_144 Depth=3
	s_and_not1_saveexec_b32 s13, s13
; %bb.246:                              ;   in Loop: Header=BB6_144 Depth=3
	s_delay_alu instid0(VALU_DEP_1)
	v_bfe_u32 v8, v9, 23, 1
; %bb.247:                              ;   in Loop: Header=BB6_144 Depth=3
	s_or_b32 exec_lo, exec_lo, s13
	v_lshrrev_b32_e32 v9, 21, v9
	s_delay_alu instid0(VALU_DEP_2) | instskip(SKIP_3) | instid1(VALU_DEP_3)
	v_cmp_gt_i32_e32 vcc_lo, 32, v8
	v_lshrrev_b32_e32 v2, 24, v2
	v_min_i32_e32 v13, 31, v8
	v_mov_b32_e32 v51, v128
	v_dual_cndmask_b32 v9, 3, v9 :: v_dual_and_b32 v2, 0x80, v2
	s_delay_alu instid0(VALU_DEP_1) | instskip(SKIP_1) | instid1(VALU_DEP_2)
	v_or_b32_e32 v8, v8, v9
	v_and_b32_e32 v26, 3, v9
	v_cmp_ne_u32_e32 vcc_lo, 0, v8
	v_lshlrev_b32_e32 v13, 2, v13
	s_delay_alu instid0(VALU_DEP_1) | instskip(NEXT) | instid1(VALU_DEP_1)
	v_and_b32_e32 v13, 0xfc, v13
	v_or3_b32 v2, v2, v13, v26
	s_delay_alu instid0(VALU_DEP_1) | instskip(NEXT) | instid1(VALU_DEP_1)
	v_lshlrev_b32_e32 v2, 8, v2
	v_cndmask_b32_e32 v8, 0, v2, vcc_lo
.LBB6_248:                              ;   in Loop: Header=BB6_144 Depth=3
	s_or_b32 exec_lo, exec_lo, s36
.LBB6_249:                              ;   in Loop: Header=BB6_144 Depth=3
	s_delay_alu instid0(SALU_CYCLE_1) | instskip(SKIP_4) | instid1(VALU_DEP_1)
	s_or_b32 exec_lo, exec_lo, s35
	scratch_store_b32 off, v8, s33 offset:424 ; 4-byte Folded Spill
	v_and_b32_e32 v8, 0xff, v10
	s_mov_b32 s13, 0
	s_mov_b32 s36, exec_lo
                                        ; implicit-def: $sgpr35
	v_cmpx_lt_i16_e32 0x7f, v8
	s_xor_b32 s36, exec_lo, s36
	s_cbranch_execnz .LBB6_1719
; %bb.250:                              ;   in Loop: Header=BB6_144 Depth=3
	s_or_saveexec_b32 s36, s36
	v_mov_b32_e32 v2, s35
	s_xor_b32 exec_lo, exec_lo, s36
	s_cbranch_execnz .LBB6_1722
.LBB6_251:                              ;   in Loop: Header=BB6_144 Depth=3
	s_or_b32 exec_lo, exec_lo, s36
	s_and_saveexec_b32 s35, s13
	s_cbranch_execz .LBB6_253
.LBB6_252:                              ;   in Loop: Header=BB6_144 Depth=3
	v_and_b32_e32 v2, 3, v10
	v_bfe_u32 v13, v10, 2, 5
	v_lshlrev_b32_e32 v26, 24, v10
	s_delay_alu instid0(VALU_DEP_3) | instskip(NEXT) | instid1(VALU_DEP_3)
	v_clz_i32_u32_e32 v8, v2
	v_cmp_eq_u32_e32 vcc_lo, 0, v13
	s_delay_alu instid0(VALU_DEP_2) | instskip(NEXT) | instid1(VALU_DEP_1)
	v_min_u32_e32 v8, 32, v8
	v_subrev_nc_u32_e32 v9, 29, v8
	v_sub_nc_u32_e32 v8, 30, v8
	s_delay_alu instid0(VALU_DEP_2) | instskip(NEXT) | instid1(VALU_DEP_1)
	v_lshlrev_b32_e32 v9, v9, v10
	v_dual_cndmask_b32 v8, v13, v8 :: v_dual_and_b32 v9, 3, v9
	s_delay_alu instid0(VALU_DEP_1) | instskip(NEXT) | instid1(VALU_DEP_2)
	v_lshl_add_u32 v8, v8, 23, 0x37800000
	v_dual_cndmask_b32 v2, v2, v9 :: v_dual_and_b32 v9, 0x80000000, v26
	s_delay_alu instid0(VALU_DEP_1) | instskip(NEXT) | instid1(VALU_DEP_1)
	v_lshlrev_b32_e32 v2, 21, v2
	v_or3_b32 v2, v9, v8, v2
.LBB6_253:                              ;   in Loop: Header=BB6_144 Depth=3
	s_or_b32 exec_lo, exec_lo, s35
	s_delay_alu instid0(VALU_DEP_1) | instskip(NEXT) | instid1(VALU_DEP_1)
	v_mul_f32_e32 v2, s34, v2
	v_and_b32_e32 v8, 0x7f800000, v2
	s_delay_alu instid0(VALU_DEP_1)
	v_cmp_ne_u32_e32 vcc_lo, 0x7f800000, v8
	v_mov_b32_e32 v8, 0x80
	scratch_store_b32 off, v8, s33 offset:352 ; 4-byte Folded Spill
	s_and_saveexec_b32 s35, vcc_lo
	s_cbranch_execz .LBB6_261
; %bb.254:                              ;   in Loop: Header=BB6_144 Depth=3
	v_mov_b32_e32 v8, 0
	s_mov_b32 s36, exec_lo
	scratch_store_b32 off, v8, s33 offset:352 ; 4-byte Folded Spill
	v_cmpx_ne_u32_e32 0, v2
	s_cbranch_execz .LBB6_260
; %bb.255:                              ;   in Loop: Header=BB6_144 Depth=3
	v_bfe_u32 v8, v2, 23, 8
	v_and_b32_e32 v9, 0x7fffff, v2
	s_delay_alu instid0(VALU_DEP_2) | instskip(SKIP_1) | instid1(VALU_DEP_3)
	v_sub_nc_u32_e32 v13, 0x70, v8
	v_cmp_gt_u32_e32 vcc_lo, 0x71, v8
	v_or_b32_e32 v26, 0x800000, v9
	s_delay_alu instid0(VALU_DEP_3) | instskip(SKIP_2) | instid1(VALU_DEP_3)
	v_cndmask_b32_e32 v13, 0, v13, vcc_lo
	v_cmp_eq_u32_e32 vcc_lo, 0, v8
	v_add_nc_u32_e32 v8, 0xffffff91, v8
	v_cndmask_b32_e64 v13, v13, 0x6f, vcc_lo
	v_cndmask_b32_e32 v9, v26, v9, vcc_lo
	s_delay_alu instid0(VALU_DEP_3) | instskip(NEXT) | instid1(VALU_DEP_3)
	v_cndmask_b32_e64 v8, v8, 0xffffff92, vcc_lo
	v_lshl_add_u32 v26, 0x200000, v13, -1
	s_delay_alu instid0(VALU_DEP_3) | instskip(SKIP_1) | instid1(VALU_DEP_4)
	v_lshrrev_b32_e32 v27, v13, v9
	v_lshlrev_b32_e64 v37, v13, 0x100000
	v_add_nc_u32_e32 v13, v13, v8
	s_delay_alu instid0(VALU_DEP_4) | instskip(NEXT) | instid1(VALU_DEP_4)
	v_and_b32_e32 v9, v26, v9
	v_bfe_u32 v36, v27, 21, 1
	s_delay_alu instid0(VALU_DEP_2) | instskip(NEXT) | instid1(VALU_DEP_2)
	v_cmp_eq_u32_e64 s13, v9, v37
	v_add_nc_u32_e32 v26, -1, v36
	s_delay_alu instid0(VALU_DEP_1) | instskip(SKIP_2) | instid1(VALU_DEP_2)
	v_cndmask_b32_e64 v9, 0, v26, s13
	v_lshrrev_b32_e32 v26, 23, v27
	s_mov_b32 s13, exec_lo
	v_add_nc_u32_e32 v9, v9, v27
	s_delay_alu instid0(VALU_DEP_2) | instskip(NEXT) | instid1(VALU_DEP_2)
	v_xor_b32_e32 v26, 1, v26
	v_and_b32_e32 v8, 0x1fffff, v9
	s_delay_alu instid0(VALU_DEP_1) | instskip(NEXT) | instid1(VALU_DEP_3)
	v_add_nc_u32_e32 v9, v8, v27
                                        ; implicit-def: $vgpr8
	v_cmpx_ne_u32_e64 v13, v26
	s_xor_b32 s13, exec_lo, s13
; %bb.256:                              ;   in Loop: Header=BB6_144 Depth=3
	s_delay_alu instid0(VALU_DEP_2) | instskip(SKIP_2) | instid1(VALU_DEP_2)
	v_cmp_lt_u32_e32 vcc_lo, 0xffffff, v9
	v_sub_nc_u32_e32 v8, v13, v26
	v_cndmask_b32_e64 v13, 0, 1, vcc_lo
	v_add_co_ci_u32_e32 v8, vcc_lo, 0, v8, vcc_lo
	s_delay_alu instid0(VALU_DEP_2)
	v_lshrrev_b32_e32 v9, v13, v9
; %bb.257:                              ;   in Loop: Header=BB6_144 Depth=3
	s_and_not1_saveexec_b32 s13, s13
; %bb.258:                              ;   in Loop: Header=BB6_144 Depth=3
	s_delay_alu instid0(VALU_DEP_1)
	v_bfe_u32 v8, v9, 23, 1
; %bb.259:                              ;   in Loop: Header=BB6_144 Depth=3
	s_or_b32 exec_lo, exec_lo, s13
	v_lshrrev_b32_e32 v9, 21, v9
	s_delay_alu instid0(VALU_DEP_2) | instskip(SKIP_3) | instid1(VALU_DEP_3)
	v_cmp_gt_i32_e32 vcc_lo, 32, v8
	v_lshrrev_b32_e32 v2, 24, v2
	v_min_i32_e32 v13, 31, v8
	v_mov_b32_e32 v51, v128
	v_dual_cndmask_b32 v9, 3, v9 :: v_dual_and_b32 v2, 0x80, v2
	s_delay_alu instid0(VALU_DEP_1) | instskip(SKIP_1) | instid1(VALU_DEP_2)
	v_or_b32_e32 v8, v8, v9
	v_and_b32_e32 v26, 3, v9
	v_cmp_ne_u32_e32 vcc_lo, 0, v8
	v_lshlrev_b32_e32 v13, 2, v13
	s_delay_alu instid0(VALU_DEP_1) | instskip(NEXT) | instid1(VALU_DEP_1)
	v_or3_b32 v2, v13, v2, v26
	v_cndmask_b32_e32 v2, 0, v2, vcc_lo
	scratch_store_b32 off, v2, s33 offset:352 ; 4-byte Folded Spill
.LBB6_260:                              ;   in Loop: Header=BB6_144 Depth=3
	s_or_b32 exec_lo, exec_lo, s36
.LBB6_261:                              ;   in Loop: Header=BB6_144 Depth=3
	s_delay_alu instid0(SALU_CYCLE_1) | instskip(SKIP_3) | instid1(VALU_DEP_1)
	s_or_b32 exec_lo, exec_lo, s35
	v_lshrrev_b16 v2, 8, v10
	s_mov_b32 s13, 0
	s_mov_b32 s36, exec_lo
                                        ; implicit-def: $sgpr35
	v_cmpx_lt_i16_e32 0x7f, v2
	s_xor_b32 s36, exec_lo, s36
	s_cbranch_execnz .LBB6_1723
; %bb.262:                              ;   in Loop: Header=BB6_144 Depth=3
	s_or_saveexec_b32 s36, s36
	v_mov_b32_e32 v8, s35
	s_xor_b32 exec_lo, exec_lo, s36
	s_cbranch_execnz .LBB6_1726
.LBB6_263:                              ;   in Loop: Header=BB6_144 Depth=3
	s_or_b32 exec_lo, exec_lo, s36
	s_and_saveexec_b32 s35, s13
	s_cbranch_execz .LBB6_265
.LBB6_264:                              ;   in Loop: Header=BB6_144 Depth=3
	v_and_b32_e32 v8, 0xffff, v2
	v_lshlrev_b32_e32 v2, 24, v2
	s_delay_alu instid0(VALU_DEP_2) | instskip(NEXT) | instid1(VALU_DEP_2)
	v_and_b32_e32 v9, 3, v8
	v_and_b32_e32 v2, 0x80000000, v2
	s_delay_alu instid0(VALU_DEP_2) | instskip(NEXT) | instid1(VALU_DEP_1)
	v_clz_i32_u32_e32 v13, v9
	v_min_u32_e32 v13, 32, v13
	s_delay_alu instid0(VALU_DEP_1) | instskip(SKIP_1) | instid1(VALU_DEP_2)
	v_subrev_nc_u32_e32 v26, 29, v13
	v_sub_nc_u32_e32 v13, 30, v13
	v_lshlrev_b32_e32 v26, v26, v8
	v_bfe_u32 v8, v8, 2, 5
	s_delay_alu instid0(VALU_DEP_2) | instskip(NEXT) | instid1(VALU_DEP_2)
	v_and_b32_e32 v26, 3, v26
	v_cmp_eq_u32_e32 vcc_lo, 0, v8
	s_delay_alu instid0(VALU_DEP_2) | instskip(NEXT) | instid1(VALU_DEP_1)
	v_dual_cndmask_b32 v8, v8, v13 :: v_dual_cndmask_b32 v9, v9, v26
	v_lshl_add_u32 v8, v8, 23, 0x37800000
	s_delay_alu instid0(VALU_DEP_2) | instskip(NEXT) | instid1(VALU_DEP_1)
	v_lshlrev_b32_e32 v9, 21, v9
	v_or3_b32 v8, v2, v8, v9
.LBB6_265:                              ;   in Loop: Header=BB6_144 Depth=3
	s_or_b32 exec_lo, exec_lo, s35
	s_delay_alu instid0(VALU_DEP_1) | instskip(NEXT) | instid1(VALU_DEP_1)
	v_mul_f32_e32 v2, s34, v8
	v_and_b32_e32 v8, 0x7f800000, v2
	s_delay_alu instid0(VALU_DEP_1)
	v_cmp_ne_u32_e32 vcc_lo, 0x7f800000, v8
	v_mov_b32_e32 v8, 0x80
	s_and_saveexec_b32 s35, vcc_lo
	s_cbranch_execz .LBB6_273
; %bb.266:                              ;   in Loop: Header=BB6_144 Depth=3
	v_mov_b32_e32 v8, 0
	s_mov_b32 s36, exec_lo
	v_cmpx_ne_u32_e32 0, v2
	s_cbranch_execz .LBB6_272
; %bb.267:                              ;   in Loop: Header=BB6_144 Depth=3
	v_bfe_u32 v8, v2, 23, 8
	v_and_b32_e32 v9, 0x7fffff, v2
	s_delay_alu instid0(VALU_DEP_2) | instskip(SKIP_1) | instid1(VALU_DEP_3)
	v_sub_nc_u32_e32 v13, 0x70, v8
	v_cmp_gt_u32_e32 vcc_lo, 0x71, v8
	v_or_b32_e32 v26, 0x800000, v9
	s_delay_alu instid0(VALU_DEP_3) | instskip(SKIP_2) | instid1(VALU_DEP_3)
	v_cndmask_b32_e32 v13, 0, v13, vcc_lo
	v_cmp_eq_u32_e32 vcc_lo, 0, v8
	v_add_nc_u32_e32 v8, 0xffffff91, v8
	v_cndmask_b32_e64 v13, v13, 0x6f, vcc_lo
	v_cndmask_b32_e32 v9, v26, v9, vcc_lo
	s_delay_alu instid0(VALU_DEP_3) | instskip(NEXT) | instid1(VALU_DEP_3)
	v_cndmask_b32_e64 v8, v8, 0xffffff92, vcc_lo
	v_lshl_add_u32 v26, 0x200000, v13, -1
	s_delay_alu instid0(VALU_DEP_3) | instskip(SKIP_1) | instid1(VALU_DEP_4)
	v_lshrrev_b32_e32 v27, v13, v9
	v_lshlrev_b32_e64 v37, v13, 0x100000
	v_add_nc_u32_e32 v13, v13, v8
	s_delay_alu instid0(VALU_DEP_4) | instskip(NEXT) | instid1(VALU_DEP_4)
	v_and_b32_e32 v9, v26, v9
	v_bfe_u32 v36, v27, 21, 1
	s_delay_alu instid0(VALU_DEP_2) | instskip(NEXT) | instid1(VALU_DEP_2)
	v_cmp_eq_u32_e64 s13, v9, v37
	v_add_nc_u32_e32 v26, -1, v36
	s_delay_alu instid0(VALU_DEP_1) | instskip(SKIP_2) | instid1(VALU_DEP_2)
	v_cndmask_b32_e64 v9, 0, v26, s13
	v_lshrrev_b32_e32 v26, 23, v27
	s_mov_b32 s13, exec_lo
	v_add_nc_u32_e32 v9, v9, v27
	s_delay_alu instid0(VALU_DEP_2) | instskip(NEXT) | instid1(VALU_DEP_2)
	v_xor_b32_e32 v26, 1, v26
	v_and_b32_e32 v8, 0x1fffff, v9
	s_delay_alu instid0(VALU_DEP_1) | instskip(NEXT) | instid1(VALU_DEP_3)
	v_add_nc_u32_e32 v9, v8, v27
                                        ; implicit-def: $vgpr8
	v_cmpx_ne_u32_e64 v13, v26
	s_xor_b32 s13, exec_lo, s13
; %bb.268:                              ;   in Loop: Header=BB6_144 Depth=3
	s_delay_alu instid0(VALU_DEP_2) | instskip(SKIP_2) | instid1(VALU_DEP_2)
	v_cmp_lt_u32_e32 vcc_lo, 0xffffff, v9
	v_sub_nc_u32_e32 v8, v13, v26
	v_cndmask_b32_e64 v13, 0, 1, vcc_lo
	v_add_co_ci_u32_e32 v8, vcc_lo, 0, v8, vcc_lo
	s_delay_alu instid0(VALU_DEP_2)
	v_lshrrev_b32_e32 v9, v13, v9
; %bb.269:                              ;   in Loop: Header=BB6_144 Depth=3
	s_and_not1_saveexec_b32 s13, s13
; %bb.270:                              ;   in Loop: Header=BB6_144 Depth=3
	s_delay_alu instid0(VALU_DEP_1)
	v_bfe_u32 v8, v9, 23, 1
; %bb.271:                              ;   in Loop: Header=BB6_144 Depth=3
	s_or_b32 exec_lo, exec_lo, s13
	v_lshrrev_b32_e32 v9, 21, v9
	s_delay_alu instid0(VALU_DEP_2) | instskip(SKIP_3) | instid1(VALU_DEP_3)
	v_cmp_gt_i32_e32 vcc_lo, 32, v8
	v_lshrrev_b32_e32 v2, 24, v2
	v_min_i32_e32 v13, 31, v8
	v_mov_b32_e32 v51, v128
	v_dual_cndmask_b32 v9, 3, v9 :: v_dual_and_b32 v2, 0x80, v2
	s_delay_alu instid0(VALU_DEP_1) | instskip(SKIP_1) | instid1(VALU_DEP_2)
	v_or_b32_e32 v8, v8, v9
	v_and_b32_e32 v26, 3, v9
	v_cmp_ne_u32_e32 vcc_lo, 0, v8
	v_lshlrev_b32_e32 v13, 2, v13
	s_delay_alu instid0(VALU_DEP_1) | instskip(NEXT) | instid1(VALU_DEP_1)
	v_or3_b32 v2, v13, v2, v26
	v_cndmask_b32_e32 v8, 0, v2, vcc_lo
.LBB6_272:                              ;   in Loop: Header=BB6_144 Depth=3
	s_or_b32 exec_lo, exec_lo, s36
.LBB6_273:                              ;   in Loop: Header=BB6_144 Depth=3
	s_delay_alu instid0(SALU_CYCLE_1)
	s_or_b32 exec_lo, exec_lo, s35
	v_lshrrev_b32_e32 v2, 16, v10
	s_mov_b32 s13, 0
	s_mov_b32 s36, exec_lo
	scratch_store_b32 off, v8, s33 offset:428 ; 4-byte Folded Spill
                                        ; implicit-def: $sgpr35
	v_and_b32_e32 v9, 0xff, v2
	s_delay_alu instid0(VALU_DEP_1)
	v_cmpx_lt_i16_e32 0x7f, v9
	s_xor_b32 s36, exec_lo, s36
	s_cbranch_execnz .LBB6_1727
; %bb.274:                              ;   in Loop: Header=BB6_144 Depth=3
	s_or_saveexec_b32 s36, s36
	v_mov_b32_e32 v8, s35
	s_xor_b32 exec_lo, exec_lo, s36
	s_cbranch_execnz .LBB6_1730
.LBB6_275:                              ;   in Loop: Header=BB6_144 Depth=3
	s_or_b32 exec_lo, exec_lo, s36
	s_and_saveexec_b32 s35, s13
	s_cbranch_execz .LBB6_277
.LBB6_276:                              ;   in Loop: Header=BB6_144 Depth=3
	v_bfe_u32 v8, v10, 16, 2
	v_lshlrev_b32_e32 v26, 8, v10
	s_delay_alu instid0(VALU_DEP_2) | instskip(NEXT) | instid1(VALU_DEP_1)
	v_clz_i32_u32_e32 v9, v8
	v_min_u32_e32 v9, 32, v9
	s_delay_alu instid0(VALU_DEP_1) | instskip(SKIP_1) | instid1(VALU_DEP_2)
	v_subrev_nc_u32_e32 v13, 29, v9
	v_sub_nc_u32_e32 v9, 30, v9
	v_lshlrev_b32_e32 v2, v13, v2
	v_bfe_u32 v13, v10, 18, 5
	s_delay_alu instid0(VALU_DEP_1) | instskip(NEXT) | instid1(VALU_DEP_3)
	v_cmp_eq_u32_e32 vcc_lo, 0, v13
	v_dual_cndmask_b32 v9, v13, v9 :: v_dual_and_b32 v2, 3, v2
	s_delay_alu instid0(VALU_DEP_1) | instskip(SKIP_1) | instid1(VALU_DEP_3)
	v_cndmask_b32_e32 v2, v8, v2, vcc_lo
	v_and_b32_e32 v8, 0x80000000, v26
	v_lshl_add_u32 v9, v9, 23, 0x37800000
	s_delay_alu instid0(VALU_DEP_3) | instskip(NEXT) | instid1(VALU_DEP_1)
	v_lshlrev_b32_e32 v2, 21, v2
	v_or3_b32 v8, v8, v9, v2
.LBB6_277:                              ;   in Loop: Header=BB6_144 Depth=3
	s_or_b32 exec_lo, exec_lo, s35
	s_delay_alu instid0(VALU_DEP_1) | instskip(NEXT) | instid1(VALU_DEP_1)
	v_mul_f32_e32 v2, s34, v8
	v_and_b32_e32 v8, 0x7f800000, v2
	s_delay_alu instid0(VALU_DEP_1)
	v_cmp_ne_u32_e32 vcc_lo, 0x7f800000, v8
	v_mov_b32_e32 v8, 0x80
	scratch_store_b32 off, v8, s33 offset:356 ; 4-byte Folded Spill
	s_and_saveexec_b32 s35, vcc_lo
	s_cbranch_execz .LBB6_285
; %bb.278:                              ;   in Loop: Header=BB6_144 Depth=3
	v_mov_b32_e32 v8, 0
	s_mov_b32 s36, exec_lo
	scratch_store_b32 off, v8, s33 offset:356 ; 4-byte Folded Spill
	v_cmpx_ne_u32_e32 0, v2
	s_cbranch_execz .LBB6_284
; %bb.279:                              ;   in Loop: Header=BB6_144 Depth=3
	v_bfe_u32 v8, v2, 23, 8
	v_and_b32_e32 v9, 0x7fffff, v2
	s_delay_alu instid0(VALU_DEP_2) | instskip(SKIP_1) | instid1(VALU_DEP_3)
	v_sub_nc_u32_e32 v13, 0x70, v8
	v_cmp_gt_u32_e32 vcc_lo, 0x71, v8
	v_or_b32_e32 v26, 0x800000, v9
	s_delay_alu instid0(VALU_DEP_3) | instskip(SKIP_2) | instid1(VALU_DEP_3)
	v_cndmask_b32_e32 v13, 0, v13, vcc_lo
	v_cmp_eq_u32_e32 vcc_lo, 0, v8
	v_add_nc_u32_e32 v8, 0xffffff91, v8
	v_cndmask_b32_e64 v13, v13, 0x6f, vcc_lo
	v_cndmask_b32_e32 v9, v26, v9, vcc_lo
	s_delay_alu instid0(VALU_DEP_3) | instskip(NEXT) | instid1(VALU_DEP_3)
	v_cndmask_b32_e64 v8, v8, 0xffffff92, vcc_lo
	v_lshl_add_u32 v26, 0x200000, v13, -1
	s_delay_alu instid0(VALU_DEP_3) | instskip(SKIP_1) | instid1(VALU_DEP_4)
	v_lshrrev_b32_e32 v27, v13, v9
	v_lshlrev_b32_e64 v37, v13, 0x100000
	v_add_nc_u32_e32 v13, v13, v8
	s_delay_alu instid0(VALU_DEP_4) | instskip(NEXT) | instid1(VALU_DEP_4)
	v_and_b32_e32 v9, v26, v9
	v_bfe_u32 v36, v27, 21, 1
	s_delay_alu instid0(VALU_DEP_2) | instskip(NEXT) | instid1(VALU_DEP_2)
	v_cmp_eq_u32_e64 s13, v9, v37
	v_add_nc_u32_e32 v26, -1, v36
	s_delay_alu instid0(VALU_DEP_1) | instskip(SKIP_2) | instid1(VALU_DEP_2)
	v_cndmask_b32_e64 v9, 0, v26, s13
	v_lshrrev_b32_e32 v26, 23, v27
	s_mov_b32 s13, exec_lo
	v_add_nc_u32_e32 v9, v9, v27
	s_delay_alu instid0(VALU_DEP_2) | instskip(NEXT) | instid1(VALU_DEP_2)
	v_xor_b32_e32 v26, 1, v26
	v_and_b32_e32 v8, 0x1fffff, v9
	s_delay_alu instid0(VALU_DEP_1) | instskip(NEXT) | instid1(VALU_DEP_3)
	v_add_nc_u32_e32 v9, v8, v27
                                        ; implicit-def: $vgpr8
	v_cmpx_ne_u32_e64 v13, v26
	s_xor_b32 s13, exec_lo, s13
; %bb.280:                              ;   in Loop: Header=BB6_144 Depth=3
	s_delay_alu instid0(VALU_DEP_2) | instskip(SKIP_2) | instid1(VALU_DEP_2)
	v_cmp_lt_u32_e32 vcc_lo, 0xffffff, v9
	v_sub_nc_u32_e32 v8, v13, v26
	v_cndmask_b32_e64 v13, 0, 1, vcc_lo
	v_add_co_ci_u32_e32 v8, vcc_lo, 0, v8, vcc_lo
	s_delay_alu instid0(VALU_DEP_2)
	v_lshrrev_b32_e32 v9, v13, v9
; %bb.281:                              ;   in Loop: Header=BB6_144 Depth=3
	s_and_not1_saveexec_b32 s13, s13
; %bb.282:                              ;   in Loop: Header=BB6_144 Depth=3
	s_delay_alu instid0(VALU_DEP_1)
	v_bfe_u32 v8, v9, 23, 1
; %bb.283:                              ;   in Loop: Header=BB6_144 Depth=3
	s_or_b32 exec_lo, exec_lo, s13
	v_lshrrev_b32_e32 v9, 21, v9
	s_delay_alu instid0(VALU_DEP_2) | instskip(SKIP_3) | instid1(VALU_DEP_3)
	v_cmp_gt_i32_e32 vcc_lo, 32, v8
	v_lshrrev_b32_e32 v2, 24, v2
	v_min_i32_e32 v13, 31, v8
	v_mov_b32_e32 v51, v128
	v_dual_cndmask_b32 v9, 3, v9 :: v_dual_and_b32 v2, 0x80, v2
	s_delay_alu instid0(VALU_DEP_1) | instskip(SKIP_1) | instid1(VALU_DEP_2)
	v_or_b32_e32 v8, v8, v9
	v_and_b32_e32 v26, 3, v9
	v_cmp_ne_u32_e32 vcc_lo, 0, v8
	v_lshlrev_b32_e32 v13, 2, v13
	s_delay_alu instid0(VALU_DEP_1) | instskip(NEXT) | instid1(VALU_DEP_1)
	v_or3_b32 v2, v13, v2, v26
	v_cndmask_b32_e32 v2, 0, v2, vcc_lo
	scratch_store_b32 off, v2, s33 offset:356 ; 4-byte Folded Spill
.LBB6_284:                              ;   in Loop: Header=BB6_144 Depth=3
	s_or_b32 exec_lo, exec_lo, s36
.LBB6_285:                              ;   in Loop: Header=BB6_144 Depth=3
	s_delay_alu instid0(SALU_CYCLE_1) | instskip(SKIP_3) | instid1(VALU_DEP_1)
	s_or_b32 exec_lo, exec_lo, s35
	v_lshrrev_b32_e32 v2, 24, v10
	s_mov_b32 s13, 0
	s_mov_b32 s36, exec_lo
                                        ; implicit-def: $sgpr35
	v_cmpx_lt_i16_e32 0x7f, v2
	s_xor_b32 s36, exec_lo, s36
	s_cbranch_execnz .LBB6_1731
; %bb.286:                              ;   in Loop: Header=BB6_144 Depth=3
	s_or_saveexec_b32 s36, s36
	v_mov_b32_e32 v8, s35
	s_xor_b32 exec_lo, exec_lo, s36
	s_cbranch_execnz .LBB6_1734
.LBB6_287:                              ;   in Loop: Header=BB6_144 Depth=3
	s_or_b32 exec_lo, exec_lo, s36
	s_and_saveexec_b32 s35, s13
	s_cbranch_execz .LBB6_289
.LBB6_288:                              ;   in Loop: Header=BB6_144 Depth=3
	v_bfe_u32 v8, v10, 24, 2
	s_delay_alu instid0(VALU_DEP_1) | instskip(NEXT) | instid1(VALU_DEP_1)
	v_clz_i32_u32_e32 v9, v8
	v_min_u32_e32 v9, 32, v9
	s_delay_alu instid0(VALU_DEP_1) | instskip(SKIP_1) | instid1(VALU_DEP_2)
	v_subrev_nc_u32_e32 v13, 29, v9
	v_sub_nc_u32_e32 v9, 30, v9
	v_lshlrev_b32_e32 v2, v13, v2
	v_bfe_u32 v13, v10, 26, 5
	s_delay_alu instid0(VALU_DEP_1) | instskip(NEXT) | instid1(VALU_DEP_3)
	v_cmp_eq_u32_e32 vcc_lo, 0, v13
	v_dual_cndmask_b32 v9, v13, v9 :: v_dual_and_b32 v2, 3, v2
	s_delay_alu instid0(VALU_DEP_1) | instskip(SKIP_1) | instid1(VALU_DEP_3)
	v_cndmask_b32_e32 v2, v8, v2, vcc_lo
	v_and_b32_e32 v8, 0x80000000, v10
	v_lshl_add_u32 v9, v9, 23, 0x37800000
	s_delay_alu instid0(VALU_DEP_3) | instskip(NEXT) | instid1(VALU_DEP_1)
	v_lshlrev_b32_e32 v2, 21, v2
	v_or3_b32 v8, v8, v9, v2
.LBB6_289:                              ;   in Loop: Header=BB6_144 Depth=3
	s_or_b32 exec_lo, exec_lo, s35
	s_delay_alu instid0(VALU_DEP_1) | instskip(NEXT) | instid1(VALU_DEP_1)
	v_mul_f32_e32 v2, s34, v8
	v_and_b32_e32 v8, 0x7f800000, v2
	s_delay_alu instid0(VALU_DEP_1)
	v_cmp_ne_u32_e32 vcc_lo, 0x7f800000, v8
	v_mov_b32_e32 v8, 0x80
	s_and_saveexec_b32 s35, vcc_lo
	s_cbranch_execz .LBB6_297
; %bb.290:                              ;   in Loop: Header=BB6_144 Depth=3
	v_mov_b32_e32 v8, 0
	s_mov_b32 s36, exec_lo
	v_cmpx_ne_u32_e32 0, v2
	s_cbranch_execz .LBB6_296
; %bb.291:                              ;   in Loop: Header=BB6_144 Depth=3
	v_bfe_u32 v8, v2, 23, 8
	v_and_b32_e32 v9, 0x7fffff, v2
	s_delay_alu instid0(VALU_DEP_2) | instskip(SKIP_1) | instid1(VALU_DEP_3)
	v_sub_nc_u32_e32 v10, 0x70, v8
	v_cmp_gt_u32_e32 vcc_lo, 0x71, v8
	v_or_b32_e32 v13, 0x800000, v9
	s_delay_alu instid0(VALU_DEP_3) | instskip(SKIP_1) | instid1(VALU_DEP_3)
	v_cndmask_b32_e32 v10, 0, v10, vcc_lo
	v_cmp_eq_u32_e32 vcc_lo, 0, v8
	v_dual_cndmask_b32 v9, v13, v9 :: v_dual_add_nc_u32 v8, 0xffffff91, v8
	s_delay_alu instid0(VALU_DEP_3) | instskip(NEXT) | instid1(VALU_DEP_2)
	v_cndmask_b32_e64 v10, v10, 0x6f, vcc_lo
	v_cndmask_b32_e64 v8, v8, 0xffffff92, vcc_lo
	s_delay_alu instid0(VALU_DEP_2) | instskip(SKIP_2) | instid1(VALU_DEP_4)
	v_lshrrev_b32_e32 v26, v10, v9
	v_lshl_add_u32 v13, 0x200000, v10, -1
	v_lshlrev_b32_e64 v36, v10, 0x100000
	v_add_nc_u32_e32 v10, v10, v8
	s_delay_alu instid0(VALU_DEP_4) | instskip(NEXT) | instid1(VALU_DEP_4)
	v_bfe_u32 v27, v26, 21, 1
	v_and_b32_e32 v9, v13, v9
	s_delay_alu instid0(VALU_DEP_2) | instskip(NEXT) | instid1(VALU_DEP_2)
	v_add_nc_u32_e32 v13, -1, v27
	v_cmp_eq_u32_e64 s13, v9, v36
	s_delay_alu instid0(VALU_DEP_1) | instskip(SKIP_2) | instid1(VALU_DEP_2)
	v_cndmask_b32_e64 v9, 0, v13, s13
	v_lshrrev_b32_e32 v13, 23, v26
	s_mov_b32 s13, exec_lo
	v_add_nc_u32_e32 v9, v9, v26
	s_delay_alu instid0(VALU_DEP_2) | instskip(NEXT) | instid1(VALU_DEP_2)
	v_xor_b32_e32 v13, 1, v13
	v_and_b32_e32 v8, 0x1fffff, v9
	s_delay_alu instid0(VALU_DEP_1) | instskip(NEXT) | instid1(VALU_DEP_3)
	v_add_nc_u32_e32 v9, v8, v26
                                        ; implicit-def: $vgpr8
	v_cmpx_ne_u32_e64 v10, v13
	s_xor_b32 s13, exec_lo, s13
; %bb.292:                              ;   in Loop: Header=BB6_144 Depth=3
	s_delay_alu instid0(VALU_DEP_2) | instskip(SKIP_2) | instid1(VALU_DEP_2)
	v_cmp_lt_u32_e32 vcc_lo, 0xffffff, v9
	v_sub_nc_u32_e32 v8, v10, v13
	v_cndmask_b32_e64 v10, 0, 1, vcc_lo
	v_add_co_ci_u32_e32 v8, vcc_lo, 0, v8, vcc_lo
	s_delay_alu instid0(VALU_DEP_2)
	v_lshrrev_b32_e32 v9, v10, v9
; %bb.293:                              ;   in Loop: Header=BB6_144 Depth=3
	s_and_not1_saveexec_b32 s13, s13
; %bb.294:                              ;   in Loop: Header=BB6_144 Depth=3
	s_delay_alu instid0(VALU_DEP_1)
	v_bfe_u32 v8, v9, 23, 1
; %bb.295:                              ;   in Loop: Header=BB6_144 Depth=3
	s_or_b32 exec_lo, exec_lo, s13
	v_lshrrev_b32_e32 v9, 21, v9
	s_delay_alu instid0(VALU_DEP_2) | instskip(SKIP_3) | instid1(VALU_DEP_3)
	v_cmp_gt_i32_e32 vcc_lo, 32, v8
	v_lshrrev_b32_e32 v2, 24, v2
	v_min_i32_e32 v10, 31, v8
	v_mov_b32_e32 v51, v128
	v_dual_cndmask_b32 v9, 3, v9 :: v_dual_and_b32 v2, 0x80, v2
	s_delay_alu instid0(VALU_DEP_3) | instskip(NEXT) | instid1(VALU_DEP_2)
	v_lshlrev_b32_e32 v10, 2, v10
	v_or_b32_e32 v8, v8, v9
	s_delay_alu instid0(VALU_DEP_1) | instskip(SKIP_1) | instid1(VALU_DEP_1)
	v_cmp_ne_u32_e32 vcc_lo, 0, v8
	v_and_b32_e32 v13, 3, v9
	v_or3_b32 v2, v10, v2, v13
	s_delay_alu instid0(VALU_DEP_1)
	v_cndmask_b32_e32 v8, 0, v2, vcc_lo
.LBB6_296:                              ;   in Loop: Header=BB6_144 Depth=3
	s_or_b32 exec_lo, exec_lo, s36
.LBB6_297:                              ;   in Loop: Header=BB6_144 Depth=3
	s_delay_alu instid0(SALU_CYCLE_1) | instskip(SKIP_4) | instid1(VALU_DEP_1)
	s_or_b32 exec_lo, exec_lo, s35
	scratch_store_b32 off, v8, s33 offset:432 ; 4-byte Folded Spill
	v_and_b32_e32 v8, 0xff, v11
	s_mov_b32 s13, 0
	s_mov_b32 s36, exec_lo
                                        ; implicit-def: $sgpr35
	v_cmpx_lt_i16_e32 0x7f, v8
	s_xor_b32 s36, exec_lo, s36
	s_cbranch_execnz .LBB6_1735
; %bb.298:                              ;   in Loop: Header=BB6_144 Depth=3
	s_or_saveexec_b32 s36, s36
	v_mov_b32_e32 v2, s35
	s_xor_b32 exec_lo, exec_lo, s36
	s_cbranch_execnz .LBB6_1738
.LBB6_299:                              ;   in Loop: Header=BB6_144 Depth=3
	s_or_b32 exec_lo, exec_lo, s36
	s_and_saveexec_b32 s35, s13
	s_cbranch_execz .LBB6_301
.LBB6_300:                              ;   in Loop: Header=BB6_144 Depth=3
	v_and_b32_e32 v2, 3, v11
	v_bfe_u32 v10, v11, 2, 5
	s_delay_alu instid0(VALU_DEP_2) | instskip(NEXT) | instid1(VALU_DEP_2)
	v_clz_i32_u32_e32 v8, v2
	v_cmp_eq_u32_e32 vcc_lo, 0, v10
	s_delay_alu instid0(VALU_DEP_2) | instskip(NEXT) | instid1(VALU_DEP_1)
	v_min_u32_e32 v8, 32, v8
	v_subrev_nc_u32_e32 v9, 29, v8
	v_sub_nc_u32_e32 v8, 30, v8
	s_delay_alu instid0(VALU_DEP_1) | instskip(NEXT) | instid1(VALU_DEP_1)
	v_dual_cndmask_b32 v8, v10, v8 :: v_dual_lshlrev_b32 v9, v9, v11
	v_and_b32_e32 v9, 3, v9
	v_lshlrev_b32_e32 v13, 24, v11
	s_delay_alu instid0(VALU_DEP_3) | instskip(NEXT) | instid1(VALU_DEP_3)
	v_lshl_add_u32 v8, v8, 23, 0x37800000
	v_cndmask_b32_e32 v2, v2, v9, vcc_lo
	s_delay_alu instid0(VALU_DEP_3) | instskip(NEXT) | instid1(VALU_DEP_2)
	v_and_b32_e32 v9, 0x80000000, v13
	v_lshlrev_b32_e32 v2, 21, v2
	s_delay_alu instid0(VALU_DEP_1)
	v_or3_b32 v2, v9, v8, v2
.LBB6_301:                              ;   in Loop: Header=BB6_144 Depth=3
	s_or_b32 exec_lo, exec_lo, s35
	s_delay_alu instid0(VALU_DEP_1) | instskip(NEXT) | instid1(VALU_DEP_1)
	v_mul_f32_e32 v2, s34, v2
	v_and_b32_e32 v8, 0x7f800000, v2
	s_delay_alu instid0(VALU_DEP_1)
	v_cmp_ne_u32_e32 vcc_lo, 0x7f800000, v8
	v_mov_b32_e32 v8, 0x80
	scratch_store_b32 off, v8, s33 offset:360 ; 4-byte Folded Spill
	s_and_saveexec_b32 s35, vcc_lo
	s_cbranch_execz .LBB6_309
; %bb.302:                              ;   in Loop: Header=BB6_144 Depth=3
	v_mov_b32_e32 v8, 0
	s_mov_b32 s36, exec_lo
	scratch_store_b32 off, v8, s33 offset:360 ; 4-byte Folded Spill
	v_cmpx_ne_u32_e32 0, v2
	s_cbranch_execz .LBB6_308
; %bb.303:                              ;   in Loop: Header=BB6_144 Depth=3
	v_bfe_u32 v8, v2, 23, 8
	v_and_b32_e32 v9, 0x7fffff, v2
	s_delay_alu instid0(VALU_DEP_2) | instskip(SKIP_1) | instid1(VALU_DEP_3)
	v_sub_nc_u32_e32 v10, 0x70, v8
	v_cmp_gt_u32_e32 vcc_lo, 0x71, v8
	v_or_b32_e32 v13, 0x800000, v9
	s_delay_alu instid0(VALU_DEP_3) | instskip(SKIP_1) | instid1(VALU_DEP_3)
	v_cndmask_b32_e32 v10, 0, v10, vcc_lo
	v_cmp_eq_u32_e32 vcc_lo, 0, v8
	v_dual_cndmask_b32 v9, v13, v9 :: v_dual_add_nc_u32 v8, 0xffffff91, v8
	s_delay_alu instid0(VALU_DEP_3) | instskip(NEXT) | instid1(VALU_DEP_2)
	v_cndmask_b32_e64 v10, v10, 0x6f, vcc_lo
	v_cndmask_b32_e64 v8, v8, 0xffffff92, vcc_lo
	s_delay_alu instid0(VALU_DEP_2) | instskip(SKIP_2) | instid1(VALU_DEP_4)
	v_lshrrev_b32_e32 v26, v10, v9
	v_lshl_add_u32 v13, 0x200000, v10, -1
	v_lshlrev_b32_e64 v36, v10, 0x100000
	v_add_nc_u32_e32 v10, v10, v8
	s_delay_alu instid0(VALU_DEP_4) | instskip(NEXT) | instid1(VALU_DEP_4)
	v_bfe_u32 v27, v26, 21, 1
	v_and_b32_e32 v9, v13, v9
	s_delay_alu instid0(VALU_DEP_2) | instskip(NEXT) | instid1(VALU_DEP_2)
	v_add_nc_u32_e32 v13, -1, v27
	v_cmp_eq_u32_e64 s13, v9, v36
	s_delay_alu instid0(VALU_DEP_1) | instskip(SKIP_2) | instid1(VALU_DEP_2)
	v_cndmask_b32_e64 v9, 0, v13, s13
	v_lshrrev_b32_e32 v13, 23, v26
	s_mov_b32 s13, exec_lo
	v_add_nc_u32_e32 v9, v9, v26
	s_delay_alu instid0(VALU_DEP_2) | instskip(NEXT) | instid1(VALU_DEP_2)
	v_xor_b32_e32 v13, 1, v13
	v_and_b32_e32 v8, 0x1fffff, v9
	s_delay_alu instid0(VALU_DEP_1) | instskip(NEXT) | instid1(VALU_DEP_3)
	v_add_nc_u32_e32 v9, v8, v26
                                        ; implicit-def: $vgpr8
	v_cmpx_ne_u32_e64 v10, v13
	s_xor_b32 s13, exec_lo, s13
; %bb.304:                              ;   in Loop: Header=BB6_144 Depth=3
	s_delay_alu instid0(VALU_DEP_2) | instskip(SKIP_2) | instid1(VALU_DEP_2)
	v_cmp_lt_u32_e32 vcc_lo, 0xffffff, v9
	v_sub_nc_u32_e32 v8, v10, v13
	v_cndmask_b32_e64 v10, 0, 1, vcc_lo
	v_add_co_ci_u32_e32 v8, vcc_lo, 0, v8, vcc_lo
	s_delay_alu instid0(VALU_DEP_2)
	v_lshrrev_b32_e32 v9, v10, v9
; %bb.305:                              ;   in Loop: Header=BB6_144 Depth=3
	s_and_not1_saveexec_b32 s13, s13
; %bb.306:                              ;   in Loop: Header=BB6_144 Depth=3
	s_delay_alu instid0(VALU_DEP_1)
	v_bfe_u32 v8, v9, 23, 1
; %bb.307:                              ;   in Loop: Header=BB6_144 Depth=3
	s_or_b32 exec_lo, exec_lo, s13
	v_lshrrev_b32_e32 v9, 21, v9
	s_delay_alu instid0(VALU_DEP_2) | instskip(SKIP_3) | instid1(VALU_DEP_3)
	v_cmp_gt_i32_e32 vcc_lo, 32, v8
	v_min_i32_e32 v10, 31, v8
	v_lshrrev_b32_e32 v2, 24, v2
	v_mov_b32_e32 v51, v128
	v_dual_cndmask_b32 v9, 3, v9 :: v_dual_lshlrev_b32 v10, 2, v10
	s_delay_alu instid0(VALU_DEP_3) | instskip(NEXT) | instid1(VALU_DEP_2)
	v_and_b32_e32 v2, 0x80, v2
	v_or_b32_e32 v8, v8, v9
	s_delay_alu instid0(VALU_DEP_3) | instskip(NEXT) | instid1(VALU_DEP_2)
	v_and_b32_e32 v10, 0xfc, v10
	v_cmp_ne_u32_e32 vcc_lo, 0, v8
	v_and_b32_e32 v13, 3, v9
	s_delay_alu instid0(VALU_DEP_1) | instskip(NEXT) | instid1(VALU_DEP_1)
	v_or3_b32 v2, v10, v2, v13
	v_cndmask_b32_e32 v2, 0, v2, vcc_lo
	scratch_store_b32 off, v2, s33 offset:360 ; 4-byte Folded Spill
.LBB6_308:                              ;   in Loop: Header=BB6_144 Depth=3
	s_or_b32 exec_lo, exec_lo, s36
.LBB6_309:                              ;   in Loop: Header=BB6_144 Depth=3
	s_delay_alu instid0(SALU_CYCLE_1) | instskip(SKIP_3) | instid1(VALU_DEP_1)
	s_or_b32 exec_lo, exec_lo, s35
	v_lshrrev_b16 v2, 8, v11
	s_mov_b32 s13, 0
	s_mov_b32 s36, exec_lo
                                        ; implicit-def: $sgpr35
	v_cmpx_lt_i16_e32 0x7f, v2
	s_xor_b32 s36, exec_lo, s36
	s_cbranch_execnz .LBB6_1739
; %bb.310:                              ;   in Loop: Header=BB6_144 Depth=3
	s_or_saveexec_b32 s36, s36
	v_mov_b32_e32 v8, s35
	s_xor_b32 exec_lo, exec_lo, s36
	s_cbranch_execnz .LBB6_1742
.LBB6_311:                              ;   in Loop: Header=BB6_144 Depth=3
	s_or_b32 exec_lo, exec_lo, s36
	s_and_saveexec_b32 s35, s13
	s_cbranch_execz .LBB6_313
.LBB6_312:                              ;   in Loop: Header=BB6_144 Depth=3
	v_and_b32_e32 v8, 0xffff, v2
	v_lshlrev_b32_e32 v2, 24, v2
	s_delay_alu instid0(VALU_DEP_2) | instskip(NEXT) | instid1(VALU_DEP_2)
	v_and_b32_e32 v9, 3, v8
	v_and_b32_e32 v2, 0x80000000, v2
	s_delay_alu instid0(VALU_DEP_2) | instskip(NEXT) | instid1(VALU_DEP_1)
	v_clz_i32_u32_e32 v10, v9
	v_min_u32_e32 v10, 32, v10
	s_delay_alu instid0(VALU_DEP_1) | instskip(SKIP_1) | instid1(VALU_DEP_2)
	v_subrev_nc_u32_e32 v13, 29, v10
	v_sub_nc_u32_e32 v10, 30, v10
	v_lshlrev_b32_e32 v13, v13, v8
	v_bfe_u32 v8, v8, 2, 5
	s_delay_alu instid0(VALU_DEP_2) | instskip(NEXT) | instid1(VALU_DEP_2)
	v_and_b32_e32 v13, 3, v13
	v_cmp_eq_u32_e32 vcc_lo, 0, v8
	s_delay_alu instid0(VALU_DEP_2) | instskip(NEXT) | instid1(VALU_DEP_1)
	v_dual_cndmask_b32 v8, v8, v10 :: v_dual_cndmask_b32 v9, v9, v13
	v_lshl_add_u32 v8, v8, 23, 0x37800000
	s_delay_alu instid0(VALU_DEP_2) | instskip(NEXT) | instid1(VALU_DEP_1)
	v_lshlrev_b32_e32 v9, 21, v9
	v_or3_b32 v8, v2, v8, v9
.LBB6_313:                              ;   in Loop: Header=BB6_144 Depth=3
	s_or_b32 exec_lo, exec_lo, s35
	s_delay_alu instid0(VALU_DEP_1) | instskip(NEXT) | instid1(VALU_DEP_1)
	v_mul_f32_e32 v2, s34, v8
	v_and_b32_e32 v8, 0x7f800000, v2
	s_delay_alu instid0(VALU_DEP_1)
	v_cmp_ne_u32_e32 vcc_lo, 0x7f800000, v8
	v_mov_b32_e32 v8, 0x8000
	s_and_saveexec_b32 s35, vcc_lo
	s_cbranch_execz .LBB6_321
; %bb.314:                              ;   in Loop: Header=BB6_144 Depth=3
	v_mov_b32_e32 v8, 0
	s_mov_b32 s36, exec_lo
	v_cmpx_ne_u32_e32 0, v2
	s_cbranch_execz .LBB6_320
; %bb.315:                              ;   in Loop: Header=BB6_144 Depth=3
	v_bfe_u32 v8, v2, 23, 8
	v_and_b32_e32 v9, 0x7fffff, v2
	s_delay_alu instid0(VALU_DEP_2) | instskip(SKIP_1) | instid1(VALU_DEP_3)
	v_sub_nc_u32_e32 v10, 0x70, v8
	v_cmp_gt_u32_e32 vcc_lo, 0x71, v8
	v_or_b32_e32 v13, 0x800000, v9
	s_delay_alu instid0(VALU_DEP_3) | instskip(SKIP_1) | instid1(VALU_DEP_3)
	v_cndmask_b32_e32 v10, 0, v10, vcc_lo
	v_cmp_eq_u32_e32 vcc_lo, 0, v8
	v_dual_cndmask_b32 v9, v13, v9 :: v_dual_add_nc_u32 v8, 0xffffff91, v8
	s_delay_alu instid0(VALU_DEP_3) | instskip(NEXT) | instid1(VALU_DEP_2)
	v_cndmask_b32_e64 v10, v10, 0x6f, vcc_lo
	v_cndmask_b32_e64 v8, v8, 0xffffff92, vcc_lo
	s_delay_alu instid0(VALU_DEP_2) | instskip(SKIP_2) | instid1(VALU_DEP_4)
	v_lshrrev_b32_e32 v26, v10, v9
	v_lshl_add_u32 v13, 0x200000, v10, -1
	v_lshlrev_b32_e64 v36, v10, 0x100000
	v_add_nc_u32_e32 v10, v10, v8
	s_delay_alu instid0(VALU_DEP_4) | instskip(NEXT) | instid1(VALU_DEP_4)
	v_bfe_u32 v27, v26, 21, 1
	v_and_b32_e32 v9, v13, v9
	s_delay_alu instid0(VALU_DEP_2) | instskip(NEXT) | instid1(VALU_DEP_2)
	v_add_nc_u32_e32 v13, -1, v27
	v_cmp_eq_u32_e64 s13, v9, v36
	s_delay_alu instid0(VALU_DEP_1) | instskip(SKIP_2) | instid1(VALU_DEP_2)
	v_cndmask_b32_e64 v9, 0, v13, s13
	v_lshrrev_b32_e32 v13, 23, v26
	s_mov_b32 s13, exec_lo
	v_add_nc_u32_e32 v9, v9, v26
	s_delay_alu instid0(VALU_DEP_2) | instskip(NEXT) | instid1(VALU_DEP_2)
	v_xor_b32_e32 v13, 1, v13
	v_and_b32_e32 v8, 0x1fffff, v9
	s_delay_alu instid0(VALU_DEP_1) | instskip(NEXT) | instid1(VALU_DEP_3)
	v_add_nc_u32_e32 v9, v8, v26
                                        ; implicit-def: $vgpr8
	v_cmpx_ne_u32_e64 v10, v13
	s_xor_b32 s13, exec_lo, s13
; %bb.316:                              ;   in Loop: Header=BB6_144 Depth=3
	s_delay_alu instid0(VALU_DEP_2) | instskip(SKIP_2) | instid1(VALU_DEP_2)
	v_cmp_lt_u32_e32 vcc_lo, 0xffffff, v9
	v_sub_nc_u32_e32 v8, v10, v13
	v_cndmask_b32_e64 v10, 0, 1, vcc_lo
	v_add_co_ci_u32_e32 v8, vcc_lo, 0, v8, vcc_lo
	s_delay_alu instid0(VALU_DEP_2)
	v_lshrrev_b32_e32 v9, v10, v9
; %bb.317:                              ;   in Loop: Header=BB6_144 Depth=3
	s_and_not1_saveexec_b32 s13, s13
; %bb.318:                              ;   in Loop: Header=BB6_144 Depth=3
	s_delay_alu instid0(VALU_DEP_1)
	v_bfe_u32 v8, v9, 23, 1
; %bb.319:                              ;   in Loop: Header=BB6_144 Depth=3
	s_or_b32 exec_lo, exec_lo, s13
	v_lshrrev_b32_e32 v9, 21, v9
	s_delay_alu instid0(VALU_DEP_2) | instskip(SKIP_3) | instid1(VALU_DEP_3)
	v_cmp_gt_i32_e32 vcc_lo, 32, v8
	v_min_i32_e32 v10, 31, v8
	v_lshrrev_b32_e32 v2, 24, v2
	v_mov_b32_e32 v51, v128
	v_dual_cndmask_b32 v9, 3, v9 :: v_dual_lshlrev_b32 v10, 2, v10
	s_delay_alu instid0(VALU_DEP_3) | instskip(NEXT) | instid1(VALU_DEP_2)
	v_and_b32_e32 v2, 0x80, v2
	v_or_b32_e32 v8, v8, v9
	s_delay_alu instid0(VALU_DEP_3) | instskip(NEXT) | instid1(VALU_DEP_2)
	v_and_b32_e32 v10, 0xfc, v10
	v_cmp_ne_u32_e32 vcc_lo, 0, v8
	v_and_b32_e32 v13, 3, v9
	s_delay_alu instid0(VALU_DEP_1) | instskip(NEXT) | instid1(VALU_DEP_1)
	v_or3_b32 v2, v2, v10, v13
	v_lshlrev_b32_e32 v2, 8, v2
	s_delay_alu instid0(VALU_DEP_1)
	v_cndmask_b32_e32 v8, 0, v2, vcc_lo
.LBB6_320:                              ;   in Loop: Header=BB6_144 Depth=3
	s_or_b32 exec_lo, exec_lo, s36
.LBB6_321:                              ;   in Loop: Header=BB6_144 Depth=3
	s_delay_alu instid0(SALU_CYCLE_1)
	s_or_b32 exec_lo, exec_lo, s35
	v_lshrrev_b32_e32 v2, 16, v11
	s_mov_b32 s13, 0
	s_mov_b32 s36, exec_lo
	scratch_store_b32 off, v8, s33 offset:436 ; 4-byte Folded Spill
                                        ; implicit-def: $sgpr35
	v_and_b32_e32 v9, 0xff, v2
	s_delay_alu instid0(VALU_DEP_1)
	v_cmpx_lt_i16_e32 0x7f, v9
	s_xor_b32 s36, exec_lo, s36
	s_cbranch_execnz .LBB6_1743
; %bb.322:                              ;   in Loop: Header=BB6_144 Depth=3
	s_or_saveexec_b32 s36, s36
	v_mov_b32_e32 v8, s35
	s_xor_b32 exec_lo, exec_lo, s36
	s_cbranch_execnz .LBB6_1746
.LBB6_323:                              ;   in Loop: Header=BB6_144 Depth=3
	s_or_b32 exec_lo, exec_lo, s36
	s_and_saveexec_b32 s35, s13
	s_cbranch_execz .LBB6_325
.LBB6_324:                              ;   in Loop: Header=BB6_144 Depth=3
	v_bfe_u32 v8, v11, 16, 2
	s_delay_alu instid0(VALU_DEP_1) | instskip(NEXT) | instid1(VALU_DEP_1)
	v_clz_i32_u32_e32 v9, v8
	v_min_u32_e32 v9, 32, v9
	s_delay_alu instid0(VALU_DEP_1) | instskip(SKIP_1) | instid1(VALU_DEP_2)
	v_subrev_nc_u32_e32 v10, 29, v9
	v_sub_nc_u32_e32 v9, 30, v9
	v_lshlrev_b32_e32 v2, v10, v2
	v_bfe_u32 v10, v11, 18, 5
	s_delay_alu instid0(VALU_DEP_1) | instskip(NEXT) | instid1(VALU_DEP_3)
	v_cmp_eq_u32_e32 vcc_lo, 0, v10
	v_dual_cndmask_b32 v9, v10, v9 :: v_dual_and_b32 v2, 3, v2
	s_delay_alu instid0(VALU_DEP_1) | instskip(NEXT) | instid1(VALU_DEP_2)
	v_dual_cndmask_b32 v2, v8, v2 :: v_dual_lshlrev_b32 v13, 8, v11
	v_lshl_add_u32 v9, v9, 23, 0x37800000
	s_delay_alu instid0(VALU_DEP_2) | instskip(NEXT) | instid1(VALU_DEP_3)
	v_and_b32_e32 v8, 0x80000000, v13
	v_lshlrev_b32_e32 v2, 21, v2
	s_delay_alu instid0(VALU_DEP_1)
	v_or3_b32 v8, v8, v9, v2
.LBB6_325:                              ;   in Loop: Header=BB6_144 Depth=3
	s_or_b32 exec_lo, exec_lo, s35
	s_delay_alu instid0(VALU_DEP_1) | instskip(SKIP_1) | instid1(VALU_DEP_1)
	v_dual_mul_f32 v2, s34, v8 :: v_dual_mov_b32 v13, 0x80
	s_mov_b32 s35, exec_lo
	v_and_b32_e32 v8, 0x7f800000, v2
	s_delay_alu instid0(VALU_DEP_1)
	v_cmpx_ne_u32_e32 0x7f800000, v8
	s_cbranch_execz .LBB6_333
; %bb.326:                              ;   in Loop: Header=BB6_144 Depth=3
	v_mov_b32_e32 v13, 0
	s_mov_b32 s36, exec_lo
	v_cmpx_ne_u32_e32 0, v2
	s_cbranch_execz .LBB6_332
; %bb.327:                              ;   in Loop: Header=BB6_144 Depth=3
	v_bfe_u32 v8, v2, 23, 8
	v_and_b32_e32 v9, 0x7fffff, v2
	s_delay_alu instid0(VALU_DEP_2) | instskip(SKIP_1) | instid1(VALU_DEP_3)
	v_sub_nc_u32_e32 v10, 0x70, v8
	v_cmp_gt_u32_e32 vcc_lo, 0x71, v8
	v_or_b32_e32 v13, 0x800000, v9
	s_delay_alu instid0(VALU_DEP_3) | instskip(SKIP_1) | instid1(VALU_DEP_3)
	v_cndmask_b32_e32 v10, 0, v10, vcc_lo
	v_cmp_eq_u32_e32 vcc_lo, 0, v8
	v_dual_cndmask_b32 v9, v13, v9 :: v_dual_add_nc_u32 v8, 0xffffff91, v8
	s_delay_alu instid0(VALU_DEP_3) | instskip(NEXT) | instid1(VALU_DEP_2)
	v_cndmask_b32_e64 v10, v10, 0x6f, vcc_lo
	v_cndmask_b32_e64 v8, v8, 0xffffff92, vcc_lo
	s_delay_alu instid0(VALU_DEP_2) | instskip(SKIP_2) | instid1(VALU_DEP_4)
	v_lshrrev_b32_e32 v26, v10, v9
	v_lshl_add_u32 v13, 0x200000, v10, -1
	v_lshlrev_b32_e64 v36, v10, 0x100000
	v_add_nc_u32_e32 v10, v10, v8
	s_delay_alu instid0(VALU_DEP_4) | instskip(NEXT) | instid1(VALU_DEP_4)
	v_bfe_u32 v27, v26, 21, 1
	v_and_b32_e32 v9, v13, v9
	s_delay_alu instid0(VALU_DEP_2) | instskip(NEXT) | instid1(VALU_DEP_2)
	v_add_nc_u32_e32 v13, -1, v27
	v_cmp_eq_u32_e64 s13, v9, v36
	s_delay_alu instid0(VALU_DEP_1) | instskip(SKIP_2) | instid1(VALU_DEP_2)
	v_cndmask_b32_e64 v9, 0, v13, s13
	v_lshrrev_b32_e32 v13, 23, v26
	s_mov_b32 s13, exec_lo
	v_add_nc_u32_e32 v9, v9, v26
	s_delay_alu instid0(VALU_DEP_2) | instskip(NEXT) | instid1(VALU_DEP_2)
	v_xor_b32_e32 v13, 1, v13
	v_and_b32_e32 v8, 0x1fffff, v9
	s_delay_alu instid0(VALU_DEP_1) | instskip(NEXT) | instid1(VALU_DEP_3)
	v_add_nc_u32_e32 v9, v8, v26
                                        ; implicit-def: $vgpr8
	v_cmpx_ne_u32_e64 v10, v13
	s_xor_b32 s13, exec_lo, s13
; %bb.328:                              ;   in Loop: Header=BB6_144 Depth=3
	s_delay_alu instid0(VALU_DEP_2) | instskip(SKIP_2) | instid1(VALU_DEP_2)
	v_cmp_lt_u32_e32 vcc_lo, 0xffffff, v9
	v_sub_nc_u32_e32 v8, v10, v13
	v_cndmask_b32_e64 v10, 0, 1, vcc_lo
	v_add_co_ci_u32_e32 v8, vcc_lo, 0, v8, vcc_lo
	s_delay_alu instid0(VALU_DEP_2)
	v_lshrrev_b32_e32 v9, v10, v9
; %bb.329:                              ;   in Loop: Header=BB6_144 Depth=3
	s_and_not1_saveexec_b32 s13, s13
; %bb.330:                              ;   in Loop: Header=BB6_144 Depth=3
	s_delay_alu instid0(VALU_DEP_1)
	v_bfe_u32 v8, v9, 23, 1
; %bb.331:                              ;   in Loop: Header=BB6_144 Depth=3
	s_or_b32 exec_lo, exec_lo, s13
	v_lshrrev_b32_e32 v9, 21, v9
	s_delay_alu instid0(VALU_DEP_2) | instskip(SKIP_2) | instid1(VALU_DEP_3)
	v_min_i32_e32 v10, 31, v8
	v_cmp_gt_i32_e32 vcc_lo, 32, v8
	v_lshrrev_b32_e32 v2, 24, v2
	v_dual_mov_b32 v51, v128 :: v_dual_lshlrev_b32 v10, 2, v10
	s_delay_alu instid0(VALU_DEP_2) | instskip(NEXT) | instid1(VALU_DEP_2)
	v_dual_cndmask_b32 v9, 3, v9 :: v_dual_and_b32 v2, 0x80, v2
	v_and_b32_e32 v10, 0xfc, v10
	s_delay_alu instid0(VALU_DEP_2) | instskip(SKIP_1) | instid1(VALU_DEP_2)
	v_and_b32_e32 v13, 3, v9
	v_or_b32_e32 v8, v8, v9
	v_or3_b32 v2, v10, v2, v13
	s_delay_alu instid0(VALU_DEP_2) | instskip(NEXT) | instid1(VALU_DEP_2)
	v_cmp_ne_u32_e32 vcc_lo, 0, v8
	v_cndmask_b32_e32 v13, 0, v2, vcc_lo
.LBB6_332:                              ;   in Loop: Header=BB6_144 Depth=3
	s_or_b32 exec_lo, exec_lo, s36
.LBB6_333:                              ;   in Loop: Header=BB6_144 Depth=3
	s_delay_alu instid0(SALU_CYCLE_1) | instskip(SKIP_3) | instid1(VALU_DEP_1)
	s_or_b32 exec_lo, exec_lo, s35
	v_lshrrev_b32_e32 v2, 24, v11
	s_mov_b32 s13, 0
	s_mov_b32 s36, exec_lo
                                        ; implicit-def: $sgpr35
	v_cmpx_lt_i16_e32 0x7f, v2
	s_xor_b32 s36, exec_lo, s36
	s_cbranch_execnz .LBB6_1747
; %bb.334:                              ;   in Loop: Header=BB6_144 Depth=3
	s_or_saveexec_b32 s36, s36
	v_mov_b32_e32 v8, s35
	s_xor_b32 exec_lo, exec_lo, s36
	s_cbranch_execnz .LBB6_1750
.LBB6_335:                              ;   in Loop: Header=BB6_144 Depth=3
	s_or_b32 exec_lo, exec_lo, s36
	s_and_saveexec_b32 s35, s13
	s_cbranch_execz .LBB6_337
.LBB6_336:                              ;   in Loop: Header=BB6_144 Depth=3
	v_bfe_u32 v8, v11, 24, 2
	s_delay_alu instid0(VALU_DEP_1) | instskip(NEXT) | instid1(VALU_DEP_1)
	v_clz_i32_u32_e32 v9, v8
	v_min_u32_e32 v9, 32, v9
	s_delay_alu instid0(VALU_DEP_1) | instskip(SKIP_1) | instid1(VALU_DEP_2)
	v_subrev_nc_u32_e32 v10, 29, v9
	v_sub_nc_u32_e32 v9, 30, v9
	v_lshlrev_b32_e32 v2, v10, v2
	v_bfe_u32 v10, v11, 26, 5
	s_delay_alu instid0(VALU_DEP_1) | instskip(NEXT) | instid1(VALU_DEP_3)
	v_cmp_eq_u32_e32 vcc_lo, 0, v10
	v_dual_cndmask_b32 v9, v10, v9 :: v_dual_and_b32 v2, 3, v2
	s_delay_alu instid0(VALU_DEP_1) | instskip(SKIP_1) | instid1(VALU_DEP_3)
	v_cndmask_b32_e32 v2, v8, v2, vcc_lo
	v_and_b32_e32 v8, 0x80000000, v11
	v_lshl_add_u32 v9, v9, 23, 0x37800000
	s_delay_alu instid0(VALU_DEP_3) | instskip(NEXT) | instid1(VALU_DEP_1)
	v_lshlrev_b32_e32 v2, 21, v2
	v_or3_b32 v8, v8, v9, v2
.LBB6_337:                              ;   in Loop: Header=BB6_144 Depth=3
	s_or_b32 exec_lo, exec_lo, s35
	s_delay_alu instid0(VALU_DEP_1) | instskip(NEXT) | instid1(VALU_DEP_1)
	v_mul_f32_e32 v2, s34, v8
	v_and_b32_e32 v8, 0x7f800000, v2
	s_delay_alu instid0(VALU_DEP_1)
	v_cmp_ne_u32_e32 vcc_lo, 0x7f800000, v8
	v_mov_b32_e32 v8, 0x8000
	s_and_saveexec_b32 s35, vcc_lo
	s_cbranch_execz .LBB6_345
; %bb.338:                              ;   in Loop: Header=BB6_144 Depth=3
	v_mov_b32_e32 v8, 0
	s_mov_b32 s36, exec_lo
	v_cmpx_ne_u32_e32 0, v2
	s_cbranch_execz .LBB6_344
; %bb.339:                              ;   in Loop: Header=BB6_144 Depth=3
	v_bfe_u32 v8, v2, 23, 8
	v_dual_mov_b32 v36, v13 :: v_dual_and_b32 v9, 0x7fffff, v2
	s_delay_alu instid0(VALU_DEP_2) | instskip(SKIP_1) | instid1(VALU_DEP_3)
	v_sub_nc_u32_e32 v10, 0x70, v8
	v_cmp_gt_u32_e32 vcc_lo, 0x71, v8
	v_or_b32_e32 v11, 0x800000, v9
	s_delay_alu instid0(VALU_DEP_3) | instskip(SKIP_1) | instid1(VALU_DEP_3)
	v_cndmask_b32_e32 v10, 0, v10, vcc_lo
	v_cmp_eq_u32_e32 vcc_lo, 0, v8
	v_dual_cndmask_b32 v9, v11, v9 :: v_dual_add_nc_u32 v8, 0xffffff91, v8
	s_delay_alu instid0(VALU_DEP_3) | instskip(NEXT) | instid1(VALU_DEP_2)
	v_cndmask_b32_e64 v10, v10, 0x6f, vcc_lo
	v_cndmask_b32_e64 v8, v8, 0xffffff92, vcc_lo
	s_delay_alu instid0(VALU_DEP_2) | instskip(SKIP_2) | instid1(VALU_DEP_4)
	v_lshrrev_b32_e32 v13, v10, v9
	v_lshl_add_u32 v11, 0x200000, v10, -1
	v_lshlrev_b32_e64 v27, v10, 0x100000
	v_add_nc_u32_e32 v10, v10, v8
	s_delay_alu instid0(VALU_DEP_4) | instskip(NEXT) | instid1(VALU_DEP_4)
	v_bfe_u32 v26, v13, 21, 1
	v_and_b32_e32 v9, v11, v9
	s_delay_alu instid0(VALU_DEP_2) | instskip(NEXT) | instid1(VALU_DEP_2)
	v_add_nc_u32_e32 v11, -1, v26
	v_cmp_eq_u32_e64 s13, v9, v27
	s_delay_alu instid0(VALU_DEP_1) | instskip(SKIP_2) | instid1(VALU_DEP_2)
	v_cndmask_b32_e64 v9, 0, v11, s13
	v_lshrrev_b32_e32 v11, 23, v13
	s_mov_b32 s13, exec_lo
	v_add_nc_u32_e32 v9, v9, v13
	s_delay_alu instid0(VALU_DEP_2) | instskip(NEXT) | instid1(VALU_DEP_2)
	v_xor_b32_e32 v11, 1, v11
	v_and_b32_e32 v8, 0x1fffff, v9
	s_delay_alu instid0(VALU_DEP_1) | instskip(NEXT) | instid1(VALU_DEP_3)
	v_add_nc_u32_e32 v9, v8, v13
                                        ; implicit-def: $vgpr8
	v_cmpx_ne_u32_e64 v10, v11
	s_xor_b32 s13, exec_lo, s13
; %bb.340:                              ;   in Loop: Header=BB6_144 Depth=3
	s_delay_alu instid0(VALU_DEP_2) | instskip(SKIP_2) | instid1(VALU_DEP_2)
	v_cmp_lt_u32_e32 vcc_lo, 0xffffff, v9
	v_sub_nc_u32_e32 v8, v10, v11
	v_cndmask_b32_e64 v10, 0, 1, vcc_lo
	v_add_co_ci_u32_e32 v8, vcc_lo, 0, v8, vcc_lo
	s_delay_alu instid0(VALU_DEP_2)
	v_lshrrev_b32_e32 v9, v10, v9
; %bb.341:                              ;   in Loop: Header=BB6_144 Depth=3
	s_and_not1_saveexec_b32 s13, s13
; %bb.342:                              ;   in Loop: Header=BB6_144 Depth=3
	s_delay_alu instid0(VALU_DEP_1)
	v_bfe_u32 v8, v9, 23, 1
; %bb.343:                              ;   in Loop: Header=BB6_144 Depth=3
	s_or_b32 exec_lo, exec_lo, s13
	v_lshrrev_b32_e32 v9, 21, v9
	s_delay_alu instid0(VALU_DEP_2) | instskip(SKIP_4) | instid1(VALU_DEP_4)
	v_cmp_gt_i32_e32 vcc_lo, 32, v8
	v_min_i32_e32 v10, 31, v8
	v_lshrrev_b32_e32 v2, 24, v2
	v_mov_b32_e32 v51, v128
	v_mov_b32_e32 v13, v36
	v_dual_cndmask_b32 v9, 3, v9 :: v_dual_lshlrev_b32 v10, 2, v10
	s_delay_alu instid0(VALU_DEP_4) | instskip(NEXT) | instid1(VALU_DEP_2)
	v_and_b32_e32 v2, 0x80, v2
	v_or_b32_e32 v8, v8, v9
	s_delay_alu instid0(VALU_DEP_3) | instskip(NEXT) | instid1(VALU_DEP_2)
	v_and_b32_e32 v10, 0xfc, v10
	v_cmp_ne_u32_e32 vcc_lo, 0, v8
	v_and_b32_e32 v11, 3, v9
	s_delay_alu instid0(VALU_DEP_1) | instskip(NEXT) | instid1(VALU_DEP_1)
	v_or3_b32 v2, v2, v10, v11
	v_lshlrev_b32_e32 v2, 8, v2
	s_delay_alu instid0(VALU_DEP_1)
	v_cndmask_b32_e32 v8, 0, v2, vcc_lo
.LBB6_344:                              ;   in Loop: Header=BB6_144 Depth=3
	s_or_b32 exec_lo, exec_lo, s36
.LBB6_345:                              ;   in Loop: Header=BB6_144 Depth=3
	s_delay_alu instid0(SALU_CYCLE_1)
	s_or_b32 exec_lo, exec_lo, s35
	s_clause 0x1
	scratch_store_b32 off, v8, s33 offset:444
	scratch_store_b32 off, v13, s33 offset:440
	global_load_b128 v[8:11], v[20:21], off offset:512 slc dlc
	s_mov_b32 s13, 0
	s_mov_b32 s36, exec_lo
                                        ; implicit-def: $sgpr35
	s_waitcnt vmcnt(0)
	v_and_b32_e32 v13, 0xff, v8
	s_delay_alu instid0(VALU_DEP_1)
	v_cmpx_lt_i16_e32 0x7f, v13
	s_xor_b32 s36, exec_lo, s36
	s_cbranch_execnz .LBB6_1751
; %bb.346:                              ;   in Loop: Header=BB6_144 Depth=3
	s_or_saveexec_b32 s36, s36
	v_mov_b32_e32 v2, s35
	s_xor_b32 exec_lo, exec_lo, s36
	s_cbranch_execnz .LBB6_1754
.LBB6_347:                              ;   in Loop: Header=BB6_144 Depth=3
	s_or_b32 exec_lo, exec_lo, s36
	s_and_saveexec_b32 s35, s13
	s_cbranch_execz .LBB6_349
.LBB6_348:                              ;   in Loop: Header=BB6_144 Depth=3
	v_bfe_u32 v27, v8, 2, 5
	v_lshlrev_b32_e32 v36, 24, v8
	s_delay_alu instid0(VALU_DEP_2) | instskip(SKIP_1) | instid1(VALU_DEP_1)
	v_cmp_eq_u32_e32 vcc_lo, 0, v27
	v_and_b32_e32 v2, 3, v8
	v_clz_i32_u32_e32 v13, v2
	s_delay_alu instid0(VALU_DEP_1) | instskip(NEXT) | instid1(VALU_DEP_1)
	v_min_u32_e32 v13, 32, v13
	v_subrev_nc_u32_e32 v26, 29, v13
	v_sub_nc_u32_e32 v13, 30, v13
	s_delay_alu instid0(VALU_DEP_1) | instskip(NEXT) | instid1(VALU_DEP_1)
	v_dual_cndmask_b32 v13, v27, v13 :: v_dual_lshlrev_b32 v26, v26, v8
	v_and_b32_e32 v26, 3, v26
	s_delay_alu instid0(VALU_DEP_2) | instskip(NEXT) | instid1(VALU_DEP_2)
	v_lshl_add_u32 v13, v13, 23, 0x37800000
	v_cndmask_b32_e32 v2, v2, v26, vcc_lo
	v_and_b32_e32 v26, 0x80000000, v36
	s_delay_alu instid0(VALU_DEP_2) | instskip(NEXT) | instid1(VALU_DEP_1)
	v_lshlrev_b32_e32 v2, 21, v2
	v_or3_b32 v2, v26, v13, v2
.LBB6_349:                              ;   in Loop: Header=BB6_144 Depth=3
	s_or_b32 exec_lo, exec_lo, s35
	s_delay_alu instid0(VALU_DEP_1) | instskip(NEXT) | instid1(VALU_DEP_1)
	v_mul_f32_e32 v2, s34, v2
	v_and_b32_e32 v13, 0x7f800000, v2
	s_delay_alu instid0(VALU_DEP_1)
	v_cmp_ne_u32_e32 vcc_lo, 0x7f800000, v13
	v_mov_b32_e32 v13, 0x80
	scratch_store_b32 off, v13, s33 offset:364 ; 4-byte Folded Spill
	s_and_saveexec_b32 s35, vcc_lo
	s_cbranch_execz .LBB6_357
; %bb.350:                              ;   in Loop: Header=BB6_144 Depth=3
	v_mov_b32_e32 v13, 0
	s_mov_b32 s36, exec_lo
	scratch_store_b32 off, v13, s33 offset:364 ; 4-byte Folded Spill
	v_cmpx_ne_u32_e32 0, v2
	s_cbranch_execz .LBB6_356
; %bb.351:                              ;   in Loop: Header=BB6_144 Depth=3
	v_bfe_u32 v13, v2, 23, 8
	s_delay_alu instid0(VALU_DEP_1) | instskip(SKIP_1) | instid1(VALU_DEP_2)
	v_sub_nc_u32_e32 v27, 0x70, v13
	v_cmp_gt_u32_e32 vcc_lo, 0x71, v13
	v_dual_cndmask_b32 v27, 0, v27 :: v_dual_and_b32 v26, 0x7fffff, v2
	s_delay_alu instid0(VALU_DEP_1) | instskip(SKIP_2) | instid1(VALU_DEP_4)
	v_or_b32_e32 v36, 0x800000, v26
	v_cmp_eq_u32_e32 vcc_lo, 0, v13
	v_add_nc_u32_e32 v13, 0xffffff91, v13
	v_cndmask_b32_e64 v27, v27, 0x6f, vcc_lo
	s_delay_alu instid0(VALU_DEP_4) | instskip(NEXT) | instid1(VALU_DEP_3)
	v_cndmask_b32_e32 v26, v36, v26, vcc_lo
	v_cndmask_b32_e64 v13, v13, 0xffffff92, vcc_lo
	s_delay_alu instid0(VALU_DEP_3) | instskip(NEXT) | instid1(VALU_DEP_3)
	v_lshl_add_u32 v36, 0x200000, v27, -1
	v_lshrrev_b32_e32 v37, v27, v26
	v_lshlrev_b32_e64 v39, v27, 0x100000
	s_delay_alu instid0(VALU_DEP_4) | instskip(NEXT) | instid1(VALU_DEP_4)
	v_add_nc_u32_e32 v27, v27, v13
	v_and_b32_e32 v26, v36, v26
	s_delay_alu instid0(VALU_DEP_4) | instskip(NEXT) | instid1(VALU_DEP_2)
	v_bfe_u32 v38, v37, 21, 1
	v_cmp_eq_u32_e64 s13, v26, v39
	s_delay_alu instid0(VALU_DEP_2) | instskip(NEXT) | instid1(VALU_DEP_1)
	v_add_nc_u32_e32 v36, -1, v38
	v_cndmask_b32_e64 v26, 0, v36, s13
	v_lshrrev_b32_e32 v36, 23, v37
	s_mov_b32 s13, exec_lo
	s_delay_alu instid0(VALU_DEP_2) | instskip(NEXT) | instid1(VALU_DEP_2)
	v_add_nc_u32_e32 v26, v26, v37
	v_xor_b32_e32 v36, 1, v36
	s_delay_alu instid0(VALU_DEP_2) | instskip(NEXT) | instid1(VALU_DEP_1)
	v_and_b32_e32 v13, 0x1fffff, v26
	v_add_nc_u32_e32 v26, v13, v37
                                        ; implicit-def: $vgpr13
	s_delay_alu instid0(VALU_DEP_3)
	v_cmpx_ne_u32_e64 v27, v36
	s_xor_b32 s13, exec_lo, s13
; %bb.352:                              ;   in Loop: Header=BB6_144 Depth=3
	s_delay_alu instid0(VALU_DEP_2) | instskip(SKIP_2) | instid1(VALU_DEP_2)
	v_cmp_lt_u32_e32 vcc_lo, 0xffffff, v26
	v_sub_nc_u32_e32 v13, v27, v36
	v_cndmask_b32_e64 v27, 0, 1, vcc_lo
	v_add_co_ci_u32_e32 v13, vcc_lo, 0, v13, vcc_lo
	s_delay_alu instid0(VALU_DEP_2)
	v_lshrrev_b32_e32 v26, v27, v26
; %bb.353:                              ;   in Loop: Header=BB6_144 Depth=3
	s_and_not1_saveexec_b32 s13, s13
; %bb.354:                              ;   in Loop: Header=BB6_144 Depth=3
	s_delay_alu instid0(VALU_DEP_1)
	v_bfe_u32 v13, v26, 23, 1
; %bb.355:                              ;   in Loop: Header=BB6_144 Depth=3
	s_or_b32 exec_lo, exec_lo, s13
	v_lshrrev_b32_e32 v26, 21, v26
	s_delay_alu instid0(VALU_DEP_2) | instskip(SKIP_2) | instid1(VALU_DEP_4)
	v_cmp_gt_i32_e32 vcc_lo, 32, v13
	v_lshrrev_b32_e32 v2, 24, v2
	v_min_i32_e32 v27, 31, v13
	v_dual_mov_b32 v51, v128 :: v_dual_cndmask_b32 v26, 3, v26
	s_delay_alu instid0(VALU_DEP_3) | instskip(NEXT) | instid1(VALU_DEP_3)
	v_and_b32_e32 v2, 0x80, v2
	v_lshlrev_b32_e32 v27, 2, v27
	s_delay_alu instid0(VALU_DEP_3) | instskip(SKIP_1) | instid1(VALU_DEP_2)
	v_and_b32_e32 v36, 3, v26
	v_or_b32_e32 v13, v13, v26
	v_or3_b32 v2, v27, v2, v36
	s_delay_alu instid0(VALU_DEP_2) | instskip(NEXT) | instid1(VALU_DEP_2)
	v_cmp_ne_u32_e32 vcc_lo, 0, v13
	v_cndmask_b32_e32 v2, 0, v2, vcc_lo
	scratch_store_b32 off, v2, s33 offset:364 ; 4-byte Folded Spill
.LBB6_356:                              ;   in Loop: Header=BB6_144 Depth=3
	s_or_b32 exec_lo, exec_lo, s36
.LBB6_357:                              ;   in Loop: Header=BB6_144 Depth=3
	s_delay_alu instid0(SALU_CYCLE_1) | instskip(SKIP_3) | instid1(VALU_DEP_1)
	s_or_b32 exec_lo, exec_lo, s35
	v_lshrrev_b16 v2, 8, v8
	s_mov_b32 s13, 0
	s_mov_b32 s36, exec_lo
                                        ; implicit-def: $sgpr35
	v_cmpx_lt_i16_e32 0x7f, v2
	s_xor_b32 s36, exec_lo, s36
	s_cbranch_execnz .LBB6_1755
; %bb.358:                              ;   in Loop: Header=BB6_144 Depth=3
	s_or_saveexec_b32 s36, s36
	v_mov_b32_e32 v13, s35
	s_xor_b32 exec_lo, exec_lo, s36
	s_cbranch_execnz .LBB6_1758
.LBB6_359:                              ;   in Loop: Header=BB6_144 Depth=3
	s_or_b32 exec_lo, exec_lo, s36
	s_and_saveexec_b32 s35, s13
	s_cbranch_execz .LBB6_361
.LBB6_360:                              ;   in Loop: Header=BB6_144 Depth=3
	v_and_b32_e32 v13, 0xffff, v2
	v_lshlrev_b32_e32 v2, 24, v2
	s_delay_alu instid0(VALU_DEP_2) | instskip(NEXT) | instid1(VALU_DEP_2)
	v_and_b32_e32 v26, 3, v13
	v_and_b32_e32 v2, 0x80000000, v2
	s_delay_alu instid0(VALU_DEP_2) | instskip(NEXT) | instid1(VALU_DEP_1)
	v_clz_i32_u32_e32 v27, v26
	v_min_u32_e32 v27, 32, v27
	s_delay_alu instid0(VALU_DEP_1) | instskip(SKIP_1) | instid1(VALU_DEP_2)
	v_subrev_nc_u32_e32 v36, 29, v27
	v_sub_nc_u32_e32 v27, 30, v27
	v_lshlrev_b32_e32 v36, v36, v13
	v_bfe_u32 v13, v13, 2, 5
	s_delay_alu instid0(VALU_DEP_2) | instskip(NEXT) | instid1(VALU_DEP_2)
	v_and_b32_e32 v36, 3, v36
	v_cmp_eq_u32_e32 vcc_lo, 0, v13
	s_delay_alu instid0(VALU_DEP_2) | instskip(NEXT) | instid1(VALU_DEP_1)
	v_dual_cndmask_b32 v13, v13, v27 :: v_dual_cndmask_b32 v26, v26, v36
	v_lshl_add_u32 v13, v13, 23, 0x37800000
	s_delay_alu instid0(VALU_DEP_2) | instskip(NEXT) | instid1(VALU_DEP_1)
	v_lshlrev_b32_e32 v26, 21, v26
	v_or3_b32 v13, v2, v13, v26
.LBB6_361:                              ;   in Loop: Header=BB6_144 Depth=3
	s_or_b32 exec_lo, exec_lo, s35
	s_delay_alu instid0(VALU_DEP_1) | instskip(NEXT) | instid1(VALU_DEP_1)
	v_mul_f32_e32 v2, s34, v13
	v_and_b32_e32 v13, 0x7f800000, v2
	s_delay_alu instid0(VALU_DEP_1)
	v_cmp_ne_u32_e32 vcc_lo, 0x7f800000, v13
	v_mov_b32_e32 v13, 0x80
	s_and_saveexec_b32 s35, vcc_lo
	s_cbranch_execz .LBB6_369
; %bb.362:                              ;   in Loop: Header=BB6_144 Depth=3
	v_mov_b32_e32 v13, 0
	s_mov_b32 s36, exec_lo
	v_cmpx_ne_u32_e32 0, v2
	s_cbranch_execz .LBB6_368
; %bb.363:                              ;   in Loop: Header=BB6_144 Depth=3
	v_bfe_u32 v13, v2, 23, 8
	s_delay_alu instid0(VALU_DEP_1) | instskip(SKIP_1) | instid1(VALU_DEP_2)
	v_sub_nc_u32_e32 v27, 0x70, v13
	v_cmp_gt_u32_e32 vcc_lo, 0x71, v13
	v_dual_cndmask_b32 v27, 0, v27 :: v_dual_and_b32 v26, 0x7fffff, v2
	s_delay_alu instid0(VALU_DEP_1) | instskip(SKIP_2) | instid1(VALU_DEP_4)
	v_or_b32_e32 v36, 0x800000, v26
	v_cmp_eq_u32_e32 vcc_lo, 0, v13
	v_add_nc_u32_e32 v13, 0xffffff91, v13
	v_cndmask_b32_e64 v27, v27, 0x6f, vcc_lo
	s_delay_alu instid0(VALU_DEP_4) | instskip(NEXT) | instid1(VALU_DEP_3)
	v_cndmask_b32_e32 v26, v36, v26, vcc_lo
	v_cndmask_b32_e64 v13, v13, 0xffffff92, vcc_lo
	s_delay_alu instid0(VALU_DEP_3) | instskip(NEXT) | instid1(VALU_DEP_3)
	v_lshl_add_u32 v36, 0x200000, v27, -1
	v_lshrrev_b32_e32 v37, v27, v26
	v_lshlrev_b32_e64 v39, v27, 0x100000
	s_delay_alu instid0(VALU_DEP_4) | instskip(NEXT) | instid1(VALU_DEP_4)
	v_add_nc_u32_e32 v27, v27, v13
	v_and_b32_e32 v26, v36, v26
	s_delay_alu instid0(VALU_DEP_4) | instskip(NEXT) | instid1(VALU_DEP_2)
	v_bfe_u32 v38, v37, 21, 1
	v_cmp_eq_u32_e64 s13, v26, v39
	s_delay_alu instid0(VALU_DEP_2) | instskip(NEXT) | instid1(VALU_DEP_1)
	v_add_nc_u32_e32 v36, -1, v38
	v_cndmask_b32_e64 v26, 0, v36, s13
	v_lshrrev_b32_e32 v36, 23, v37
	s_mov_b32 s13, exec_lo
	s_delay_alu instid0(VALU_DEP_2) | instskip(NEXT) | instid1(VALU_DEP_2)
	v_add_nc_u32_e32 v26, v26, v37
	v_xor_b32_e32 v36, 1, v36
	s_delay_alu instid0(VALU_DEP_2) | instskip(NEXT) | instid1(VALU_DEP_1)
	v_and_b32_e32 v13, 0x1fffff, v26
	v_add_nc_u32_e32 v26, v13, v37
                                        ; implicit-def: $vgpr13
	s_delay_alu instid0(VALU_DEP_3)
	v_cmpx_ne_u32_e64 v27, v36
	s_xor_b32 s13, exec_lo, s13
; %bb.364:                              ;   in Loop: Header=BB6_144 Depth=3
	s_delay_alu instid0(VALU_DEP_2) | instskip(SKIP_2) | instid1(VALU_DEP_2)
	v_cmp_lt_u32_e32 vcc_lo, 0xffffff, v26
	v_sub_nc_u32_e32 v13, v27, v36
	v_cndmask_b32_e64 v27, 0, 1, vcc_lo
	v_add_co_ci_u32_e32 v13, vcc_lo, 0, v13, vcc_lo
	s_delay_alu instid0(VALU_DEP_2)
	v_lshrrev_b32_e32 v26, v27, v26
; %bb.365:                              ;   in Loop: Header=BB6_144 Depth=3
	s_and_not1_saveexec_b32 s13, s13
; %bb.366:                              ;   in Loop: Header=BB6_144 Depth=3
	s_delay_alu instid0(VALU_DEP_1)
	v_bfe_u32 v13, v26, 23, 1
; %bb.367:                              ;   in Loop: Header=BB6_144 Depth=3
	s_or_b32 exec_lo, exec_lo, s13
	v_lshrrev_b32_e32 v26, 21, v26
	s_delay_alu instid0(VALU_DEP_2) | instskip(SKIP_2) | instid1(VALU_DEP_4)
	v_cmp_gt_i32_e32 vcc_lo, 32, v13
	v_lshrrev_b32_e32 v2, 24, v2
	v_min_i32_e32 v27, 31, v13
	v_dual_mov_b32 v51, v128 :: v_dual_cndmask_b32 v26, 3, v26
	s_delay_alu instid0(VALU_DEP_3) | instskip(NEXT) | instid1(VALU_DEP_3)
	v_and_b32_e32 v2, 0x80, v2
	v_lshlrev_b32_e32 v27, 2, v27
	s_delay_alu instid0(VALU_DEP_3) | instskip(SKIP_1) | instid1(VALU_DEP_2)
	v_and_b32_e32 v36, 3, v26
	v_or_b32_e32 v13, v13, v26
	v_or3_b32 v2, v27, v2, v36
	s_delay_alu instid0(VALU_DEP_2) | instskip(NEXT) | instid1(VALU_DEP_2)
	v_cmp_ne_u32_e32 vcc_lo, 0, v13
	v_cndmask_b32_e32 v13, 0, v2, vcc_lo
.LBB6_368:                              ;   in Loop: Header=BB6_144 Depth=3
	s_or_b32 exec_lo, exec_lo, s36
.LBB6_369:                              ;   in Loop: Header=BB6_144 Depth=3
	s_delay_alu instid0(SALU_CYCLE_1)
	s_or_b32 exec_lo, exec_lo, s35
	v_lshrrev_b32_e32 v2, 16, v8
	s_mov_b32 s13, 0
	s_mov_b32 s36, exec_lo
	scratch_store_b32 off, v13, s33 offset:448 ; 4-byte Folded Spill
                                        ; implicit-def: $sgpr35
	v_and_b32_e32 v26, 0xff, v2
	s_delay_alu instid0(VALU_DEP_1)
	v_cmpx_lt_i16_e32 0x7f, v26
	s_xor_b32 s36, exec_lo, s36
	s_cbranch_execnz .LBB6_1759
; %bb.370:                              ;   in Loop: Header=BB6_144 Depth=3
	s_or_saveexec_b32 s36, s36
	v_mov_b32_e32 v13, s35
	s_xor_b32 exec_lo, exec_lo, s36
	s_cbranch_execnz .LBB6_1762
.LBB6_371:                              ;   in Loop: Header=BB6_144 Depth=3
	s_or_b32 exec_lo, exec_lo, s36
	s_and_saveexec_b32 s35, s13
	s_cbranch_execz .LBB6_373
.LBB6_372:                              ;   in Loop: Header=BB6_144 Depth=3
	v_bfe_u32 v13, v8, 16, 2
	v_lshlrev_b32_e32 v36, 8, v8
	s_delay_alu instid0(VALU_DEP_2) | instskip(NEXT) | instid1(VALU_DEP_1)
	v_clz_i32_u32_e32 v26, v13
	v_min_u32_e32 v26, 32, v26
	s_delay_alu instid0(VALU_DEP_1) | instskip(SKIP_1) | instid1(VALU_DEP_2)
	v_subrev_nc_u32_e32 v27, 29, v26
	v_sub_nc_u32_e32 v26, 30, v26
	v_lshlrev_b32_e32 v2, v27, v2
	v_bfe_u32 v27, v8, 18, 5
	s_delay_alu instid0(VALU_DEP_2) | instskip(NEXT) | instid1(VALU_DEP_2)
	v_and_b32_e32 v2, 3, v2
	v_cmp_eq_u32_e32 vcc_lo, 0, v27
	v_cndmask_b32_e32 v26, v27, v26, vcc_lo
	s_delay_alu instid0(VALU_DEP_3) | instskip(NEXT) | instid1(VALU_DEP_2)
	v_dual_cndmask_b32 v2, v13, v2 :: v_dual_and_b32 v13, 0x80000000, v36
	v_lshl_add_u32 v26, v26, 23, 0x37800000
	s_delay_alu instid0(VALU_DEP_2) | instskip(NEXT) | instid1(VALU_DEP_1)
	v_lshlrev_b32_e32 v2, 21, v2
	v_or3_b32 v13, v13, v26, v2
.LBB6_373:                              ;   in Loop: Header=BB6_144 Depth=3
	s_or_b32 exec_lo, exec_lo, s35
	s_delay_alu instid0(VALU_DEP_1) | instskip(NEXT) | instid1(VALU_DEP_1)
	v_mul_f32_e32 v2, s34, v13
	v_and_b32_e32 v13, 0x7f800000, v2
	s_delay_alu instid0(VALU_DEP_1)
	v_cmp_ne_u32_e32 vcc_lo, 0x7f800000, v13
	v_mov_b32_e32 v13, 0x80
	scratch_store_b32 off, v13, s33 offset:368 ; 4-byte Folded Spill
	s_and_saveexec_b32 s35, vcc_lo
	s_cbranch_execz .LBB6_381
; %bb.374:                              ;   in Loop: Header=BB6_144 Depth=3
	v_mov_b32_e32 v13, 0
	s_mov_b32 s36, exec_lo
	scratch_store_b32 off, v13, s33 offset:368 ; 4-byte Folded Spill
	v_cmpx_ne_u32_e32 0, v2
	s_cbranch_execz .LBB6_380
; %bb.375:                              ;   in Loop: Header=BB6_144 Depth=3
	v_bfe_u32 v13, v2, 23, 8
	s_delay_alu instid0(VALU_DEP_1) | instskip(SKIP_1) | instid1(VALU_DEP_2)
	v_sub_nc_u32_e32 v27, 0x70, v13
	v_cmp_gt_u32_e32 vcc_lo, 0x71, v13
	v_dual_cndmask_b32 v27, 0, v27 :: v_dual_and_b32 v26, 0x7fffff, v2
	s_delay_alu instid0(VALU_DEP_1) | instskip(SKIP_2) | instid1(VALU_DEP_4)
	v_or_b32_e32 v36, 0x800000, v26
	v_cmp_eq_u32_e32 vcc_lo, 0, v13
	v_add_nc_u32_e32 v13, 0xffffff91, v13
	v_cndmask_b32_e64 v27, v27, 0x6f, vcc_lo
	s_delay_alu instid0(VALU_DEP_4) | instskip(NEXT) | instid1(VALU_DEP_3)
	v_cndmask_b32_e32 v26, v36, v26, vcc_lo
	v_cndmask_b32_e64 v13, v13, 0xffffff92, vcc_lo
	s_delay_alu instid0(VALU_DEP_3) | instskip(NEXT) | instid1(VALU_DEP_3)
	v_lshl_add_u32 v36, 0x200000, v27, -1
	v_lshrrev_b32_e32 v37, v27, v26
	v_lshlrev_b32_e64 v39, v27, 0x100000
	s_delay_alu instid0(VALU_DEP_4) | instskip(NEXT) | instid1(VALU_DEP_4)
	v_add_nc_u32_e32 v27, v27, v13
	v_and_b32_e32 v26, v36, v26
	s_delay_alu instid0(VALU_DEP_4) | instskip(NEXT) | instid1(VALU_DEP_2)
	v_bfe_u32 v38, v37, 21, 1
	v_cmp_eq_u32_e64 s13, v26, v39
	s_delay_alu instid0(VALU_DEP_2) | instskip(NEXT) | instid1(VALU_DEP_1)
	v_add_nc_u32_e32 v36, -1, v38
	v_cndmask_b32_e64 v26, 0, v36, s13
	v_lshrrev_b32_e32 v36, 23, v37
	s_mov_b32 s13, exec_lo
	s_delay_alu instid0(VALU_DEP_2) | instskip(NEXT) | instid1(VALU_DEP_2)
	v_add_nc_u32_e32 v26, v26, v37
	v_xor_b32_e32 v36, 1, v36
	s_delay_alu instid0(VALU_DEP_2) | instskip(NEXT) | instid1(VALU_DEP_1)
	v_and_b32_e32 v13, 0x1fffff, v26
	v_add_nc_u32_e32 v26, v13, v37
                                        ; implicit-def: $vgpr13
	s_delay_alu instid0(VALU_DEP_3)
	v_cmpx_ne_u32_e64 v27, v36
	s_xor_b32 s13, exec_lo, s13
; %bb.376:                              ;   in Loop: Header=BB6_144 Depth=3
	s_delay_alu instid0(VALU_DEP_2) | instskip(SKIP_2) | instid1(VALU_DEP_2)
	v_cmp_lt_u32_e32 vcc_lo, 0xffffff, v26
	v_sub_nc_u32_e32 v13, v27, v36
	v_cndmask_b32_e64 v27, 0, 1, vcc_lo
	v_add_co_ci_u32_e32 v13, vcc_lo, 0, v13, vcc_lo
	s_delay_alu instid0(VALU_DEP_2)
	v_lshrrev_b32_e32 v26, v27, v26
; %bb.377:                              ;   in Loop: Header=BB6_144 Depth=3
	s_and_not1_saveexec_b32 s13, s13
; %bb.378:                              ;   in Loop: Header=BB6_144 Depth=3
	s_delay_alu instid0(VALU_DEP_1)
	v_bfe_u32 v13, v26, 23, 1
; %bb.379:                              ;   in Loop: Header=BB6_144 Depth=3
	s_or_b32 exec_lo, exec_lo, s13
	v_lshrrev_b32_e32 v26, 21, v26
	s_delay_alu instid0(VALU_DEP_2) | instskip(SKIP_2) | instid1(VALU_DEP_4)
	v_cmp_gt_i32_e32 vcc_lo, 32, v13
	v_lshrrev_b32_e32 v2, 24, v2
	v_min_i32_e32 v27, 31, v13
	v_dual_mov_b32 v51, v128 :: v_dual_cndmask_b32 v26, 3, v26
	s_delay_alu instid0(VALU_DEP_3) | instskip(NEXT) | instid1(VALU_DEP_3)
	v_and_b32_e32 v2, 0x80, v2
	v_lshlrev_b32_e32 v27, 2, v27
	s_delay_alu instid0(VALU_DEP_3) | instskip(SKIP_1) | instid1(VALU_DEP_2)
	v_and_b32_e32 v36, 3, v26
	v_or_b32_e32 v13, v13, v26
	v_or3_b32 v2, v27, v2, v36
	s_delay_alu instid0(VALU_DEP_2) | instskip(NEXT) | instid1(VALU_DEP_2)
	v_cmp_ne_u32_e32 vcc_lo, 0, v13
	v_cndmask_b32_e32 v2, 0, v2, vcc_lo
	scratch_store_b32 off, v2, s33 offset:368 ; 4-byte Folded Spill
.LBB6_380:                              ;   in Loop: Header=BB6_144 Depth=3
	s_or_b32 exec_lo, exec_lo, s36
.LBB6_381:                              ;   in Loop: Header=BB6_144 Depth=3
	s_delay_alu instid0(SALU_CYCLE_1) | instskip(SKIP_3) | instid1(VALU_DEP_1)
	s_or_b32 exec_lo, exec_lo, s35
	v_lshrrev_b32_e32 v2, 24, v8
	s_mov_b32 s13, 0
	s_mov_b32 s36, exec_lo
                                        ; implicit-def: $sgpr35
	v_cmpx_lt_i16_e32 0x7f, v2
	s_xor_b32 s36, exec_lo, s36
	s_cbranch_execnz .LBB6_1763
; %bb.382:                              ;   in Loop: Header=BB6_144 Depth=3
	s_or_saveexec_b32 s36, s36
	v_mov_b32_e32 v13, s35
	s_xor_b32 exec_lo, exec_lo, s36
	s_cbranch_execnz .LBB6_1766
.LBB6_383:                              ;   in Loop: Header=BB6_144 Depth=3
	s_or_b32 exec_lo, exec_lo, s36
	s_and_saveexec_b32 s35, s13
	s_cbranch_execz .LBB6_385
.LBB6_384:                              ;   in Loop: Header=BB6_144 Depth=3
	v_bfe_u32 v13, v8, 24, 2
	s_delay_alu instid0(VALU_DEP_1) | instskip(NEXT) | instid1(VALU_DEP_1)
	v_clz_i32_u32_e32 v26, v13
	v_min_u32_e32 v26, 32, v26
	s_delay_alu instid0(VALU_DEP_1) | instskip(SKIP_1) | instid1(VALU_DEP_2)
	v_subrev_nc_u32_e32 v27, 29, v26
	v_sub_nc_u32_e32 v26, 30, v26
	v_lshlrev_b32_e32 v2, v27, v2
	v_bfe_u32 v27, v8, 26, 5
	v_and_b32_e32 v8, 0x80000000, v8
	s_delay_alu instid0(VALU_DEP_3) | instskip(NEXT) | instid1(VALU_DEP_3)
	v_and_b32_e32 v2, 3, v2
	v_cmp_eq_u32_e32 vcc_lo, 0, v27
	v_cndmask_b32_e32 v26, v27, v26, vcc_lo
	s_delay_alu instid0(VALU_DEP_3) | instskip(NEXT) | instid1(VALU_DEP_2)
	v_cndmask_b32_e32 v2, v13, v2, vcc_lo
	v_lshl_add_u32 v13, v26, 23, 0x37800000
	s_delay_alu instid0(VALU_DEP_2) | instskip(NEXT) | instid1(VALU_DEP_1)
	v_lshlrev_b32_e32 v2, 21, v2
	v_or3_b32 v13, v8, v13, v2
.LBB6_385:                              ;   in Loop: Header=BB6_144 Depth=3
	s_or_b32 exec_lo, exec_lo, s35
	s_delay_alu instid0(VALU_DEP_1) | instskip(NEXT) | instid1(VALU_DEP_1)
	v_mul_f32_e32 v2, s34, v13
	v_and_b32_e32 v8, 0x7f800000, v2
	s_delay_alu instid0(VALU_DEP_1)
	v_cmp_ne_u32_e32 vcc_lo, 0x7f800000, v8
	v_mov_b32_e32 v8, 0x80
	s_and_saveexec_b32 s35, vcc_lo
	s_cbranch_execz .LBB6_393
; %bb.386:                              ;   in Loop: Header=BB6_144 Depth=3
	v_mov_b32_e32 v8, 0
	s_mov_b32 s36, exec_lo
	v_cmpx_ne_u32_e32 0, v2
	s_cbranch_execz .LBB6_392
; %bb.387:                              ;   in Loop: Header=BB6_144 Depth=3
	v_bfe_u32 v8, v2, 23, 8
	v_and_b32_e32 v13, 0x7fffff, v2
	s_delay_alu instid0(VALU_DEP_2) | instskip(SKIP_1) | instid1(VALU_DEP_3)
	v_sub_nc_u32_e32 v26, 0x70, v8
	v_cmp_gt_u32_e32 vcc_lo, 0x71, v8
	v_or_b32_e32 v27, 0x800000, v13
	s_delay_alu instid0(VALU_DEP_3) | instskip(SKIP_1) | instid1(VALU_DEP_3)
	v_cndmask_b32_e32 v26, 0, v26, vcc_lo
	v_cmp_eq_u32_e32 vcc_lo, 0, v8
	v_dual_cndmask_b32 v13, v27, v13 :: v_dual_add_nc_u32 v8, 0xffffff91, v8
	s_delay_alu instid0(VALU_DEP_3) | instskip(NEXT) | instid1(VALU_DEP_2)
	v_cndmask_b32_e64 v26, v26, 0x6f, vcc_lo
	v_cndmask_b32_e64 v8, v8, 0xffffff92, vcc_lo
	s_delay_alu instid0(VALU_DEP_2) | instskip(SKIP_2) | instid1(VALU_DEP_4)
	v_lshrrev_b32_e32 v36, v26, v13
	v_lshl_add_u32 v27, 0x200000, v26, -1
	v_lshlrev_b32_e64 v38, v26, 0x100000
	v_add_nc_u32_e32 v26, v26, v8
	s_delay_alu instid0(VALU_DEP_4) | instskip(NEXT) | instid1(VALU_DEP_4)
	v_bfe_u32 v37, v36, 21, 1
	v_and_b32_e32 v13, v27, v13
	s_delay_alu instid0(VALU_DEP_2) | instskip(NEXT) | instid1(VALU_DEP_2)
	v_add_nc_u32_e32 v27, -1, v37
	v_cmp_eq_u32_e64 s13, v13, v38
	s_delay_alu instid0(VALU_DEP_1) | instskip(SKIP_2) | instid1(VALU_DEP_2)
	v_cndmask_b32_e64 v13, 0, v27, s13
	v_lshrrev_b32_e32 v27, 23, v36
	s_mov_b32 s13, exec_lo
	v_add_nc_u32_e32 v13, v13, v36
	s_delay_alu instid0(VALU_DEP_2) | instskip(NEXT) | instid1(VALU_DEP_2)
	v_xor_b32_e32 v27, 1, v27
	v_and_b32_e32 v8, 0x1fffff, v13
	s_delay_alu instid0(VALU_DEP_1) | instskip(NEXT) | instid1(VALU_DEP_3)
	v_add_nc_u32_e32 v13, v8, v36
                                        ; implicit-def: $vgpr8
	v_cmpx_ne_u32_e64 v26, v27
	s_xor_b32 s13, exec_lo, s13
; %bb.388:                              ;   in Loop: Header=BB6_144 Depth=3
	s_delay_alu instid0(VALU_DEP_2) | instskip(SKIP_2) | instid1(VALU_DEP_2)
	v_cmp_lt_u32_e32 vcc_lo, 0xffffff, v13
	v_sub_nc_u32_e32 v8, v26, v27
	v_cndmask_b32_e64 v26, 0, 1, vcc_lo
	v_add_co_ci_u32_e32 v8, vcc_lo, 0, v8, vcc_lo
	s_delay_alu instid0(VALU_DEP_2)
	v_lshrrev_b32_e32 v13, v26, v13
; %bb.389:                              ;   in Loop: Header=BB6_144 Depth=3
	s_and_not1_saveexec_b32 s13, s13
; %bb.390:                              ;   in Loop: Header=BB6_144 Depth=3
	s_delay_alu instid0(VALU_DEP_1)
	v_bfe_u32 v8, v13, 23, 1
; %bb.391:                              ;   in Loop: Header=BB6_144 Depth=3
	s_or_b32 exec_lo, exec_lo, s13
	v_lshrrev_b32_e32 v13, 21, v13
	s_delay_alu instid0(VALU_DEP_2) | instskip(SKIP_3) | instid1(VALU_DEP_3)
	v_cmp_gt_i32_e32 vcc_lo, 32, v8
	v_lshrrev_b32_e32 v2, 24, v2
	v_min_i32_e32 v26, 31, v8
	v_mov_b32_e32 v51, v128
	v_dual_cndmask_b32 v13, 3, v13 :: v_dual_and_b32 v2, 0x80, v2
	s_delay_alu instid0(VALU_DEP_3) | instskip(NEXT) | instid1(VALU_DEP_2)
	v_lshlrev_b32_e32 v26, 2, v26
	v_or_b32_e32 v8, v8, v13
	s_delay_alu instid0(VALU_DEP_1) | instskip(SKIP_1) | instid1(VALU_DEP_1)
	v_cmp_ne_u32_e32 vcc_lo, 0, v8
	v_and_b32_e32 v27, 3, v13
	v_or3_b32 v2, v26, v2, v27
	s_delay_alu instid0(VALU_DEP_1)
	v_cndmask_b32_e32 v8, 0, v2, vcc_lo
.LBB6_392:                              ;   in Loop: Header=BB6_144 Depth=3
	s_or_b32 exec_lo, exec_lo, s36
.LBB6_393:                              ;   in Loop: Header=BB6_144 Depth=3
	s_delay_alu instid0(SALU_CYCLE_1) | instskip(SKIP_4) | instid1(VALU_DEP_1)
	s_or_b32 exec_lo, exec_lo, s35
	scratch_store_b32 off, v8, s33 offset:452 ; 4-byte Folded Spill
	v_and_b32_e32 v8, 0xff, v9
	s_mov_b32 s13, 0
	s_mov_b32 s36, exec_lo
                                        ; implicit-def: $sgpr35
	v_cmpx_lt_i16_e32 0x7f, v8
	s_xor_b32 s36, exec_lo, s36
	s_cbranch_execnz .LBB6_1767
; %bb.394:                              ;   in Loop: Header=BB6_144 Depth=3
	s_or_saveexec_b32 s36, s36
	v_mov_b32_e32 v2, s35
	s_xor_b32 exec_lo, exec_lo, s36
	s_cbranch_execnz .LBB6_1770
.LBB6_395:                              ;   in Loop: Header=BB6_144 Depth=3
	s_or_b32 exec_lo, exec_lo, s36
	s_and_saveexec_b32 s35, s13
	s_cbranch_execz .LBB6_397
.LBB6_396:                              ;   in Loop: Header=BB6_144 Depth=3
	v_and_b32_e32 v2, 3, v9
	v_bfe_u32 v26, v9, 2, 5
	v_lshlrev_b32_e32 v27, 24, v9
	s_delay_alu instid0(VALU_DEP_3) | instskip(NEXT) | instid1(VALU_DEP_3)
	v_clz_i32_u32_e32 v8, v2
	v_cmp_eq_u32_e32 vcc_lo, 0, v26
	s_delay_alu instid0(VALU_DEP_2) | instskip(NEXT) | instid1(VALU_DEP_1)
	v_min_u32_e32 v8, 32, v8
	v_subrev_nc_u32_e32 v13, 29, v8
	v_sub_nc_u32_e32 v8, 30, v8
	s_delay_alu instid0(VALU_DEP_1) | instskip(NEXT) | instid1(VALU_DEP_1)
	v_dual_cndmask_b32 v8, v26, v8 :: v_dual_lshlrev_b32 v13, v13, v9
	v_and_b32_e32 v13, 3, v13
	s_delay_alu instid0(VALU_DEP_2) | instskip(NEXT) | instid1(VALU_DEP_2)
	v_lshl_add_u32 v8, v8, 23, 0x37800000
	v_dual_cndmask_b32 v2, v2, v13 :: v_dual_and_b32 v13, 0x80000000, v27
	s_delay_alu instid0(VALU_DEP_1) | instskip(NEXT) | instid1(VALU_DEP_1)
	v_lshlrev_b32_e32 v2, 21, v2
	v_or3_b32 v2, v13, v8, v2
.LBB6_397:                              ;   in Loop: Header=BB6_144 Depth=3
	s_or_b32 exec_lo, exec_lo, s35
	s_delay_alu instid0(VALU_DEP_1) | instskip(NEXT) | instid1(VALU_DEP_1)
	v_mul_f32_e32 v2, s34, v2
	v_and_b32_e32 v8, 0x7f800000, v2
	s_delay_alu instid0(VALU_DEP_1)
	v_cmp_ne_u32_e32 vcc_lo, 0x7f800000, v8
	v_mov_b32_e32 v8, 0x80
	scratch_store_b32 off, v8, s33 offset:372 ; 4-byte Folded Spill
	s_and_saveexec_b32 s35, vcc_lo
	s_cbranch_execz .LBB6_405
; %bb.398:                              ;   in Loop: Header=BB6_144 Depth=3
	v_mov_b32_e32 v8, 0
	s_mov_b32 s36, exec_lo
	scratch_store_b32 off, v8, s33 offset:372 ; 4-byte Folded Spill
	v_cmpx_ne_u32_e32 0, v2
	s_cbranch_execz .LBB6_404
; %bb.399:                              ;   in Loop: Header=BB6_144 Depth=3
	v_bfe_u32 v8, v2, 23, 8
	v_and_b32_e32 v13, 0x7fffff, v2
	s_delay_alu instid0(VALU_DEP_2) | instskip(SKIP_1) | instid1(VALU_DEP_3)
	v_sub_nc_u32_e32 v26, 0x70, v8
	v_cmp_gt_u32_e32 vcc_lo, 0x71, v8
	v_or_b32_e32 v27, 0x800000, v13
	s_delay_alu instid0(VALU_DEP_3) | instskip(SKIP_1) | instid1(VALU_DEP_3)
	v_cndmask_b32_e32 v26, 0, v26, vcc_lo
	v_cmp_eq_u32_e32 vcc_lo, 0, v8
	v_dual_cndmask_b32 v13, v27, v13 :: v_dual_add_nc_u32 v8, 0xffffff91, v8
	s_delay_alu instid0(VALU_DEP_3) | instskip(NEXT) | instid1(VALU_DEP_2)
	v_cndmask_b32_e64 v26, v26, 0x6f, vcc_lo
	v_cndmask_b32_e64 v8, v8, 0xffffff92, vcc_lo
	s_delay_alu instid0(VALU_DEP_2) | instskip(SKIP_2) | instid1(VALU_DEP_4)
	v_lshrrev_b32_e32 v36, v26, v13
	v_lshl_add_u32 v27, 0x200000, v26, -1
	v_lshlrev_b32_e64 v38, v26, 0x100000
	v_add_nc_u32_e32 v26, v26, v8
	s_delay_alu instid0(VALU_DEP_4) | instskip(NEXT) | instid1(VALU_DEP_4)
	v_bfe_u32 v37, v36, 21, 1
	v_and_b32_e32 v13, v27, v13
	s_delay_alu instid0(VALU_DEP_2) | instskip(NEXT) | instid1(VALU_DEP_2)
	v_add_nc_u32_e32 v27, -1, v37
	v_cmp_eq_u32_e64 s13, v13, v38
	s_delay_alu instid0(VALU_DEP_1) | instskip(SKIP_2) | instid1(VALU_DEP_2)
	v_cndmask_b32_e64 v13, 0, v27, s13
	v_lshrrev_b32_e32 v27, 23, v36
	s_mov_b32 s13, exec_lo
	v_add_nc_u32_e32 v13, v13, v36
	s_delay_alu instid0(VALU_DEP_2) | instskip(NEXT) | instid1(VALU_DEP_2)
	v_xor_b32_e32 v27, 1, v27
	v_and_b32_e32 v8, 0x1fffff, v13
	s_delay_alu instid0(VALU_DEP_1) | instskip(NEXT) | instid1(VALU_DEP_3)
	v_add_nc_u32_e32 v13, v8, v36
                                        ; implicit-def: $vgpr8
	v_cmpx_ne_u32_e64 v26, v27
	s_xor_b32 s13, exec_lo, s13
; %bb.400:                              ;   in Loop: Header=BB6_144 Depth=3
	s_delay_alu instid0(VALU_DEP_2) | instskip(SKIP_2) | instid1(VALU_DEP_2)
	v_cmp_lt_u32_e32 vcc_lo, 0xffffff, v13
	v_sub_nc_u32_e32 v8, v26, v27
	v_cndmask_b32_e64 v26, 0, 1, vcc_lo
	v_add_co_ci_u32_e32 v8, vcc_lo, 0, v8, vcc_lo
	s_delay_alu instid0(VALU_DEP_2)
	v_lshrrev_b32_e32 v13, v26, v13
; %bb.401:                              ;   in Loop: Header=BB6_144 Depth=3
	s_and_not1_saveexec_b32 s13, s13
; %bb.402:                              ;   in Loop: Header=BB6_144 Depth=3
	s_delay_alu instid0(VALU_DEP_1)
	v_bfe_u32 v8, v13, 23, 1
; %bb.403:                              ;   in Loop: Header=BB6_144 Depth=3
	s_or_b32 exec_lo, exec_lo, s13
	v_lshrrev_b32_e32 v13, 21, v13
	s_delay_alu instid0(VALU_DEP_2) | instskip(SKIP_3) | instid1(VALU_DEP_3)
	v_cmp_gt_i32_e32 vcc_lo, 32, v8
	v_min_i32_e32 v26, 31, v8
	v_lshrrev_b32_e32 v2, 24, v2
	v_mov_b32_e32 v51, v128
	v_dual_cndmask_b32 v13, 3, v13 :: v_dual_lshlrev_b32 v26, 2, v26
	s_delay_alu instid0(VALU_DEP_3) | instskip(NEXT) | instid1(VALU_DEP_2)
	v_and_b32_e32 v2, 0x80, v2
	v_or_b32_e32 v8, v8, v13
	s_delay_alu instid0(VALU_DEP_3) | instskip(NEXT) | instid1(VALU_DEP_2)
	v_and_b32_e32 v26, 0xfc, v26
	v_cmp_ne_u32_e32 vcc_lo, 0, v8
	v_and_b32_e32 v27, 3, v13
	s_delay_alu instid0(VALU_DEP_1) | instskip(NEXT) | instid1(VALU_DEP_1)
	v_or3_b32 v2, v26, v2, v27
	v_cndmask_b32_e32 v2, 0, v2, vcc_lo
	scratch_store_b32 off, v2, s33 offset:372 ; 4-byte Folded Spill
.LBB6_404:                              ;   in Loop: Header=BB6_144 Depth=3
	s_or_b32 exec_lo, exec_lo, s36
.LBB6_405:                              ;   in Loop: Header=BB6_144 Depth=3
	s_delay_alu instid0(SALU_CYCLE_1) | instskip(SKIP_3) | instid1(VALU_DEP_1)
	s_or_b32 exec_lo, exec_lo, s35
	v_lshrrev_b16 v2, 8, v9
	s_mov_b32 s13, 0
	s_mov_b32 s36, exec_lo
                                        ; implicit-def: $sgpr35
	v_cmpx_lt_i16_e32 0x7f, v2
	s_xor_b32 s36, exec_lo, s36
	s_cbranch_execnz .LBB6_1771
; %bb.406:                              ;   in Loop: Header=BB6_144 Depth=3
	s_or_saveexec_b32 s36, s36
	v_mov_b32_e32 v8, s35
	s_xor_b32 exec_lo, exec_lo, s36
	s_cbranch_execnz .LBB6_1774
.LBB6_407:                              ;   in Loop: Header=BB6_144 Depth=3
	s_or_b32 exec_lo, exec_lo, s36
	s_and_saveexec_b32 s35, s13
	s_cbranch_execz .LBB6_409
.LBB6_408:                              ;   in Loop: Header=BB6_144 Depth=3
	v_and_b32_e32 v8, 0xffff, v2
	v_lshlrev_b32_e32 v2, 24, v2
	s_delay_alu instid0(VALU_DEP_2) | instskip(NEXT) | instid1(VALU_DEP_2)
	v_and_b32_e32 v13, 3, v8
	v_and_b32_e32 v2, 0x80000000, v2
	s_delay_alu instid0(VALU_DEP_2) | instskip(NEXT) | instid1(VALU_DEP_1)
	v_clz_i32_u32_e32 v26, v13
	v_min_u32_e32 v26, 32, v26
	s_delay_alu instid0(VALU_DEP_1) | instskip(SKIP_1) | instid1(VALU_DEP_2)
	v_subrev_nc_u32_e32 v27, 29, v26
	v_sub_nc_u32_e32 v26, 30, v26
	v_lshlrev_b32_e32 v27, v27, v8
	v_bfe_u32 v8, v8, 2, 5
	s_delay_alu instid0(VALU_DEP_2) | instskip(NEXT) | instid1(VALU_DEP_2)
	v_and_b32_e32 v27, 3, v27
	v_cmp_eq_u32_e32 vcc_lo, 0, v8
	s_delay_alu instid0(VALU_DEP_2) | instskip(NEXT) | instid1(VALU_DEP_1)
	v_dual_cndmask_b32 v8, v8, v26 :: v_dual_cndmask_b32 v13, v13, v27
	v_lshl_add_u32 v8, v8, 23, 0x37800000
	s_delay_alu instid0(VALU_DEP_2) | instskip(NEXT) | instid1(VALU_DEP_1)
	v_lshlrev_b32_e32 v13, 21, v13
	v_or3_b32 v8, v2, v8, v13
.LBB6_409:                              ;   in Loop: Header=BB6_144 Depth=3
	s_or_b32 exec_lo, exec_lo, s35
	s_delay_alu instid0(VALU_DEP_1) | instskip(NEXT) | instid1(VALU_DEP_1)
	v_mul_f32_e32 v2, s34, v8
	v_and_b32_e32 v8, 0x7f800000, v2
	s_delay_alu instid0(VALU_DEP_1)
	v_cmp_ne_u32_e32 vcc_lo, 0x7f800000, v8
	v_mov_b32_e32 v8, 0x8000
	s_and_saveexec_b32 s35, vcc_lo
	s_cbranch_execz .LBB6_417
; %bb.410:                              ;   in Loop: Header=BB6_144 Depth=3
	v_mov_b32_e32 v8, 0
	s_mov_b32 s36, exec_lo
	v_cmpx_ne_u32_e32 0, v2
	s_cbranch_execz .LBB6_416
; %bb.411:                              ;   in Loop: Header=BB6_144 Depth=3
	v_bfe_u32 v8, v2, 23, 8
	v_and_b32_e32 v13, 0x7fffff, v2
	s_delay_alu instid0(VALU_DEP_2) | instskip(SKIP_1) | instid1(VALU_DEP_3)
	v_sub_nc_u32_e32 v26, 0x70, v8
	v_cmp_gt_u32_e32 vcc_lo, 0x71, v8
	v_or_b32_e32 v27, 0x800000, v13
	s_delay_alu instid0(VALU_DEP_3) | instskip(SKIP_1) | instid1(VALU_DEP_3)
	v_cndmask_b32_e32 v26, 0, v26, vcc_lo
	v_cmp_eq_u32_e32 vcc_lo, 0, v8
	v_dual_cndmask_b32 v13, v27, v13 :: v_dual_add_nc_u32 v8, 0xffffff91, v8
	s_delay_alu instid0(VALU_DEP_3) | instskip(NEXT) | instid1(VALU_DEP_2)
	v_cndmask_b32_e64 v26, v26, 0x6f, vcc_lo
	v_cndmask_b32_e64 v8, v8, 0xffffff92, vcc_lo
	s_delay_alu instid0(VALU_DEP_2) | instskip(SKIP_2) | instid1(VALU_DEP_4)
	v_lshrrev_b32_e32 v36, v26, v13
	v_lshl_add_u32 v27, 0x200000, v26, -1
	v_lshlrev_b32_e64 v38, v26, 0x100000
	v_add_nc_u32_e32 v26, v26, v8
	s_delay_alu instid0(VALU_DEP_4) | instskip(NEXT) | instid1(VALU_DEP_4)
	v_bfe_u32 v37, v36, 21, 1
	v_and_b32_e32 v13, v27, v13
	s_delay_alu instid0(VALU_DEP_2) | instskip(NEXT) | instid1(VALU_DEP_2)
	v_add_nc_u32_e32 v27, -1, v37
	v_cmp_eq_u32_e64 s13, v13, v38
	s_delay_alu instid0(VALU_DEP_1) | instskip(SKIP_2) | instid1(VALU_DEP_2)
	v_cndmask_b32_e64 v13, 0, v27, s13
	v_lshrrev_b32_e32 v27, 23, v36
	s_mov_b32 s13, exec_lo
	v_add_nc_u32_e32 v13, v13, v36
	s_delay_alu instid0(VALU_DEP_2) | instskip(NEXT) | instid1(VALU_DEP_2)
	v_xor_b32_e32 v27, 1, v27
	v_and_b32_e32 v8, 0x1fffff, v13
	s_delay_alu instid0(VALU_DEP_1) | instskip(NEXT) | instid1(VALU_DEP_3)
	v_add_nc_u32_e32 v13, v8, v36
                                        ; implicit-def: $vgpr8
	v_cmpx_ne_u32_e64 v26, v27
	s_xor_b32 s13, exec_lo, s13
; %bb.412:                              ;   in Loop: Header=BB6_144 Depth=3
	s_delay_alu instid0(VALU_DEP_2) | instskip(SKIP_2) | instid1(VALU_DEP_2)
	v_cmp_lt_u32_e32 vcc_lo, 0xffffff, v13
	v_sub_nc_u32_e32 v8, v26, v27
	v_cndmask_b32_e64 v26, 0, 1, vcc_lo
	v_add_co_ci_u32_e32 v8, vcc_lo, 0, v8, vcc_lo
	s_delay_alu instid0(VALU_DEP_2)
	v_lshrrev_b32_e32 v13, v26, v13
; %bb.413:                              ;   in Loop: Header=BB6_144 Depth=3
	s_and_not1_saveexec_b32 s13, s13
; %bb.414:                              ;   in Loop: Header=BB6_144 Depth=3
	s_delay_alu instid0(VALU_DEP_1)
	v_bfe_u32 v8, v13, 23, 1
; %bb.415:                              ;   in Loop: Header=BB6_144 Depth=3
	s_or_b32 exec_lo, exec_lo, s13
	v_lshrrev_b32_e32 v13, 21, v13
	s_delay_alu instid0(VALU_DEP_2) | instskip(SKIP_3) | instid1(VALU_DEP_3)
	v_cmp_gt_i32_e32 vcc_lo, 32, v8
	v_min_i32_e32 v26, 31, v8
	v_lshrrev_b32_e32 v2, 24, v2
	v_mov_b32_e32 v51, v128
	v_dual_cndmask_b32 v13, 3, v13 :: v_dual_lshlrev_b32 v26, 2, v26
	s_delay_alu instid0(VALU_DEP_3) | instskip(NEXT) | instid1(VALU_DEP_2)
	v_and_b32_e32 v2, 0x80, v2
	v_or_b32_e32 v8, v8, v13
	s_delay_alu instid0(VALU_DEP_3) | instskip(NEXT) | instid1(VALU_DEP_2)
	v_and_b32_e32 v26, 0xfc, v26
	v_cmp_ne_u32_e32 vcc_lo, 0, v8
	v_and_b32_e32 v27, 3, v13
	s_delay_alu instid0(VALU_DEP_1) | instskip(NEXT) | instid1(VALU_DEP_1)
	v_or3_b32 v2, v2, v26, v27
	v_lshlrev_b32_e32 v2, 8, v2
	s_delay_alu instid0(VALU_DEP_1)
	v_cndmask_b32_e32 v8, 0, v2, vcc_lo
.LBB6_416:                              ;   in Loop: Header=BB6_144 Depth=3
	s_or_b32 exec_lo, exec_lo, s36
.LBB6_417:                              ;   in Loop: Header=BB6_144 Depth=3
	s_delay_alu instid0(SALU_CYCLE_1)
	s_or_b32 exec_lo, exec_lo, s35
	v_lshrrev_b32_e32 v2, 16, v9
	s_mov_b32 s13, 0
	s_mov_b32 s36, exec_lo
	scratch_store_b32 off, v8, s33 offset:456 ; 4-byte Folded Spill
                                        ; implicit-def: $sgpr35
	v_and_b32_e32 v13, 0xff, v2
	s_delay_alu instid0(VALU_DEP_1)
	v_cmpx_lt_i16_e32 0x7f, v13
	s_xor_b32 s36, exec_lo, s36
	s_cbranch_execnz .LBB6_1775
; %bb.418:                              ;   in Loop: Header=BB6_144 Depth=3
	s_or_saveexec_b32 s36, s36
	v_mov_b32_e32 v8, s35
	s_xor_b32 exec_lo, exec_lo, s36
	s_cbranch_execnz .LBB6_1778
.LBB6_419:                              ;   in Loop: Header=BB6_144 Depth=3
	s_or_b32 exec_lo, exec_lo, s36
	s_and_saveexec_b32 s35, s13
	s_cbranch_execz .LBB6_421
.LBB6_420:                              ;   in Loop: Header=BB6_144 Depth=3
	v_bfe_u32 v8, v9, 16, 2
	s_delay_alu instid0(VALU_DEP_1) | instskip(NEXT) | instid1(VALU_DEP_1)
	v_clz_i32_u32_e32 v13, v8
	v_min_u32_e32 v13, 32, v13
	s_delay_alu instid0(VALU_DEP_1) | instskip(SKIP_1) | instid1(VALU_DEP_2)
	v_subrev_nc_u32_e32 v26, 29, v13
	v_sub_nc_u32_e32 v13, 30, v13
	v_lshlrev_b32_e32 v2, v26, v2
	v_bfe_u32 v26, v9, 18, 5
	s_delay_alu instid0(VALU_DEP_1) | instskip(NEXT) | instid1(VALU_DEP_3)
	v_cmp_eq_u32_e32 vcc_lo, 0, v26
	v_dual_cndmask_b32 v13, v26, v13 :: v_dual_and_b32 v2, 3, v2
	s_delay_alu instid0(VALU_DEP_1) | instskip(NEXT) | instid1(VALU_DEP_2)
	v_dual_cndmask_b32 v2, v8, v2 :: v_dual_lshlrev_b32 v27, 8, v9
	v_lshl_add_u32 v13, v13, 23, 0x37800000
	s_delay_alu instid0(VALU_DEP_2) | instskip(NEXT) | instid1(VALU_DEP_3)
	v_and_b32_e32 v8, 0x80000000, v27
	v_lshlrev_b32_e32 v2, 21, v2
	s_delay_alu instid0(VALU_DEP_1)
	v_or3_b32 v8, v8, v13, v2
.LBB6_421:                              ;   in Loop: Header=BB6_144 Depth=3
	s_or_b32 exec_lo, exec_lo, s35
	s_delay_alu instid0(VALU_DEP_1) | instskip(NEXT) | instid1(VALU_DEP_1)
	v_mul_f32_e32 v2, s34, v8
	v_and_b32_e32 v8, 0x7f800000, v2
	s_delay_alu instid0(VALU_DEP_1)
	v_cmp_ne_u32_e32 vcc_lo, 0x7f800000, v8
	v_mov_b32_e32 v8, 0x80
	scratch_store_b32 off, v8, s33 offset:376 ; 4-byte Folded Spill
	s_and_saveexec_b32 s35, vcc_lo
	s_cbranch_execz .LBB6_429
; %bb.422:                              ;   in Loop: Header=BB6_144 Depth=3
	v_mov_b32_e32 v8, 0
	s_mov_b32 s36, exec_lo
	scratch_store_b32 off, v8, s33 offset:376 ; 4-byte Folded Spill
	v_cmpx_ne_u32_e32 0, v2
	s_cbranch_execz .LBB6_428
; %bb.423:                              ;   in Loop: Header=BB6_144 Depth=3
	v_bfe_u32 v8, v2, 23, 8
	v_and_b32_e32 v13, 0x7fffff, v2
	s_delay_alu instid0(VALU_DEP_2) | instskip(SKIP_1) | instid1(VALU_DEP_3)
	v_sub_nc_u32_e32 v26, 0x70, v8
	v_cmp_gt_u32_e32 vcc_lo, 0x71, v8
	v_or_b32_e32 v27, 0x800000, v13
	s_delay_alu instid0(VALU_DEP_3) | instskip(SKIP_1) | instid1(VALU_DEP_3)
	v_cndmask_b32_e32 v26, 0, v26, vcc_lo
	v_cmp_eq_u32_e32 vcc_lo, 0, v8
	v_dual_cndmask_b32 v13, v27, v13 :: v_dual_add_nc_u32 v8, 0xffffff91, v8
	s_delay_alu instid0(VALU_DEP_3) | instskip(NEXT) | instid1(VALU_DEP_2)
	v_cndmask_b32_e64 v26, v26, 0x6f, vcc_lo
	v_cndmask_b32_e64 v8, v8, 0xffffff92, vcc_lo
	s_delay_alu instid0(VALU_DEP_2) | instskip(SKIP_2) | instid1(VALU_DEP_4)
	v_lshrrev_b32_e32 v36, v26, v13
	v_lshl_add_u32 v27, 0x200000, v26, -1
	v_lshlrev_b32_e64 v38, v26, 0x100000
	v_add_nc_u32_e32 v26, v26, v8
	s_delay_alu instid0(VALU_DEP_4) | instskip(NEXT) | instid1(VALU_DEP_4)
	v_bfe_u32 v37, v36, 21, 1
	v_and_b32_e32 v13, v27, v13
	s_delay_alu instid0(VALU_DEP_2) | instskip(NEXT) | instid1(VALU_DEP_2)
	v_add_nc_u32_e32 v27, -1, v37
	v_cmp_eq_u32_e64 s13, v13, v38
	s_delay_alu instid0(VALU_DEP_1) | instskip(SKIP_2) | instid1(VALU_DEP_2)
	v_cndmask_b32_e64 v13, 0, v27, s13
	v_lshrrev_b32_e32 v27, 23, v36
	s_mov_b32 s13, exec_lo
	v_add_nc_u32_e32 v13, v13, v36
	s_delay_alu instid0(VALU_DEP_2) | instskip(NEXT) | instid1(VALU_DEP_2)
	v_xor_b32_e32 v27, 1, v27
	v_and_b32_e32 v8, 0x1fffff, v13
	s_delay_alu instid0(VALU_DEP_1) | instskip(NEXT) | instid1(VALU_DEP_3)
	v_add_nc_u32_e32 v13, v8, v36
                                        ; implicit-def: $vgpr8
	v_cmpx_ne_u32_e64 v26, v27
	s_xor_b32 s13, exec_lo, s13
; %bb.424:                              ;   in Loop: Header=BB6_144 Depth=3
	s_delay_alu instid0(VALU_DEP_2) | instskip(SKIP_2) | instid1(VALU_DEP_2)
	v_cmp_lt_u32_e32 vcc_lo, 0xffffff, v13
	v_sub_nc_u32_e32 v8, v26, v27
	v_cndmask_b32_e64 v26, 0, 1, vcc_lo
	v_add_co_ci_u32_e32 v8, vcc_lo, 0, v8, vcc_lo
	s_delay_alu instid0(VALU_DEP_2)
	v_lshrrev_b32_e32 v13, v26, v13
; %bb.425:                              ;   in Loop: Header=BB6_144 Depth=3
	s_and_not1_saveexec_b32 s13, s13
; %bb.426:                              ;   in Loop: Header=BB6_144 Depth=3
	s_delay_alu instid0(VALU_DEP_1)
	v_bfe_u32 v8, v13, 23, 1
; %bb.427:                              ;   in Loop: Header=BB6_144 Depth=3
	s_or_b32 exec_lo, exec_lo, s13
	v_lshrrev_b32_e32 v13, 21, v13
	s_delay_alu instid0(VALU_DEP_2) | instskip(SKIP_3) | instid1(VALU_DEP_3)
	v_cmp_gt_i32_e32 vcc_lo, 32, v8
	v_min_i32_e32 v26, 31, v8
	v_lshrrev_b32_e32 v2, 24, v2
	v_mov_b32_e32 v51, v128
	v_dual_cndmask_b32 v13, 3, v13 :: v_dual_lshlrev_b32 v26, 2, v26
	s_delay_alu instid0(VALU_DEP_3) | instskip(NEXT) | instid1(VALU_DEP_2)
	v_and_b32_e32 v2, 0x80, v2
	v_or_b32_e32 v8, v8, v13
	s_delay_alu instid0(VALU_DEP_3) | instskip(NEXT) | instid1(VALU_DEP_2)
	v_and_b32_e32 v26, 0xfc, v26
	v_cmp_ne_u32_e32 vcc_lo, 0, v8
	v_and_b32_e32 v27, 3, v13
	s_delay_alu instid0(VALU_DEP_1) | instskip(NEXT) | instid1(VALU_DEP_1)
	v_or3_b32 v2, v26, v2, v27
	v_cndmask_b32_e32 v2, 0, v2, vcc_lo
	scratch_store_b32 off, v2, s33 offset:376 ; 4-byte Folded Spill
.LBB6_428:                              ;   in Loop: Header=BB6_144 Depth=3
	s_or_b32 exec_lo, exec_lo, s36
.LBB6_429:                              ;   in Loop: Header=BB6_144 Depth=3
	s_delay_alu instid0(SALU_CYCLE_1) | instskip(SKIP_3) | instid1(VALU_DEP_1)
	s_or_b32 exec_lo, exec_lo, s35
	v_lshrrev_b32_e32 v2, 24, v9
	s_mov_b32 s13, 0
	s_mov_b32 s36, exec_lo
                                        ; implicit-def: $sgpr35
	v_cmpx_lt_i16_e32 0x7f, v2
	s_xor_b32 s36, exec_lo, s36
	s_cbranch_execnz .LBB6_1779
; %bb.430:                              ;   in Loop: Header=BB6_144 Depth=3
	s_or_saveexec_b32 s36, s36
	v_mov_b32_e32 v8, s35
	s_xor_b32 exec_lo, exec_lo, s36
	s_cbranch_execnz .LBB6_1782
.LBB6_431:                              ;   in Loop: Header=BB6_144 Depth=3
	s_or_b32 exec_lo, exec_lo, s36
	s_and_saveexec_b32 s35, s13
	s_cbranch_execz .LBB6_433
.LBB6_432:                              ;   in Loop: Header=BB6_144 Depth=3
	v_bfe_u32 v8, v9, 24, 2
	s_delay_alu instid0(VALU_DEP_1) | instskip(NEXT) | instid1(VALU_DEP_1)
	v_clz_i32_u32_e32 v13, v8
	v_min_u32_e32 v13, 32, v13
	s_delay_alu instid0(VALU_DEP_1) | instskip(SKIP_1) | instid1(VALU_DEP_2)
	v_subrev_nc_u32_e32 v26, 29, v13
	v_sub_nc_u32_e32 v13, 30, v13
	v_lshlrev_b32_e32 v2, v26, v2
	v_bfe_u32 v26, v9, 26, 5
	s_delay_alu instid0(VALU_DEP_1) | instskip(NEXT) | instid1(VALU_DEP_3)
	v_cmp_eq_u32_e32 vcc_lo, 0, v26
	v_dual_cndmask_b32 v13, v26, v13 :: v_dual_and_b32 v2, 3, v2
	s_delay_alu instid0(VALU_DEP_1) | instskip(SKIP_1) | instid1(VALU_DEP_3)
	v_cndmask_b32_e32 v2, v8, v2, vcc_lo
	v_and_b32_e32 v8, 0x80000000, v9
	v_lshl_add_u32 v9, v13, 23, 0x37800000
	s_delay_alu instid0(VALU_DEP_3) | instskip(NEXT) | instid1(VALU_DEP_1)
	v_lshlrev_b32_e32 v2, 21, v2
	v_or3_b32 v8, v8, v9, v2
.LBB6_433:                              ;   in Loop: Header=BB6_144 Depth=3
	s_or_b32 exec_lo, exec_lo, s35
	s_delay_alu instid0(VALU_DEP_1) | instskip(NEXT) | instid1(VALU_DEP_1)
	v_mul_f32_e32 v2, s34, v8
	v_and_b32_e32 v8, 0x7f800000, v2
	s_delay_alu instid0(VALU_DEP_1)
	v_cmp_ne_u32_e32 vcc_lo, 0x7f800000, v8
	v_mov_b32_e32 v8, 0x8000
	s_and_saveexec_b32 s35, vcc_lo
	s_cbranch_execz .LBB6_441
; %bb.434:                              ;   in Loop: Header=BB6_144 Depth=3
	v_mov_b32_e32 v8, 0
	s_mov_b32 s36, exec_lo
	v_cmpx_ne_u32_e32 0, v2
	s_cbranch_execz .LBB6_440
; %bb.435:                              ;   in Loop: Header=BB6_144 Depth=3
	v_bfe_u32 v8, v2, 23, 8
	v_and_b32_e32 v9, 0x7fffff, v2
	s_delay_alu instid0(VALU_DEP_2) | instskip(SKIP_1) | instid1(VALU_DEP_3)
	v_sub_nc_u32_e32 v13, 0x70, v8
	v_cmp_gt_u32_e32 vcc_lo, 0x71, v8
	v_or_b32_e32 v26, 0x800000, v9
	s_delay_alu instid0(VALU_DEP_3) | instskip(SKIP_2) | instid1(VALU_DEP_3)
	v_cndmask_b32_e32 v13, 0, v13, vcc_lo
	v_cmp_eq_u32_e32 vcc_lo, 0, v8
	v_add_nc_u32_e32 v8, 0xffffff91, v8
	v_cndmask_b32_e64 v13, v13, 0x6f, vcc_lo
	v_cndmask_b32_e32 v9, v26, v9, vcc_lo
	s_delay_alu instid0(VALU_DEP_3) | instskip(NEXT) | instid1(VALU_DEP_3)
	v_cndmask_b32_e64 v8, v8, 0xffffff92, vcc_lo
	v_lshl_add_u32 v26, 0x200000, v13, -1
	s_delay_alu instid0(VALU_DEP_3) | instskip(SKIP_1) | instid1(VALU_DEP_4)
	v_lshrrev_b32_e32 v27, v13, v9
	v_lshlrev_b32_e64 v37, v13, 0x100000
	v_add_nc_u32_e32 v13, v13, v8
	s_delay_alu instid0(VALU_DEP_4) | instskip(NEXT) | instid1(VALU_DEP_4)
	v_and_b32_e32 v9, v26, v9
	v_bfe_u32 v36, v27, 21, 1
	s_delay_alu instid0(VALU_DEP_2) | instskip(NEXT) | instid1(VALU_DEP_2)
	v_cmp_eq_u32_e64 s13, v9, v37
	v_add_nc_u32_e32 v26, -1, v36
	s_delay_alu instid0(VALU_DEP_1) | instskip(SKIP_2) | instid1(VALU_DEP_2)
	v_cndmask_b32_e64 v9, 0, v26, s13
	v_lshrrev_b32_e32 v26, 23, v27
	s_mov_b32 s13, exec_lo
	v_add_nc_u32_e32 v9, v9, v27
	s_delay_alu instid0(VALU_DEP_2) | instskip(NEXT) | instid1(VALU_DEP_2)
	v_xor_b32_e32 v26, 1, v26
	v_and_b32_e32 v8, 0x1fffff, v9
	s_delay_alu instid0(VALU_DEP_1) | instskip(NEXT) | instid1(VALU_DEP_3)
	v_add_nc_u32_e32 v9, v8, v27
                                        ; implicit-def: $vgpr8
	v_cmpx_ne_u32_e64 v13, v26
	s_xor_b32 s13, exec_lo, s13
; %bb.436:                              ;   in Loop: Header=BB6_144 Depth=3
	s_delay_alu instid0(VALU_DEP_2) | instskip(SKIP_2) | instid1(VALU_DEP_2)
	v_cmp_lt_u32_e32 vcc_lo, 0xffffff, v9
	v_sub_nc_u32_e32 v8, v13, v26
	v_cndmask_b32_e64 v13, 0, 1, vcc_lo
	v_add_co_ci_u32_e32 v8, vcc_lo, 0, v8, vcc_lo
	s_delay_alu instid0(VALU_DEP_2)
	v_lshrrev_b32_e32 v9, v13, v9
; %bb.437:                              ;   in Loop: Header=BB6_144 Depth=3
	s_and_not1_saveexec_b32 s13, s13
; %bb.438:                              ;   in Loop: Header=BB6_144 Depth=3
	s_delay_alu instid0(VALU_DEP_1)
	v_bfe_u32 v8, v9, 23, 1
; %bb.439:                              ;   in Loop: Header=BB6_144 Depth=3
	s_or_b32 exec_lo, exec_lo, s13
	v_lshrrev_b32_e32 v9, 21, v9
	s_delay_alu instid0(VALU_DEP_2) | instskip(SKIP_3) | instid1(VALU_DEP_3)
	v_cmp_gt_i32_e32 vcc_lo, 32, v8
	v_lshrrev_b32_e32 v2, 24, v2
	v_min_i32_e32 v13, 31, v8
	v_mov_b32_e32 v51, v128
	v_dual_cndmask_b32 v9, 3, v9 :: v_dual_and_b32 v2, 0x80, v2
	s_delay_alu instid0(VALU_DEP_1) | instskip(SKIP_1) | instid1(VALU_DEP_2)
	v_or_b32_e32 v8, v8, v9
	v_and_b32_e32 v26, 3, v9
	v_cmp_ne_u32_e32 vcc_lo, 0, v8
	v_lshlrev_b32_e32 v13, 2, v13
	s_delay_alu instid0(VALU_DEP_1) | instskip(NEXT) | instid1(VALU_DEP_1)
	v_and_b32_e32 v13, 0xfc, v13
	v_or3_b32 v2, v2, v13, v26
	s_delay_alu instid0(VALU_DEP_1) | instskip(NEXT) | instid1(VALU_DEP_1)
	v_lshlrev_b32_e32 v2, 8, v2
	v_cndmask_b32_e32 v8, 0, v2, vcc_lo
.LBB6_440:                              ;   in Loop: Header=BB6_144 Depth=3
	s_or_b32 exec_lo, exec_lo, s36
.LBB6_441:                              ;   in Loop: Header=BB6_144 Depth=3
	s_delay_alu instid0(SALU_CYCLE_1) | instskip(SKIP_4) | instid1(VALU_DEP_1)
	s_or_b32 exec_lo, exec_lo, s35
	scratch_store_b32 off, v8, s33 offset:460 ; 4-byte Folded Spill
	v_and_b32_e32 v8, 0xff, v10
	s_mov_b32 s13, 0
	s_mov_b32 s36, exec_lo
                                        ; implicit-def: $sgpr35
	v_cmpx_lt_i16_e32 0x7f, v8
	s_xor_b32 s36, exec_lo, s36
	s_cbranch_execnz .LBB6_1783
; %bb.442:                              ;   in Loop: Header=BB6_144 Depth=3
	s_or_saveexec_b32 s36, s36
	v_mov_b32_e32 v2, s35
	s_xor_b32 exec_lo, exec_lo, s36
	s_cbranch_execnz .LBB6_1786
.LBB6_443:                              ;   in Loop: Header=BB6_144 Depth=3
	s_or_b32 exec_lo, exec_lo, s36
	s_and_saveexec_b32 s35, s13
	s_cbranch_execz .LBB6_445
.LBB6_444:                              ;   in Loop: Header=BB6_144 Depth=3
	v_and_b32_e32 v2, 3, v10
	v_bfe_u32 v13, v10, 2, 5
	v_lshlrev_b32_e32 v26, 24, v10
	s_delay_alu instid0(VALU_DEP_3) | instskip(NEXT) | instid1(VALU_DEP_3)
	v_clz_i32_u32_e32 v8, v2
	v_cmp_eq_u32_e32 vcc_lo, 0, v13
	s_delay_alu instid0(VALU_DEP_2) | instskip(NEXT) | instid1(VALU_DEP_1)
	v_min_u32_e32 v8, 32, v8
	v_subrev_nc_u32_e32 v9, 29, v8
	v_sub_nc_u32_e32 v8, 30, v8
	s_delay_alu instid0(VALU_DEP_2) | instskip(NEXT) | instid1(VALU_DEP_1)
	v_lshlrev_b32_e32 v9, v9, v10
	v_dual_cndmask_b32 v8, v13, v8 :: v_dual_and_b32 v9, 3, v9
	s_delay_alu instid0(VALU_DEP_1) | instskip(NEXT) | instid1(VALU_DEP_2)
	v_lshl_add_u32 v8, v8, 23, 0x37800000
	v_dual_cndmask_b32 v2, v2, v9 :: v_dual_and_b32 v9, 0x80000000, v26
	s_delay_alu instid0(VALU_DEP_1) | instskip(NEXT) | instid1(VALU_DEP_1)
	v_lshlrev_b32_e32 v2, 21, v2
	v_or3_b32 v2, v9, v8, v2
.LBB6_445:                              ;   in Loop: Header=BB6_144 Depth=3
	s_or_b32 exec_lo, exec_lo, s35
	s_delay_alu instid0(VALU_DEP_1) | instskip(NEXT) | instid1(VALU_DEP_1)
	v_mul_f32_e32 v2, s34, v2
	v_and_b32_e32 v8, 0x7f800000, v2
	s_delay_alu instid0(VALU_DEP_1)
	v_cmp_ne_u32_e32 vcc_lo, 0x7f800000, v8
	v_mov_b32_e32 v8, 0x80
	scratch_store_b32 off, v8, s33 offset:380 ; 4-byte Folded Spill
	s_and_saveexec_b32 s35, vcc_lo
	s_cbranch_execz .LBB6_453
; %bb.446:                              ;   in Loop: Header=BB6_144 Depth=3
	v_mov_b32_e32 v8, 0
	s_mov_b32 s36, exec_lo
	scratch_store_b32 off, v8, s33 offset:380 ; 4-byte Folded Spill
	v_cmpx_ne_u32_e32 0, v2
	s_cbranch_execz .LBB6_452
; %bb.447:                              ;   in Loop: Header=BB6_144 Depth=3
	v_bfe_u32 v8, v2, 23, 8
	v_and_b32_e32 v9, 0x7fffff, v2
	s_delay_alu instid0(VALU_DEP_2) | instskip(SKIP_1) | instid1(VALU_DEP_3)
	v_sub_nc_u32_e32 v13, 0x70, v8
	v_cmp_gt_u32_e32 vcc_lo, 0x71, v8
	v_or_b32_e32 v26, 0x800000, v9
	s_delay_alu instid0(VALU_DEP_3) | instskip(SKIP_2) | instid1(VALU_DEP_3)
	v_cndmask_b32_e32 v13, 0, v13, vcc_lo
	v_cmp_eq_u32_e32 vcc_lo, 0, v8
	v_add_nc_u32_e32 v8, 0xffffff91, v8
	v_cndmask_b32_e64 v13, v13, 0x6f, vcc_lo
	v_cndmask_b32_e32 v9, v26, v9, vcc_lo
	s_delay_alu instid0(VALU_DEP_3) | instskip(NEXT) | instid1(VALU_DEP_3)
	v_cndmask_b32_e64 v8, v8, 0xffffff92, vcc_lo
	v_lshl_add_u32 v26, 0x200000, v13, -1
	s_delay_alu instid0(VALU_DEP_3) | instskip(SKIP_1) | instid1(VALU_DEP_4)
	v_lshrrev_b32_e32 v27, v13, v9
	v_lshlrev_b32_e64 v37, v13, 0x100000
	v_add_nc_u32_e32 v13, v13, v8
	s_delay_alu instid0(VALU_DEP_4) | instskip(NEXT) | instid1(VALU_DEP_4)
	v_and_b32_e32 v9, v26, v9
	v_bfe_u32 v36, v27, 21, 1
	s_delay_alu instid0(VALU_DEP_2) | instskip(NEXT) | instid1(VALU_DEP_2)
	v_cmp_eq_u32_e64 s13, v9, v37
	v_add_nc_u32_e32 v26, -1, v36
	s_delay_alu instid0(VALU_DEP_1) | instskip(SKIP_2) | instid1(VALU_DEP_2)
	v_cndmask_b32_e64 v9, 0, v26, s13
	v_lshrrev_b32_e32 v26, 23, v27
	s_mov_b32 s13, exec_lo
	v_add_nc_u32_e32 v9, v9, v27
	s_delay_alu instid0(VALU_DEP_2) | instskip(NEXT) | instid1(VALU_DEP_2)
	v_xor_b32_e32 v26, 1, v26
	v_and_b32_e32 v8, 0x1fffff, v9
	s_delay_alu instid0(VALU_DEP_1) | instskip(NEXT) | instid1(VALU_DEP_3)
	v_add_nc_u32_e32 v9, v8, v27
                                        ; implicit-def: $vgpr8
	v_cmpx_ne_u32_e64 v13, v26
	s_xor_b32 s13, exec_lo, s13
; %bb.448:                              ;   in Loop: Header=BB6_144 Depth=3
	s_delay_alu instid0(VALU_DEP_2) | instskip(SKIP_2) | instid1(VALU_DEP_2)
	v_cmp_lt_u32_e32 vcc_lo, 0xffffff, v9
	v_sub_nc_u32_e32 v8, v13, v26
	v_cndmask_b32_e64 v13, 0, 1, vcc_lo
	v_add_co_ci_u32_e32 v8, vcc_lo, 0, v8, vcc_lo
	s_delay_alu instid0(VALU_DEP_2)
	v_lshrrev_b32_e32 v9, v13, v9
; %bb.449:                              ;   in Loop: Header=BB6_144 Depth=3
	s_and_not1_saveexec_b32 s13, s13
; %bb.450:                              ;   in Loop: Header=BB6_144 Depth=3
	s_delay_alu instid0(VALU_DEP_1)
	v_bfe_u32 v8, v9, 23, 1
; %bb.451:                              ;   in Loop: Header=BB6_144 Depth=3
	s_or_b32 exec_lo, exec_lo, s13
	v_lshrrev_b32_e32 v9, 21, v9
	s_delay_alu instid0(VALU_DEP_2) | instskip(SKIP_3) | instid1(VALU_DEP_3)
	v_cmp_gt_i32_e32 vcc_lo, 32, v8
	v_lshrrev_b32_e32 v2, 24, v2
	v_min_i32_e32 v13, 31, v8
	v_mov_b32_e32 v51, v128
	v_dual_cndmask_b32 v9, 3, v9 :: v_dual_and_b32 v2, 0x80, v2
	s_delay_alu instid0(VALU_DEP_1) | instskip(SKIP_1) | instid1(VALU_DEP_2)
	v_or_b32_e32 v8, v8, v9
	v_and_b32_e32 v26, 3, v9
	v_cmp_ne_u32_e32 vcc_lo, 0, v8
	v_lshlrev_b32_e32 v13, 2, v13
	s_delay_alu instid0(VALU_DEP_1) | instskip(NEXT) | instid1(VALU_DEP_1)
	v_or3_b32 v2, v13, v2, v26
	v_cndmask_b32_e32 v2, 0, v2, vcc_lo
	scratch_store_b32 off, v2, s33 offset:380 ; 4-byte Folded Spill
.LBB6_452:                              ;   in Loop: Header=BB6_144 Depth=3
	s_or_b32 exec_lo, exec_lo, s36
.LBB6_453:                              ;   in Loop: Header=BB6_144 Depth=3
	s_delay_alu instid0(SALU_CYCLE_1) | instskip(SKIP_3) | instid1(VALU_DEP_1)
	s_or_b32 exec_lo, exec_lo, s35
	v_lshrrev_b16 v2, 8, v10
	s_mov_b32 s13, 0
	s_mov_b32 s36, exec_lo
                                        ; implicit-def: $sgpr35
	v_cmpx_lt_i16_e32 0x7f, v2
	s_xor_b32 s36, exec_lo, s36
	s_cbranch_execnz .LBB6_1787
; %bb.454:                              ;   in Loop: Header=BB6_144 Depth=3
	s_or_saveexec_b32 s36, s36
	v_mov_b32_e32 v8, s35
	s_xor_b32 exec_lo, exec_lo, s36
	s_cbranch_execnz .LBB6_1790
.LBB6_455:                              ;   in Loop: Header=BB6_144 Depth=3
	s_or_b32 exec_lo, exec_lo, s36
	s_and_saveexec_b32 s35, s13
	s_cbranch_execz .LBB6_457
.LBB6_456:                              ;   in Loop: Header=BB6_144 Depth=3
	v_and_b32_e32 v8, 0xffff, v2
	v_lshlrev_b32_e32 v2, 24, v2
	s_delay_alu instid0(VALU_DEP_2) | instskip(NEXT) | instid1(VALU_DEP_2)
	v_and_b32_e32 v9, 3, v8
	v_and_b32_e32 v2, 0x80000000, v2
	s_delay_alu instid0(VALU_DEP_2) | instskip(NEXT) | instid1(VALU_DEP_1)
	v_clz_i32_u32_e32 v13, v9
	v_min_u32_e32 v13, 32, v13
	s_delay_alu instid0(VALU_DEP_1) | instskip(SKIP_1) | instid1(VALU_DEP_2)
	v_subrev_nc_u32_e32 v26, 29, v13
	v_sub_nc_u32_e32 v13, 30, v13
	v_lshlrev_b32_e32 v26, v26, v8
	v_bfe_u32 v8, v8, 2, 5
	s_delay_alu instid0(VALU_DEP_2) | instskip(NEXT) | instid1(VALU_DEP_2)
	v_and_b32_e32 v26, 3, v26
	v_cmp_eq_u32_e32 vcc_lo, 0, v8
	s_delay_alu instid0(VALU_DEP_2) | instskip(NEXT) | instid1(VALU_DEP_1)
	v_dual_cndmask_b32 v8, v8, v13 :: v_dual_cndmask_b32 v9, v9, v26
	v_lshl_add_u32 v8, v8, 23, 0x37800000
	s_delay_alu instid0(VALU_DEP_2) | instskip(NEXT) | instid1(VALU_DEP_1)
	v_lshlrev_b32_e32 v9, 21, v9
	v_or3_b32 v8, v2, v8, v9
.LBB6_457:                              ;   in Loop: Header=BB6_144 Depth=3
	s_or_b32 exec_lo, exec_lo, s35
	s_delay_alu instid0(VALU_DEP_1) | instskip(NEXT) | instid1(VALU_DEP_1)
	v_mul_f32_e32 v2, s34, v8
	v_and_b32_e32 v8, 0x7f800000, v2
	s_delay_alu instid0(VALU_DEP_1)
	v_cmp_ne_u32_e32 vcc_lo, 0x7f800000, v8
	v_mov_b32_e32 v8, 0x80
	s_and_saveexec_b32 s35, vcc_lo
	s_cbranch_execz .LBB6_465
; %bb.458:                              ;   in Loop: Header=BB6_144 Depth=3
	v_mov_b32_e32 v8, 0
	s_mov_b32 s36, exec_lo
	v_cmpx_ne_u32_e32 0, v2
	s_cbranch_execz .LBB6_464
; %bb.459:                              ;   in Loop: Header=BB6_144 Depth=3
	v_bfe_u32 v8, v2, 23, 8
	v_and_b32_e32 v9, 0x7fffff, v2
	s_delay_alu instid0(VALU_DEP_2) | instskip(SKIP_1) | instid1(VALU_DEP_3)
	v_sub_nc_u32_e32 v13, 0x70, v8
	v_cmp_gt_u32_e32 vcc_lo, 0x71, v8
	v_or_b32_e32 v26, 0x800000, v9
	s_delay_alu instid0(VALU_DEP_3) | instskip(SKIP_2) | instid1(VALU_DEP_3)
	v_cndmask_b32_e32 v13, 0, v13, vcc_lo
	v_cmp_eq_u32_e32 vcc_lo, 0, v8
	v_add_nc_u32_e32 v8, 0xffffff91, v8
	v_cndmask_b32_e64 v13, v13, 0x6f, vcc_lo
	v_cndmask_b32_e32 v9, v26, v9, vcc_lo
	s_delay_alu instid0(VALU_DEP_3) | instskip(NEXT) | instid1(VALU_DEP_3)
	v_cndmask_b32_e64 v8, v8, 0xffffff92, vcc_lo
	v_lshl_add_u32 v26, 0x200000, v13, -1
	s_delay_alu instid0(VALU_DEP_3) | instskip(SKIP_1) | instid1(VALU_DEP_4)
	v_lshrrev_b32_e32 v27, v13, v9
	v_lshlrev_b32_e64 v37, v13, 0x100000
	v_add_nc_u32_e32 v13, v13, v8
	s_delay_alu instid0(VALU_DEP_4) | instskip(NEXT) | instid1(VALU_DEP_4)
	v_and_b32_e32 v9, v26, v9
	v_bfe_u32 v36, v27, 21, 1
	s_delay_alu instid0(VALU_DEP_2) | instskip(NEXT) | instid1(VALU_DEP_2)
	v_cmp_eq_u32_e64 s13, v9, v37
	v_add_nc_u32_e32 v26, -1, v36
	s_delay_alu instid0(VALU_DEP_1) | instskip(SKIP_2) | instid1(VALU_DEP_2)
	v_cndmask_b32_e64 v9, 0, v26, s13
	v_lshrrev_b32_e32 v26, 23, v27
	s_mov_b32 s13, exec_lo
	v_add_nc_u32_e32 v9, v9, v27
	s_delay_alu instid0(VALU_DEP_2) | instskip(NEXT) | instid1(VALU_DEP_2)
	v_xor_b32_e32 v26, 1, v26
	v_and_b32_e32 v8, 0x1fffff, v9
	s_delay_alu instid0(VALU_DEP_1) | instskip(NEXT) | instid1(VALU_DEP_3)
	v_add_nc_u32_e32 v9, v8, v27
                                        ; implicit-def: $vgpr8
	v_cmpx_ne_u32_e64 v13, v26
	s_xor_b32 s13, exec_lo, s13
; %bb.460:                              ;   in Loop: Header=BB6_144 Depth=3
	s_delay_alu instid0(VALU_DEP_2) | instskip(SKIP_2) | instid1(VALU_DEP_2)
	v_cmp_lt_u32_e32 vcc_lo, 0xffffff, v9
	v_sub_nc_u32_e32 v8, v13, v26
	v_cndmask_b32_e64 v13, 0, 1, vcc_lo
	v_add_co_ci_u32_e32 v8, vcc_lo, 0, v8, vcc_lo
	s_delay_alu instid0(VALU_DEP_2)
	v_lshrrev_b32_e32 v9, v13, v9
; %bb.461:                              ;   in Loop: Header=BB6_144 Depth=3
	s_and_not1_saveexec_b32 s13, s13
; %bb.462:                              ;   in Loop: Header=BB6_144 Depth=3
	s_delay_alu instid0(VALU_DEP_1)
	v_bfe_u32 v8, v9, 23, 1
; %bb.463:                              ;   in Loop: Header=BB6_144 Depth=3
	s_or_b32 exec_lo, exec_lo, s13
	v_lshrrev_b32_e32 v9, 21, v9
	s_delay_alu instid0(VALU_DEP_2) | instskip(SKIP_3) | instid1(VALU_DEP_3)
	v_cmp_gt_i32_e32 vcc_lo, 32, v8
	v_lshrrev_b32_e32 v2, 24, v2
	v_min_i32_e32 v13, 31, v8
	v_mov_b32_e32 v51, v128
	v_dual_cndmask_b32 v9, 3, v9 :: v_dual_and_b32 v2, 0x80, v2
	s_delay_alu instid0(VALU_DEP_1) | instskip(SKIP_1) | instid1(VALU_DEP_2)
	v_or_b32_e32 v8, v8, v9
	v_and_b32_e32 v26, 3, v9
	v_cmp_ne_u32_e32 vcc_lo, 0, v8
	v_lshlrev_b32_e32 v13, 2, v13
	s_delay_alu instid0(VALU_DEP_1) | instskip(NEXT) | instid1(VALU_DEP_1)
	v_or3_b32 v2, v13, v2, v26
	v_cndmask_b32_e32 v8, 0, v2, vcc_lo
.LBB6_464:                              ;   in Loop: Header=BB6_144 Depth=3
	s_or_b32 exec_lo, exec_lo, s36
.LBB6_465:                              ;   in Loop: Header=BB6_144 Depth=3
	s_delay_alu instid0(SALU_CYCLE_1)
	s_or_b32 exec_lo, exec_lo, s35
	v_lshrrev_b32_e32 v2, 16, v10
	s_mov_b32 s13, 0
	s_mov_b32 s36, exec_lo
	scratch_store_b32 off, v8, s33 offset:464 ; 4-byte Folded Spill
                                        ; implicit-def: $sgpr35
	v_and_b32_e32 v9, 0xff, v2
	s_delay_alu instid0(VALU_DEP_1)
	v_cmpx_lt_i16_e32 0x7f, v9
	s_xor_b32 s36, exec_lo, s36
	s_cbranch_execnz .LBB6_1791
; %bb.466:                              ;   in Loop: Header=BB6_144 Depth=3
	s_or_saveexec_b32 s36, s36
	v_mov_b32_e32 v8, s35
	s_xor_b32 exec_lo, exec_lo, s36
	s_cbranch_execnz .LBB6_1794
.LBB6_467:                              ;   in Loop: Header=BB6_144 Depth=3
	s_or_b32 exec_lo, exec_lo, s36
	s_and_saveexec_b32 s35, s13
	s_cbranch_execz .LBB6_469
.LBB6_468:                              ;   in Loop: Header=BB6_144 Depth=3
	v_bfe_u32 v8, v10, 16, 2
	v_lshlrev_b32_e32 v26, 8, v10
	s_delay_alu instid0(VALU_DEP_2) | instskip(NEXT) | instid1(VALU_DEP_1)
	v_clz_i32_u32_e32 v9, v8
	v_min_u32_e32 v9, 32, v9
	s_delay_alu instid0(VALU_DEP_1) | instskip(SKIP_1) | instid1(VALU_DEP_2)
	v_subrev_nc_u32_e32 v13, 29, v9
	v_sub_nc_u32_e32 v9, 30, v9
	v_lshlrev_b32_e32 v2, v13, v2
	v_bfe_u32 v13, v10, 18, 5
	s_delay_alu instid0(VALU_DEP_1) | instskip(NEXT) | instid1(VALU_DEP_3)
	v_cmp_eq_u32_e32 vcc_lo, 0, v13
	v_dual_cndmask_b32 v9, v13, v9 :: v_dual_and_b32 v2, 3, v2
	s_delay_alu instid0(VALU_DEP_1) | instskip(SKIP_1) | instid1(VALU_DEP_3)
	v_cndmask_b32_e32 v2, v8, v2, vcc_lo
	v_and_b32_e32 v8, 0x80000000, v26
	v_lshl_add_u32 v9, v9, 23, 0x37800000
	s_delay_alu instid0(VALU_DEP_3) | instskip(NEXT) | instid1(VALU_DEP_1)
	v_lshlrev_b32_e32 v2, 21, v2
	v_or3_b32 v8, v8, v9, v2
.LBB6_469:                              ;   in Loop: Header=BB6_144 Depth=3
	s_or_b32 exec_lo, exec_lo, s35
	s_delay_alu instid0(VALU_DEP_1) | instskip(NEXT) | instid1(VALU_DEP_1)
	v_mul_f32_e32 v2, s34, v8
	v_and_b32_e32 v8, 0x7f800000, v2
	s_delay_alu instid0(VALU_DEP_1)
	v_cmp_ne_u32_e32 vcc_lo, 0x7f800000, v8
	v_mov_b32_e32 v8, 0x80
	scratch_store_b32 off, v8, s33 offset:384 ; 4-byte Folded Spill
	s_and_saveexec_b32 s35, vcc_lo
	s_cbranch_execz .LBB6_477
; %bb.470:                              ;   in Loop: Header=BB6_144 Depth=3
	v_mov_b32_e32 v8, 0
	s_mov_b32 s36, exec_lo
	scratch_store_b32 off, v8, s33 offset:384 ; 4-byte Folded Spill
	v_cmpx_ne_u32_e32 0, v2
	s_cbranch_execz .LBB6_476
; %bb.471:                              ;   in Loop: Header=BB6_144 Depth=3
	v_bfe_u32 v8, v2, 23, 8
	v_and_b32_e32 v9, 0x7fffff, v2
	s_delay_alu instid0(VALU_DEP_2) | instskip(SKIP_1) | instid1(VALU_DEP_3)
	v_sub_nc_u32_e32 v13, 0x70, v8
	v_cmp_gt_u32_e32 vcc_lo, 0x71, v8
	v_or_b32_e32 v26, 0x800000, v9
	s_delay_alu instid0(VALU_DEP_3) | instskip(SKIP_2) | instid1(VALU_DEP_3)
	v_cndmask_b32_e32 v13, 0, v13, vcc_lo
	v_cmp_eq_u32_e32 vcc_lo, 0, v8
	v_add_nc_u32_e32 v8, 0xffffff91, v8
	v_cndmask_b32_e64 v13, v13, 0x6f, vcc_lo
	v_cndmask_b32_e32 v9, v26, v9, vcc_lo
	s_delay_alu instid0(VALU_DEP_3) | instskip(NEXT) | instid1(VALU_DEP_3)
	v_cndmask_b32_e64 v8, v8, 0xffffff92, vcc_lo
	v_lshl_add_u32 v26, 0x200000, v13, -1
	s_delay_alu instid0(VALU_DEP_3) | instskip(SKIP_1) | instid1(VALU_DEP_4)
	v_lshrrev_b32_e32 v27, v13, v9
	v_lshlrev_b32_e64 v37, v13, 0x100000
	v_add_nc_u32_e32 v13, v13, v8
	s_delay_alu instid0(VALU_DEP_4) | instskip(NEXT) | instid1(VALU_DEP_4)
	v_and_b32_e32 v9, v26, v9
	v_bfe_u32 v36, v27, 21, 1
	s_delay_alu instid0(VALU_DEP_2) | instskip(NEXT) | instid1(VALU_DEP_2)
	v_cmp_eq_u32_e64 s13, v9, v37
	v_add_nc_u32_e32 v26, -1, v36
	s_delay_alu instid0(VALU_DEP_1) | instskip(SKIP_2) | instid1(VALU_DEP_2)
	v_cndmask_b32_e64 v9, 0, v26, s13
	v_lshrrev_b32_e32 v26, 23, v27
	s_mov_b32 s13, exec_lo
	v_add_nc_u32_e32 v9, v9, v27
	s_delay_alu instid0(VALU_DEP_2) | instskip(NEXT) | instid1(VALU_DEP_2)
	v_xor_b32_e32 v26, 1, v26
	v_and_b32_e32 v8, 0x1fffff, v9
	s_delay_alu instid0(VALU_DEP_1) | instskip(NEXT) | instid1(VALU_DEP_3)
	v_add_nc_u32_e32 v9, v8, v27
                                        ; implicit-def: $vgpr8
	v_cmpx_ne_u32_e64 v13, v26
	s_xor_b32 s13, exec_lo, s13
; %bb.472:                              ;   in Loop: Header=BB6_144 Depth=3
	s_delay_alu instid0(VALU_DEP_2) | instskip(SKIP_2) | instid1(VALU_DEP_2)
	v_cmp_lt_u32_e32 vcc_lo, 0xffffff, v9
	v_sub_nc_u32_e32 v8, v13, v26
	v_cndmask_b32_e64 v13, 0, 1, vcc_lo
	v_add_co_ci_u32_e32 v8, vcc_lo, 0, v8, vcc_lo
	s_delay_alu instid0(VALU_DEP_2)
	v_lshrrev_b32_e32 v9, v13, v9
; %bb.473:                              ;   in Loop: Header=BB6_144 Depth=3
	s_and_not1_saveexec_b32 s13, s13
; %bb.474:                              ;   in Loop: Header=BB6_144 Depth=3
	s_delay_alu instid0(VALU_DEP_1)
	v_bfe_u32 v8, v9, 23, 1
; %bb.475:                              ;   in Loop: Header=BB6_144 Depth=3
	s_or_b32 exec_lo, exec_lo, s13
	v_lshrrev_b32_e32 v9, 21, v9
	s_delay_alu instid0(VALU_DEP_2) | instskip(SKIP_3) | instid1(VALU_DEP_3)
	v_cmp_gt_i32_e32 vcc_lo, 32, v8
	v_lshrrev_b32_e32 v2, 24, v2
	v_min_i32_e32 v13, 31, v8
	v_mov_b32_e32 v51, v128
	v_dual_cndmask_b32 v9, 3, v9 :: v_dual_and_b32 v2, 0x80, v2
	s_delay_alu instid0(VALU_DEP_1) | instskip(SKIP_1) | instid1(VALU_DEP_2)
	v_or_b32_e32 v8, v8, v9
	v_and_b32_e32 v26, 3, v9
	v_cmp_ne_u32_e32 vcc_lo, 0, v8
	v_lshlrev_b32_e32 v13, 2, v13
	s_delay_alu instid0(VALU_DEP_1) | instskip(NEXT) | instid1(VALU_DEP_1)
	v_or3_b32 v2, v13, v2, v26
	v_cndmask_b32_e32 v2, 0, v2, vcc_lo
	scratch_store_b32 off, v2, s33 offset:384 ; 4-byte Folded Spill
.LBB6_476:                              ;   in Loop: Header=BB6_144 Depth=3
	s_or_b32 exec_lo, exec_lo, s36
.LBB6_477:                              ;   in Loop: Header=BB6_144 Depth=3
	s_delay_alu instid0(SALU_CYCLE_1) | instskip(SKIP_3) | instid1(VALU_DEP_1)
	s_or_b32 exec_lo, exec_lo, s35
	v_lshrrev_b32_e32 v2, 24, v10
	s_mov_b32 s13, 0
	s_mov_b32 s36, exec_lo
                                        ; implicit-def: $sgpr35
	v_cmpx_lt_i16_e32 0x7f, v2
	s_xor_b32 s36, exec_lo, s36
	s_cbranch_execnz .LBB6_1795
; %bb.478:                              ;   in Loop: Header=BB6_144 Depth=3
	s_or_saveexec_b32 s36, s36
	v_mov_b32_e32 v8, s35
	s_xor_b32 exec_lo, exec_lo, s36
	s_cbranch_execnz .LBB6_1798
.LBB6_479:                              ;   in Loop: Header=BB6_144 Depth=3
	s_or_b32 exec_lo, exec_lo, s36
	s_and_saveexec_b32 s35, s13
	s_cbranch_execz .LBB6_481
.LBB6_480:                              ;   in Loop: Header=BB6_144 Depth=3
	v_bfe_u32 v8, v10, 24, 2
	s_delay_alu instid0(VALU_DEP_1) | instskip(NEXT) | instid1(VALU_DEP_1)
	v_clz_i32_u32_e32 v9, v8
	v_min_u32_e32 v9, 32, v9
	s_delay_alu instid0(VALU_DEP_1) | instskip(SKIP_1) | instid1(VALU_DEP_2)
	v_subrev_nc_u32_e32 v13, 29, v9
	v_sub_nc_u32_e32 v9, 30, v9
	v_lshlrev_b32_e32 v2, v13, v2
	v_bfe_u32 v13, v10, 26, 5
	s_delay_alu instid0(VALU_DEP_1) | instskip(NEXT) | instid1(VALU_DEP_3)
	v_cmp_eq_u32_e32 vcc_lo, 0, v13
	v_dual_cndmask_b32 v9, v13, v9 :: v_dual_and_b32 v2, 3, v2
	s_delay_alu instid0(VALU_DEP_1) | instskip(SKIP_1) | instid1(VALU_DEP_3)
	v_cndmask_b32_e32 v2, v8, v2, vcc_lo
	v_and_b32_e32 v8, 0x80000000, v10
	v_lshl_add_u32 v9, v9, 23, 0x37800000
	s_delay_alu instid0(VALU_DEP_3) | instskip(NEXT) | instid1(VALU_DEP_1)
	v_lshlrev_b32_e32 v2, 21, v2
	v_or3_b32 v8, v8, v9, v2
.LBB6_481:                              ;   in Loop: Header=BB6_144 Depth=3
	s_or_b32 exec_lo, exec_lo, s35
	s_delay_alu instid0(VALU_DEP_1) | instskip(NEXT) | instid1(VALU_DEP_1)
	v_mul_f32_e32 v2, s34, v8
	v_and_b32_e32 v8, 0x7f800000, v2
	s_delay_alu instid0(VALU_DEP_1)
	v_cmp_ne_u32_e32 vcc_lo, 0x7f800000, v8
	v_mov_b32_e32 v8, 0x80
	s_and_saveexec_b32 s35, vcc_lo
	s_cbranch_execz .LBB6_489
; %bb.482:                              ;   in Loop: Header=BB6_144 Depth=3
	v_mov_b32_e32 v8, 0
	s_mov_b32 s36, exec_lo
	v_cmpx_ne_u32_e32 0, v2
	s_cbranch_execz .LBB6_488
; %bb.483:                              ;   in Loop: Header=BB6_144 Depth=3
	v_bfe_u32 v8, v2, 23, 8
	v_and_b32_e32 v9, 0x7fffff, v2
	s_delay_alu instid0(VALU_DEP_2) | instskip(SKIP_1) | instid1(VALU_DEP_3)
	v_sub_nc_u32_e32 v10, 0x70, v8
	v_cmp_gt_u32_e32 vcc_lo, 0x71, v8
	v_or_b32_e32 v13, 0x800000, v9
	s_delay_alu instid0(VALU_DEP_3) | instskip(SKIP_1) | instid1(VALU_DEP_3)
	v_cndmask_b32_e32 v10, 0, v10, vcc_lo
	v_cmp_eq_u32_e32 vcc_lo, 0, v8
	v_dual_cndmask_b32 v9, v13, v9 :: v_dual_add_nc_u32 v8, 0xffffff91, v8
	s_delay_alu instid0(VALU_DEP_3) | instskip(NEXT) | instid1(VALU_DEP_2)
	v_cndmask_b32_e64 v10, v10, 0x6f, vcc_lo
	v_cndmask_b32_e64 v8, v8, 0xffffff92, vcc_lo
	s_delay_alu instid0(VALU_DEP_2) | instskip(SKIP_2) | instid1(VALU_DEP_4)
	v_lshrrev_b32_e32 v26, v10, v9
	v_lshl_add_u32 v13, 0x200000, v10, -1
	v_lshlrev_b32_e64 v36, v10, 0x100000
	v_add_nc_u32_e32 v10, v10, v8
	s_delay_alu instid0(VALU_DEP_4) | instskip(NEXT) | instid1(VALU_DEP_4)
	v_bfe_u32 v27, v26, 21, 1
	v_and_b32_e32 v9, v13, v9
	s_delay_alu instid0(VALU_DEP_2) | instskip(NEXT) | instid1(VALU_DEP_2)
	v_add_nc_u32_e32 v13, -1, v27
	v_cmp_eq_u32_e64 s13, v9, v36
	s_delay_alu instid0(VALU_DEP_1) | instskip(SKIP_2) | instid1(VALU_DEP_2)
	v_cndmask_b32_e64 v9, 0, v13, s13
	v_lshrrev_b32_e32 v13, 23, v26
	s_mov_b32 s13, exec_lo
	v_add_nc_u32_e32 v9, v9, v26
	s_delay_alu instid0(VALU_DEP_2) | instskip(NEXT) | instid1(VALU_DEP_2)
	v_xor_b32_e32 v13, 1, v13
	v_and_b32_e32 v8, 0x1fffff, v9
	s_delay_alu instid0(VALU_DEP_1) | instskip(NEXT) | instid1(VALU_DEP_3)
	v_add_nc_u32_e32 v9, v8, v26
                                        ; implicit-def: $vgpr8
	v_cmpx_ne_u32_e64 v10, v13
	s_xor_b32 s13, exec_lo, s13
; %bb.484:                              ;   in Loop: Header=BB6_144 Depth=3
	s_delay_alu instid0(VALU_DEP_2) | instskip(SKIP_2) | instid1(VALU_DEP_2)
	v_cmp_lt_u32_e32 vcc_lo, 0xffffff, v9
	v_sub_nc_u32_e32 v8, v10, v13
	v_cndmask_b32_e64 v10, 0, 1, vcc_lo
	v_add_co_ci_u32_e32 v8, vcc_lo, 0, v8, vcc_lo
	s_delay_alu instid0(VALU_DEP_2)
	v_lshrrev_b32_e32 v9, v10, v9
; %bb.485:                              ;   in Loop: Header=BB6_144 Depth=3
	s_and_not1_saveexec_b32 s13, s13
; %bb.486:                              ;   in Loop: Header=BB6_144 Depth=3
	s_delay_alu instid0(VALU_DEP_1)
	v_bfe_u32 v8, v9, 23, 1
; %bb.487:                              ;   in Loop: Header=BB6_144 Depth=3
	s_or_b32 exec_lo, exec_lo, s13
	v_lshrrev_b32_e32 v9, 21, v9
	s_delay_alu instid0(VALU_DEP_2) | instskip(SKIP_3) | instid1(VALU_DEP_3)
	v_cmp_gt_i32_e32 vcc_lo, 32, v8
	v_lshrrev_b32_e32 v2, 24, v2
	v_min_i32_e32 v10, 31, v8
	v_mov_b32_e32 v51, v128
	v_dual_cndmask_b32 v9, 3, v9 :: v_dual_and_b32 v2, 0x80, v2
	s_delay_alu instid0(VALU_DEP_3) | instskip(NEXT) | instid1(VALU_DEP_2)
	v_lshlrev_b32_e32 v10, 2, v10
	v_or_b32_e32 v8, v8, v9
	s_delay_alu instid0(VALU_DEP_1) | instskip(SKIP_1) | instid1(VALU_DEP_1)
	v_cmp_ne_u32_e32 vcc_lo, 0, v8
	v_and_b32_e32 v13, 3, v9
	v_or3_b32 v2, v10, v2, v13
	s_delay_alu instid0(VALU_DEP_1)
	v_cndmask_b32_e32 v8, 0, v2, vcc_lo
.LBB6_488:                              ;   in Loop: Header=BB6_144 Depth=3
	s_or_b32 exec_lo, exec_lo, s36
.LBB6_489:                              ;   in Loop: Header=BB6_144 Depth=3
	s_delay_alu instid0(SALU_CYCLE_1) | instskip(SKIP_4) | instid1(VALU_DEP_1)
	s_or_b32 exec_lo, exec_lo, s35
	scratch_store_b32 off, v8, s33 offset:468 ; 4-byte Folded Spill
	v_and_b32_e32 v8, 0xff, v11
	s_mov_b32 s13, 0
	s_mov_b32 s36, exec_lo
                                        ; implicit-def: $sgpr35
	v_cmpx_lt_i16_e32 0x7f, v8
	s_xor_b32 s36, exec_lo, s36
	s_cbranch_execnz .LBB6_1799
; %bb.490:                              ;   in Loop: Header=BB6_144 Depth=3
	s_or_saveexec_b32 s36, s36
	v_mov_b32_e32 v2, s35
	s_xor_b32 exec_lo, exec_lo, s36
	s_cbranch_execnz .LBB6_1802
.LBB6_491:                              ;   in Loop: Header=BB6_144 Depth=3
	s_or_b32 exec_lo, exec_lo, s36
	s_and_saveexec_b32 s35, s13
	s_cbranch_execz .LBB6_493
.LBB6_492:                              ;   in Loop: Header=BB6_144 Depth=3
	v_and_b32_e32 v2, 3, v11
	v_bfe_u32 v10, v11, 2, 5
	s_delay_alu instid0(VALU_DEP_2) | instskip(NEXT) | instid1(VALU_DEP_2)
	v_clz_i32_u32_e32 v8, v2
	v_cmp_eq_u32_e32 vcc_lo, 0, v10
	s_delay_alu instid0(VALU_DEP_2) | instskip(NEXT) | instid1(VALU_DEP_1)
	v_min_u32_e32 v8, 32, v8
	v_subrev_nc_u32_e32 v9, 29, v8
	v_sub_nc_u32_e32 v8, 30, v8
	s_delay_alu instid0(VALU_DEP_1) | instskip(NEXT) | instid1(VALU_DEP_1)
	v_dual_cndmask_b32 v8, v10, v8 :: v_dual_lshlrev_b32 v9, v9, v11
	v_and_b32_e32 v9, 3, v9
	v_lshlrev_b32_e32 v13, 24, v11
	s_delay_alu instid0(VALU_DEP_3) | instskip(NEXT) | instid1(VALU_DEP_3)
	v_lshl_add_u32 v8, v8, 23, 0x37800000
	v_cndmask_b32_e32 v2, v2, v9, vcc_lo
	s_delay_alu instid0(VALU_DEP_3) | instskip(NEXT) | instid1(VALU_DEP_2)
	v_and_b32_e32 v9, 0x80000000, v13
	v_lshlrev_b32_e32 v2, 21, v2
	s_delay_alu instid0(VALU_DEP_1)
	v_or3_b32 v2, v9, v8, v2
.LBB6_493:                              ;   in Loop: Header=BB6_144 Depth=3
	s_or_b32 exec_lo, exec_lo, s35
	s_delay_alu instid0(VALU_DEP_1) | instskip(NEXT) | instid1(VALU_DEP_1)
	v_mul_f32_e32 v2, s34, v2
	v_and_b32_e32 v8, 0x7f800000, v2
	s_delay_alu instid0(VALU_DEP_1)
	v_cmp_ne_u32_e32 vcc_lo, 0x7f800000, v8
	v_mov_b32_e32 v8, 0x80
	scratch_store_b32 off, v8, s33 offset:388 ; 4-byte Folded Spill
	s_and_saveexec_b32 s35, vcc_lo
	s_cbranch_execz .LBB6_501
; %bb.494:                              ;   in Loop: Header=BB6_144 Depth=3
	v_mov_b32_e32 v8, 0
	s_mov_b32 s36, exec_lo
	scratch_store_b32 off, v8, s33 offset:388 ; 4-byte Folded Spill
	v_cmpx_ne_u32_e32 0, v2
	s_cbranch_execz .LBB6_500
; %bb.495:                              ;   in Loop: Header=BB6_144 Depth=3
	v_bfe_u32 v8, v2, 23, 8
	v_and_b32_e32 v9, 0x7fffff, v2
	s_delay_alu instid0(VALU_DEP_2) | instskip(SKIP_1) | instid1(VALU_DEP_3)
	v_sub_nc_u32_e32 v10, 0x70, v8
	v_cmp_gt_u32_e32 vcc_lo, 0x71, v8
	v_or_b32_e32 v13, 0x800000, v9
	s_delay_alu instid0(VALU_DEP_3) | instskip(SKIP_1) | instid1(VALU_DEP_3)
	v_cndmask_b32_e32 v10, 0, v10, vcc_lo
	v_cmp_eq_u32_e32 vcc_lo, 0, v8
	v_dual_cndmask_b32 v9, v13, v9 :: v_dual_add_nc_u32 v8, 0xffffff91, v8
	s_delay_alu instid0(VALU_DEP_3) | instskip(NEXT) | instid1(VALU_DEP_2)
	v_cndmask_b32_e64 v10, v10, 0x6f, vcc_lo
	v_cndmask_b32_e64 v8, v8, 0xffffff92, vcc_lo
	s_delay_alu instid0(VALU_DEP_2) | instskip(SKIP_2) | instid1(VALU_DEP_4)
	v_lshrrev_b32_e32 v26, v10, v9
	v_lshl_add_u32 v13, 0x200000, v10, -1
	v_lshlrev_b32_e64 v36, v10, 0x100000
	v_add_nc_u32_e32 v10, v10, v8
	s_delay_alu instid0(VALU_DEP_4) | instskip(NEXT) | instid1(VALU_DEP_4)
	v_bfe_u32 v27, v26, 21, 1
	v_and_b32_e32 v9, v13, v9
	s_delay_alu instid0(VALU_DEP_2) | instskip(NEXT) | instid1(VALU_DEP_2)
	v_add_nc_u32_e32 v13, -1, v27
	v_cmp_eq_u32_e64 s13, v9, v36
	s_delay_alu instid0(VALU_DEP_1) | instskip(SKIP_2) | instid1(VALU_DEP_2)
	v_cndmask_b32_e64 v9, 0, v13, s13
	v_lshrrev_b32_e32 v13, 23, v26
	s_mov_b32 s13, exec_lo
	v_add_nc_u32_e32 v9, v9, v26
	s_delay_alu instid0(VALU_DEP_2) | instskip(NEXT) | instid1(VALU_DEP_2)
	v_xor_b32_e32 v13, 1, v13
	v_and_b32_e32 v8, 0x1fffff, v9
	s_delay_alu instid0(VALU_DEP_1) | instskip(NEXT) | instid1(VALU_DEP_3)
	v_add_nc_u32_e32 v9, v8, v26
                                        ; implicit-def: $vgpr8
	v_cmpx_ne_u32_e64 v10, v13
	s_xor_b32 s13, exec_lo, s13
; %bb.496:                              ;   in Loop: Header=BB6_144 Depth=3
	s_delay_alu instid0(VALU_DEP_2) | instskip(SKIP_2) | instid1(VALU_DEP_2)
	v_cmp_lt_u32_e32 vcc_lo, 0xffffff, v9
	v_sub_nc_u32_e32 v8, v10, v13
	v_cndmask_b32_e64 v10, 0, 1, vcc_lo
	v_add_co_ci_u32_e32 v8, vcc_lo, 0, v8, vcc_lo
	s_delay_alu instid0(VALU_DEP_2)
	v_lshrrev_b32_e32 v9, v10, v9
; %bb.497:                              ;   in Loop: Header=BB6_144 Depth=3
	s_and_not1_saveexec_b32 s13, s13
; %bb.498:                              ;   in Loop: Header=BB6_144 Depth=3
	s_delay_alu instid0(VALU_DEP_1)
	v_bfe_u32 v8, v9, 23, 1
; %bb.499:                              ;   in Loop: Header=BB6_144 Depth=3
	s_or_b32 exec_lo, exec_lo, s13
	v_lshrrev_b32_e32 v9, 21, v9
	s_delay_alu instid0(VALU_DEP_2) | instskip(SKIP_3) | instid1(VALU_DEP_3)
	v_cmp_gt_i32_e32 vcc_lo, 32, v8
	v_min_i32_e32 v10, 31, v8
	v_lshrrev_b32_e32 v2, 24, v2
	v_mov_b32_e32 v51, v128
	v_dual_cndmask_b32 v9, 3, v9 :: v_dual_lshlrev_b32 v10, 2, v10
	s_delay_alu instid0(VALU_DEP_3) | instskip(NEXT) | instid1(VALU_DEP_2)
	v_and_b32_e32 v2, 0x80, v2
	v_or_b32_e32 v8, v8, v9
	s_delay_alu instid0(VALU_DEP_3) | instskip(NEXT) | instid1(VALU_DEP_2)
	v_and_b32_e32 v10, 0xfc, v10
	v_cmp_ne_u32_e32 vcc_lo, 0, v8
	v_and_b32_e32 v13, 3, v9
	s_delay_alu instid0(VALU_DEP_1) | instskip(NEXT) | instid1(VALU_DEP_1)
	v_or3_b32 v2, v10, v2, v13
	v_cndmask_b32_e32 v2, 0, v2, vcc_lo
	scratch_store_b32 off, v2, s33 offset:388 ; 4-byte Folded Spill
.LBB6_500:                              ;   in Loop: Header=BB6_144 Depth=3
	s_or_b32 exec_lo, exec_lo, s36
.LBB6_501:                              ;   in Loop: Header=BB6_144 Depth=3
	s_delay_alu instid0(SALU_CYCLE_1) | instskip(SKIP_3) | instid1(VALU_DEP_1)
	s_or_b32 exec_lo, exec_lo, s35
	v_lshrrev_b16 v2, 8, v11
	s_mov_b32 s13, 0
	s_mov_b32 s36, exec_lo
                                        ; implicit-def: $sgpr35
	v_cmpx_lt_i16_e32 0x7f, v2
	s_xor_b32 s36, exec_lo, s36
	s_cbranch_execnz .LBB6_1803
; %bb.502:                              ;   in Loop: Header=BB6_144 Depth=3
	s_or_saveexec_b32 s36, s36
	v_mov_b32_e32 v8, s35
	s_xor_b32 exec_lo, exec_lo, s36
	s_cbranch_execnz .LBB6_1806
.LBB6_503:                              ;   in Loop: Header=BB6_144 Depth=3
	s_or_b32 exec_lo, exec_lo, s36
	s_and_saveexec_b32 s35, s13
	s_cbranch_execz .LBB6_505
.LBB6_504:                              ;   in Loop: Header=BB6_144 Depth=3
	v_and_b32_e32 v8, 0xffff, v2
	v_lshlrev_b32_e32 v2, 24, v2
	s_delay_alu instid0(VALU_DEP_2) | instskip(NEXT) | instid1(VALU_DEP_2)
	v_and_b32_e32 v9, 3, v8
	v_and_b32_e32 v2, 0x80000000, v2
	s_delay_alu instid0(VALU_DEP_2) | instskip(NEXT) | instid1(VALU_DEP_1)
	v_clz_i32_u32_e32 v10, v9
	v_min_u32_e32 v10, 32, v10
	s_delay_alu instid0(VALU_DEP_1) | instskip(SKIP_1) | instid1(VALU_DEP_2)
	v_subrev_nc_u32_e32 v13, 29, v10
	v_sub_nc_u32_e32 v10, 30, v10
	v_lshlrev_b32_e32 v13, v13, v8
	v_bfe_u32 v8, v8, 2, 5
	s_delay_alu instid0(VALU_DEP_2) | instskip(NEXT) | instid1(VALU_DEP_2)
	v_and_b32_e32 v13, 3, v13
	v_cmp_eq_u32_e32 vcc_lo, 0, v8
	s_delay_alu instid0(VALU_DEP_2) | instskip(NEXT) | instid1(VALU_DEP_1)
	v_dual_cndmask_b32 v8, v8, v10 :: v_dual_cndmask_b32 v9, v9, v13
	v_lshl_add_u32 v8, v8, 23, 0x37800000
	s_delay_alu instid0(VALU_DEP_2) | instskip(NEXT) | instid1(VALU_DEP_1)
	v_lshlrev_b32_e32 v9, 21, v9
	v_or3_b32 v8, v2, v8, v9
.LBB6_505:                              ;   in Loop: Header=BB6_144 Depth=3
	s_or_b32 exec_lo, exec_lo, s35
	s_delay_alu instid0(VALU_DEP_1) | instskip(NEXT) | instid1(VALU_DEP_1)
	v_mul_f32_e32 v2, s34, v8
	v_and_b32_e32 v8, 0x7f800000, v2
	s_delay_alu instid0(VALU_DEP_1)
	v_cmp_ne_u32_e32 vcc_lo, 0x7f800000, v8
	v_mov_b32_e32 v8, 0x8000
	scratch_store_b32 off, v8, s33 offset:320 ; 4-byte Folded Spill
	s_and_saveexec_b32 s35, vcc_lo
	s_cbranch_execz .LBB6_513
; %bb.506:                              ;   in Loop: Header=BB6_144 Depth=3
	v_mov_b32_e32 v8, 0
	s_mov_b32 s36, exec_lo
	scratch_store_b32 off, v8, s33 offset:320 ; 4-byte Folded Spill
	v_cmpx_ne_u32_e32 0, v2
	s_cbranch_execz .LBB6_512
; %bb.507:                              ;   in Loop: Header=BB6_144 Depth=3
	v_bfe_u32 v8, v2, 23, 8
	v_and_b32_e32 v9, 0x7fffff, v2
	s_delay_alu instid0(VALU_DEP_2) | instskip(SKIP_1) | instid1(VALU_DEP_3)
	v_sub_nc_u32_e32 v10, 0x70, v8
	v_cmp_gt_u32_e32 vcc_lo, 0x71, v8
	v_or_b32_e32 v13, 0x800000, v9
	s_delay_alu instid0(VALU_DEP_3) | instskip(SKIP_1) | instid1(VALU_DEP_3)
	v_cndmask_b32_e32 v10, 0, v10, vcc_lo
	v_cmp_eq_u32_e32 vcc_lo, 0, v8
	v_dual_cndmask_b32 v9, v13, v9 :: v_dual_add_nc_u32 v8, 0xffffff91, v8
	s_delay_alu instid0(VALU_DEP_3) | instskip(NEXT) | instid1(VALU_DEP_2)
	v_cndmask_b32_e64 v10, v10, 0x6f, vcc_lo
	v_cndmask_b32_e64 v8, v8, 0xffffff92, vcc_lo
	s_delay_alu instid0(VALU_DEP_2) | instskip(SKIP_2) | instid1(VALU_DEP_4)
	v_lshrrev_b32_e32 v26, v10, v9
	v_lshl_add_u32 v13, 0x200000, v10, -1
	v_lshlrev_b32_e64 v36, v10, 0x100000
	v_add_nc_u32_e32 v10, v10, v8
	s_delay_alu instid0(VALU_DEP_4) | instskip(NEXT) | instid1(VALU_DEP_4)
	v_bfe_u32 v27, v26, 21, 1
	v_and_b32_e32 v9, v13, v9
	s_delay_alu instid0(VALU_DEP_2) | instskip(NEXT) | instid1(VALU_DEP_2)
	v_add_nc_u32_e32 v13, -1, v27
	v_cmp_eq_u32_e64 s13, v9, v36
	s_delay_alu instid0(VALU_DEP_1) | instskip(SKIP_2) | instid1(VALU_DEP_2)
	v_cndmask_b32_e64 v9, 0, v13, s13
	v_lshrrev_b32_e32 v13, 23, v26
	s_mov_b32 s13, exec_lo
	v_add_nc_u32_e32 v9, v9, v26
	s_delay_alu instid0(VALU_DEP_2) | instskip(NEXT) | instid1(VALU_DEP_2)
	v_xor_b32_e32 v13, 1, v13
	v_and_b32_e32 v8, 0x1fffff, v9
	s_delay_alu instid0(VALU_DEP_1) | instskip(NEXT) | instid1(VALU_DEP_3)
	v_add_nc_u32_e32 v9, v8, v26
                                        ; implicit-def: $vgpr8
	v_cmpx_ne_u32_e64 v10, v13
	s_xor_b32 s13, exec_lo, s13
; %bb.508:                              ;   in Loop: Header=BB6_144 Depth=3
	s_delay_alu instid0(VALU_DEP_2) | instskip(SKIP_2) | instid1(VALU_DEP_2)
	v_cmp_lt_u32_e32 vcc_lo, 0xffffff, v9
	v_sub_nc_u32_e32 v8, v10, v13
	v_cndmask_b32_e64 v10, 0, 1, vcc_lo
	v_add_co_ci_u32_e32 v8, vcc_lo, 0, v8, vcc_lo
	s_delay_alu instid0(VALU_DEP_2)
	v_lshrrev_b32_e32 v9, v10, v9
; %bb.509:                              ;   in Loop: Header=BB6_144 Depth=3
	s_and_not1_saveexec_b32 s13, s13
; %bb.510:                              ;   in Loop: Header=BB6_144 Depth=3
	s_delay_alu instid0(VALU_DEP_1)
	v_bfe_u32 v8, v9, 23, 1
; %bb.511:                              ;   in Loop: Header=BB6_144 Depth=3
	s_or_b32 exec_lo, exec_lo, s13
	v_lshrrev_b32_e32 v9, 21, v9
	s_delay_alu instid0(VALU_DEP_2) | instskip(SKIP_3) | instid1(VALU_DEP_3)
	v_cmp_gt_i32_e32 vcc_lo, 32, v8
	v_min_i32_e32 v10, 31, v8
	v_lshrrev_b32_e32 v2, 24, v2
	v_mov_b32_e32 v51, v128
	v_dual_cndmask_b32 v9, 3, v9 :: v_dual_lshlrev_b32 v10, 2, v10
	s_delay_alu instid0(VALU_DEP_3) | instskip(NEXT) | instid1(VALU_DEP_2)
	v_and_b32_e32 v2, 0x80, v2
	v_or_b32_e32 v8, v8, v9
	s_delay_alu instid0(VALU_DEP_3) | instskip(NEXT) | instid1(VALU_DEP_2)
	v_and_b32_e32 v10, 0xfc, v10
	v_cmp_ne_u32_e32 vcc_lo, 0, v8
	v_and_b32_e32 v13, 3, v9
	s_delay_alu instid0(VALU_DEP_1) | instskip(NEXT) | instid1(VALU_DEP_1)
	v_or3_b32 v2, v2, v10, v13
	v_lshlrev_b32_e32 v2, 8, v2
	s_delay_alu instid0(VALU_DEP_1)
	v_cndmask_b32_e32 v2, 0, v2, vcc_lo
	scratch_store_b32 off, v2, s33 offset:320 ; 4-byte Folded Spill
.LBB6_512:                              ;   in Loop: Header=BB6_144 Depth=3
	s_or_b32 exec_lo, exec_lo, s36
.LBB6_513:                              ;   in Loop: Header=BB6_144 Depth=3
	s_delay_alu instid0(SALU_CYCLE_1) | instskip(SKIP_3) | instid1(VALU_DEP_1)
	s_or_b32 exec_lo, exec_lo, s35
	v_lshrrev_b32_e32 v2, 16, v11
	s_mov_b32 s13, 0
	s_mov_b32 s36, exec_lo
                                        ; implicit-def: $sgpr35
	v_and_b32_e32 v9, 0xff, v2
	s_delay_alu instid0(VALU_DEP_1)
	v_cmpx_lt_i16_e32 0x7f, v9
	s_xor_b32 s36, exec_lo, s36
	s_cbranch_execnz .LBB6_1807
; %bb.514:                              ;   in Loop: Header=BB6_144 Depth=3
	s_or_saveexec_b32 s36, s36
	v_mov_b32_e32 v8, s35
	s_xor_b32 exec_lo, exec_lo, s36
	s_cbranch_execnz .LBB6_1810
.LBB6_515:                              ;   in Loop: Header=BB6_144 Depth=3
	s_or_b32 exec_lo, exec_lo, s36
	s_and_saveexec_b32 s35, s13
	s_cbranch_execz .LBB6_517
.LBB6_516:                              ;   in Loop: Header=BB6_144 Depth=3
	v_bfe_u32 v8, v11, 16, 2
	s_delay_alu instid0(VALU_DEP_1) | instskip(NEXT) | instid1(VALU_DEP_1)
	v_clz_i32_u32_e32 v9, v8
	v_min_u32_e32 v9, 32, v9
	s_delay_alu instid0(VALU_DEP_1) | instskip(SKIP_1) | instid1(VALU_DEP_2)
	v_subrev_nc_u32_e32 v10, 29, v9
	v_sub_nc_u32_e32 v9, 30, v9
	v_lshlrev_b32_e32 v2, v10, v2
	v_bfe_u32 v10, v11, 18, 5
	s_delay_alu instid0(VALU_DEP_1) | instskip(NEXT) | instid1(VALU_DEP_3)
	v_cmp_eq_u32_e32 vcc_lo, 0, v10
	v_dual_cndmask_b32 v9, v10, v9 :: v_dual_and_b32 v2, 3, v2
	s_delay_alu instid0(VALU_DEP_1) | instskip(NEXT) | instid1(VALU_DEP_2)
	v_dual_cndmask_b32 v2, v8, v2 :: v_dual_lshlrev_b32 v13, 8, v11
	v_lshl_add_u32 v9, v9, 23, 0x37800000
	s_delay_alu instid0(VALU_DEP_2) | instskip(NEXT) | instid1(VALU_DEP_3)
	v_and_b32_e32 v8, 0x80000000, v13
	v_lshlrev_b32_e32 v2, 21, v2
	s_delay_alu instid0(VALU_DEP_1)
	v_or3_b32 v8, v8, v9, v2
.LBB6_517:                              ;   in Loop: Header=BB6_144 Depth=3
	s_or_b32 exec_lo, exec_lo, s35
	s_delay_alu instid0(VALU_DEP_1) | instskip(NEXT) | instid1(VALU_DEP_1)
	v_mul_f32_e32 v2, s34, v8
	v_and_b32_e32 v8, 0x7f800000, v2
	s_delay_alu instid0(VALU_DEP_1)
	v_cmp_ne_u32_e32 vcc_lo, 0x7f800000, v8
	v_mov_b32_e32 v8, 0x80
	scratch_store_b32 off, v8, s33 offset:324 ; 4-byte Folded Spill
	s_and_saveexec_b32 s35, vcc_lo
	s_cbranch_execz .LBB6_525
; %bb.518:                              ;   in Loop: Header=BB6_144 Depth=3
	v_mov_b32_e32 v8, 0
	s_mov_b32 s36, exec_lo
	scratch_store_b32 off, v8, s33 offset:324 ; 4-byte Folded Spill
	v_cmpx_ne_u32_e32 0, v2
	s_cbranch_execz .LBB6_524
; %bb.519:                              ;   in Loop: Header=BB6_144 Depth=3
	v_bfe_u32 v8, v2, 23, 8
	v_and_b32_e32 v9, 0x7fffff, v2
	s_delay_alu instid0(VALU_DEP_2) | instskip(SKIP_1) | instid1(VALU_DEP_3)
	v_sub_nc_u32_e32 v10, 0x70, v8
	v_cmp_gt_u32_e32 vcc_lo, 0x71, v8
	v_or_b32_e32 v13, 0x800000, v9
	s_delay_alu instid0(VALU_DEP_3) | instskip(SKIP_1) | instid1(VALU_DEP_3)
	v_cndmask_b32_e32 v10, 0, v10, vcc_lo
	v_cmp_eq_u32_e32 vcc_lo, 0, v8
	v_dual_cndmask_b32 v9, v13, v9 :: v_dual_add_nc_u32 v8, 0xffffff91, v8
	s_delay_alu instid0(VALU_DEP_3) | instskip(NEXT) | instid1(VALU_DEP_2)
	v_cndmask_b32_e64 v10, v10, 0x6f, vcc_lo
	v_cndmask_b32_e64 v8, v8, 0xffffff92, vcc_lo
	s_delay_alu instid0(VALU_DEP_2) | instskip(SKIP_2) | instid1(VALU_DEP_4)
	v_lshrrev_b32_e32 v26, v10, v9
	v_lshl_add_u32 v13, 0x200000, v10, -1
	v_lshlrev_b32_e64 v36, v10, 0x100000
	v_add_nc_u32_e32 v10, v10, v8
	s_delay_alu instid0(VALU_DEP_4) | instskip(NEXT) | instid1(VALU_DEP_4)
	v_bfe_u32 v27, v26, 21, 1
	v_and_b32_e32 v9, v13, v9
	s_delay_alu instid0(VALU_DEP_2) | instskip(NEXT) | instid1(VALU_DEP_2)
	v_add_nc_u32_e32 v13, -1, v27
	v_cmp_eq_u32_e64 s13, v9, v36
	s_delay_alu instid0(VALU_DEP_1) | instskip(SKIP_2) | instid1(VALU_DEP_2)
	v_cndmask_b32_e64 v9, 0, v13, s13
	v_lshrrev_b32_e32 v13, 23, v26
	s_mov_b32 s13, exec_lo
	v_add_nc_u32_e32 v9, v9, v26
	s_delay_alu instid0(VALU_DEP_2) | instskip(NEXT) | instid1(VALU_DEP_2)
	v_xor_b32_e32 v13, 1, v13
	v_and_b32_e32 v8, 0x1fffff, v9
	s_delay_alu instid0(VALU_DEP_1) | instskip(NEXT) | instid1(VALU_DEP_3)
	v_add_nc_u32_e32 v9, v8, v26
                                        ; implicit-def: $vgpr8
	v_cmpx_ne_u32_e64 v10, v13
	s_xor_b32 s13, exec_lo, s13
; %bb.520:                              ;   in Loop: Header=BB6_144 Depth=3
	s_delay_alu instid0(VALU_DEP_2) | instskip(SKIP_2) | instid1(VALU_DEP_2)
	v_cmp_lt_u32_e32 vcc_lo, 0xffffff, v9
	v_sub_nc_u32_e32 v8, v10, v13
	v_cndmask_b32_e64 v10, 0, 1, vcc_lo
	v_add_co_ci_u32_e32 v8, vcc_lo, 0, v8, vcc_lo
	s_delay_alu instid0(VALU_DEP_2)
	v_lshrrev_b32_e32 v9, v10, v9
; %bb.521:                              ;   in Loop: Header=BB6_144 Depth=3
	s_and_not1_saveexec_b32 s13, s13
; %bb.522:                              ;   in Loop: Header=BB6_144 Depth=3
	s_delay_alu instid0(VALU_DEP_1)
	v_bfe_u32 v8, v9, 23, 1
; %bb.523:                              ;   in Loop: Header=BB6_144 Depth=3
	s_or_b32 exec_lo, exec_lo, s13
	v_lshrrev_b32_e32 v9, 21, v9
	s_delay_alu instid0(VALU_DEP_2) | instskip(SKIP_3) | instid1(VALU_DEP_3)
	v_cmp_gt_i32_e32 vcc_lo, 32, v8
	v_min_i32_e32 v10, 31, v8
	v_lshrrev_b32_e32 v2, 24, v2
	v_mov_b32_e32 v51, v128
	v_dual_cndmask_b32 v9, 3, v9 :: v_dual_lshlrev_b32 v10, 2, v10
	s_delay_alu instid0(VALU_DEP_3) | instskip(NEXT) | instid1(VALU_DEP_2)
	v_and_b32_e32 v2, 0x80, v2
	v_or_b32_e32 v8, v8, v9
	s_delay_alu instid0(VALU_DEP_3) | instskip(NEXT) | instid1(VALU_DEP_2)
	v_and_b32_e32 v10, 0xfc, v10
	v_cmp_ne_u32_e32 vcc_lo, 0, v8
	v_and_b32_e32 v13, 3, v9
	s_delay_alu instid0(VALU_DEP_1) | instskip(NEXT) | instid1(VALU_DEP_1)
	v_or3_b32 v2, v10, v2, v13
	v_cndmask_b32_e32 v2, 0, v2, vcc_lo
	scratch_store_b32 off, v2, s33 offset:324 ; 4-byte Folded Spill
.LBB6_524:                              ;   in Loop: Header=BB6_144 Depth=3
	s_or_b32 exec_lo, exec_lo, s36
.LBB6_525:                              ;   in Loop: Header=BB6_144 Depth=3
	s_delay_alu instid0(SALU_CYCLE_1) | instskip(SKIP_3) | instid1(VALU_DEP_1)
	s_or_b32 exec_lo, exec_lo, s35
	v_lshrrev_b32_e32 v2, 24, v11
	s_mov_b32 s13, 0
	s_mov_b32 s36, exec_lo
                                        ; implicit-def: $sgpr35
	v_cmpx_lt_i16_e32 0x7f, v2
	s_xor_b32 s36, exec_lo, s36
	s_cbranch_execnz .LBB6_1811
; %bb.526:                              ;   in Loop: Header=BB6_144 Depth=3
	s_or_saveexec_b32 s36, s36
	v_mov_b32_e32 v8, s35
	s_xor_b32 exec_lo, exec_lo, s36
	s_cbranch_execnz .LBB6_1814
.LBB6_527:                              ;   in Loop: Header=BB6_144 Depth=3
	s_or_b32 exec_lo, exec_lo, s36
	s_and_saveexec_b32 s35, s13
	s_cbranch_execz .LBB6_529
.LBB6_528:                              ;   in Loop: Header=BB6_144 Depth=3
	v_bfe_u32 v8, v11, 24, 2
	s_delay_alu instid0(VALU_DEP_1) | instskip(NEXT) | instid1(VALU_DEP_1)
	v_clz_i32_u32_e32 v9, v8
	v_min_u32_e32 v9, 32, v9
	s_delay_alu instid0(VALU_DEP_1) | instskip(SKIP_1) | instid1(VALU_DEP_2)
	v_subrev_nc_u32_e32 v10, 29, v9
	v_sub_nc_u32_e32 v9, 30, v9
	v_lshlrev_b32_e32 v2, v10, v2
	v_bfe_u32 v10, v11, 26, 5
	s_delay_alu instid0(VALU_DEP_1) | instskip(NEXT) | instid1(VALU_DEP_3)
	v_cmp_eq_u32_e32 vcc_lo, 0, v10
	v_dual_cndmask_b32 v9, v10, v9 :: v_dual_and_b32 v2, 3, v2
	s_delay_alu instid0(VALU_DEP_1) | instskip(SKIP_1) | instid1(VALU_DEP_3)
	v_cndmask_b32_e32 v2, v8, v2, vcc_lo
	v_and_b32_e32 v8, 0x80000000, v11
	v_lshl_add_u32 v9, v9, 23, 0x37800000
	s_delay_alu instid0(VALU_DEP_3) | instskip(NEXT) | instid1(VALU_DEP_1)
	v_lshlrev_b32_e32 v2, 21, v2
	v_or3_b32 v8, v8, v9, v2
.LBB6_529:                              ;   in Loop: Header=BB6_144 Depth=3
	s_or_b32 exec_lo, exec_lo, s35
	s_delay_alu instid0(VALU_DEP_1) | instskip(NEXT) | instid1(VALU_DEP_1)
	v_mul_f32_e32 v2, s34, v8
	v_and_b32_e32 v8, 0x7f800000, v2
	s_delay_alu instid0(VALU_DEP_1)
	v_cmp_ne_u32_e32 vcc_lo, 0x7f800000, v8
	v_mov_b32_e32 v8, 0x8000
	scratch_store_b32 off, v8, s33 offset:328 ; 4-byte Folded Spill
	s_and_saveexec_b32 s35, vcc_lo
	s_cbranch_execz .LBB6_537
; %bb.530:                              ;   in Loop: Header=BB6_144 Depth=3
	v_mov_b32_e32 v8, 0
	s_mov_b32 s36, exec_lo
	scratch_store_b32 off, v8, s33 offset:328 ; 4-byte Folded Spill
	v_cmpx_ne_u32_e32 0, v2
	s_cbranch_execz .LBB6_536
; %bb.531:                              ;   in Loop: Header=BB6_144 Depth=3
	v_bfe_u32 v8, v2, 23, 8
	v_and_b32_e32 v9, 0x7fffff, v2
	s_delay_alu instid0(VALU_DEP_2) | instskip(SKIP_1) | instid1(VALU_DEP_3)
	v_sub_nc_u32_e32 v10, 0x70, v8
	v_cmp_gt_u32_e32 vcc_lo, 0x71, v8
	v_or_b32_e32 v11, 0x800000, v9
	s_delay_alu instid0(VALU_DEP_3) | instskip(SKIP_1) | instid1(VALU_DEP_3)
	v_cndmask_b32_e32 v10, 0, v10, vcc_lo
	v_cmp_eq_u32_e32 vcc_lo, 0, v8
	v_dual_cndmask_b32 v9, v11, v9 :: v_dual_add_nc_u32 v8, 0xffffff91, v8
	s_delay_alu instid0(VALU_DEP_3) | instskip(NEXT) | instid1(VALU_DEP_2)
	v_cndmask_b32_e64 v10, v10, 0x6f, vcc_lo
	v_cndmask_b32_e64 v8, v8, 0xffffff92, vcc_lo
	s_delay_alu instid0(VALU_DEP_2) | instskip(SKIP_2) | instid1(VALU_DEP_4)
	v_lshrrev_b32_e32 v13, v10, v9
	v_lshl_add_u32 v11, 0x200000, v10, -1
	v_lshlrev_b32_e64 v27, v10, 0x100000
	v_add_nc_u32_e32 v10, v10, v8
	s_delay_alu instid0(VALU_DEP_4) | instskip(NEXT) | instid1(VALU_DEP_4)
	v_bfe_u32 v26, v13, 21, 1
	v_and_b32_e32 v9, v11, v9
	s_delay_alu instid0(VALU_DEP_2) | instskip(NEXT) | instid1(VALU_DEP_2)
	v_add_nc_u32_e32 v11, -1, v26
	v_cmp_eq_u32_e64 s13, v9, v27
	s_delay_alu instid0(VALU_DEP_1) | instskip(SKIP_2) | instid1(VALU_DEP_2)
	v_cndmask_b32_e64 v9, 0, v11, s13
	v_lshrrev_b32_e32 v11, 23, v13
	s_mov_b32 s13, exec_lo
	v_add_nc_u32_e32 v9, v9, v13
	s_delay_alu instid0(VALU_DEP_2) | instskip(NEXT) | instid1(VALU_DEP_2)
	v_xor_b32_e32 v11, 1, v11
	v_and_b32_e32 v8, 0x1fffff, v9
	s_delay_alu instid0(VALU_DEP_1) | instskip(NEXT) | instid1(VALU_DEP_3)
	v_add_nc_u32_e32 v9, v8, v13
                                        ; implicit-def: $vgpr8
	v_cmpx_ne_u32_e64 v10, v11
	s_xor_b32 s13, exec_lo, s13
; %bb.532:                              ;   in Loop: Header=BB6_144 Depth=3
	s_delay_alu instid0(VALU_DEP_2) | instskip(SKIP_2) | instid1(VALU_DEP_2)
	v_cmp_lt_u32_e32 vcc_lo, 0xffffff, v9
	v_sub_nc_u32_e32 v8, v10, v11
	v_cndmask_b32_e64 v10, 0, 1, vcc_lo
	v_add_co_ci_u32_e32 v8, vcc_lo, 0, v8, vcc_lo
	s_delay_alu instid0(VALU_DEP_2)
	v_lshrrev_b32_e32 v9, v10, v9
; %bb.533:                              ;   in Loop: Header=BB6_144 Depth=3
	s_and_not1_saveexec_b32 s13, s13
; %bb.534:                              ;   in Loop: Header=BB6_144 Depth=3
	s_delay_alu instid0(VALU_DEP_1)
	v_bfe_u32 v8, v9, 23, 1
; %bb.535:                              ;   in Loop: Header=BB6_144 Depth=3
	s_or_b32 exec_lo, exec_lo, s13
	v_lshrrev_b32_e32 v9, 21, v9
	s_delay_alu instid0(VALU_DEP_2) | instskip(SKIP_3) | instid1(VALU_DEP_3)
	v_cmp_gt_i32_e32 vcc_lo, 32, v8
	v_min_i32_e32 v10, 31, v8
	v_lshrrev_b32_e32 v2, 24, v2
	v_mov_b32_e32 v51, v128
	v_dual_cndmask_b32 v9, 3, v9 :: v_dual_lshlrev_b32 v10, 2, v10
	s_delay_alu instid0(VALU_DEP_3) | instskip(NEXT) | instid1(VALU_DEP_2)
	v_and_b32_e32 v2, 0x80, v2
	v_or_b32_e32 v8, v8, v9
	s_delay_alu instid0(VALU_DEP_3) | instskip(NEXT) | instid1(VALU_DEP_2)
	v_and_b32_e32 v10, 0xfc, v10
	v_cmp_ne_u32_e32 vcc_lo, 0, v8
	v_and_b32_e32 v11, 3, v9
	s_delay_alu instid0(VALU_DEP_1) | instskip(NEXT) | instid1(VALU_DEP_1)
	v_or3_b32 v2, v2, v10, v11
	v_lshlrev_b32_e32 v2, 8, v2
	s_delay_alu instid0(VALU_DEP_1)
	v_cndmask_b32_e32 v2, 0, v2, vcc_lo
	scratch_store_b32 off, v2, s33 offset:328 ; 4-byte Folded Spill
.LBB6_536:                              ;   in Loop: Header=BB6_144 Depth=3
	s_or_b32 exec_lo, exec_lo, s36
.LBB6_537:                              ;   in Loop: Header=BB6_144 Depth=3
	s_delay_alu instid0(SALU_CYCLE_1)
	s_or_b32 exec_lo, exec_lo, s35
	global_load_b128 v[8:11], v[20:21], off offset:1024 slc dlc
	s_mov_b32 s13, 0
	s_mov_b32 s36, exec_lo
                                        ; implicit-def: $sgpr35
	s_waitcnt vmcnt(0)
	v_and_b32_e32 v13, 0xff, v8
	s_delay_alu instid0(VALU_DEP_1)
	v_cmpx_lt_i16_e32 0x7f, v13
	s_xor_b32 s36, exec_lo, s36
	s_cbranch_execnz .LBB6_1815
; %bb.538:                              ;   in Loop: Header=BB6_144 Depth=3
	s_or_saveexec_b32 s36, s36
	v_mov_b32_e32 v2, s35
	s_xor_b32 exec_lo, exec_lo, s36
	s_cbranch_execnz .LBB6_1818
.LBB6_539:                              ;   in Loop: Header=BB6_144 Depth=3
	s_or_b32 exec_lo, exec_lo, s36
	s_and_saveexec_b32 s35, s13
	s_cbranch_execz .LBB6_541
.LBB6_540:                              ;   in Loop: Header=BB6_144 Depth=3
	v_bfe_u32 v27, v8, 2, 5
	v_lshlrev_b32_e32 v36, 24, v8
	s_delay_alu instid0(VALU_DEP_2) | instskip(SKIP_1) | instid1(VALU_DEP_1)
	v_cmp_eq_u32_e32 vcc_lo, 0, v27
	v_and_b32_e32 v2, 3, v8
	v_clz_i32_u32_e32 v13, v2
	s_delay_alu instid0(VALU_DEP_1) | instskip(NEXT) | instid1(VALU_DEP_1)
	v_min_u32_e32 v13, 32, v13
	v_subrev_nc_u32_e32 v26, 29, v13
	v_sub_nc_u32_e32 v13, 30, v13
	s_delay_alu instid0(VALU_DEP_1) | instskip(NEXT) | instid1(VALU_DEP_1)
	v_dual_cndmask_b32 v13, v27, v13 :: v_dual_lshlrev_b32 v26, v26, v8
	v_and_b32_e32 v26, 3, v26
	s_delay_alu instid0(VALU_DEP_2) | instskip(NEXT) | instid1(VALU_DEP_2)
	v_lshl_add_u32 v13, v13, 23, 0x37800000
	v_cndmask_b32_e32 v2, v2, v26, vcc_lo
	v_and_b32_e32 v26, 0x80000000, v36
	s_delay_alu instid0(VALU_DEP_2) | instskip(NEXT) | instid1(VALU_DEP_1)
	v_lshlrev_b32_e32 v2, 21, v2
	v_or3_b32 v2, v26, v13, v2
.LBB6_541:                              ;   in Loop: Header=BB6_144 Depth=3
	s_or_b32 exec_lo, exec_lo, s35
	s_delay_alu instid0(VALU_DEP_1) | instskip(SKIP_1) | instid1(VALU_DEP_1)
	v_dual_mul_f32 v2, s34, v2 :: v_dual_mov_b32 v131, 0x80
	s_mov_b32 s35, exec_lo
	v_and_b32_e32 v13, 0x7f800000, v2
	s_delay_alu instid0(VALU_DEP_1)
	v_cmpx_ne_u32_e32 0x7f800000, v13
	s_cbranch_execz .LBB6_549
; %bb.542:                              ;   in Loop: Header=BB6_144 Depth=3
	v_mov_b32_e32 v131, 0
	s_mov_b32 s36, exec_lo
	v_cmpx_ne_u32_e32 0, v2
	s_cbranch_execz .LBB6_548
; %bb.543:                              ;   in Loop: Header=BB6_144 Depth=3
	v_bfe_u32 v13, v2, 23, 8
	s_delay_alu instid0(VALU_DEP_1) | instskip(SKIP_1) | instid1(VALU_DEP_2)
	v_sub_nc_u32_e32 v27, 0x70, v13
	v_cmp_gt_u32_e32 vcc_lo, 0x71, v13
	v_dual_cndmask_b32 v27, 0, v27 :: v_dual_and_b32 v26, 0x7fffff, v2
	s_delay_alu instid0(VALU_DEP_1) | instskip(SKIP_2) | instid1(VALU_DEP_4)
	v_or_b32_e32 v36, 0x800000, v26
	v_cmp_eq_u32_e32 vcc_lo, 0, v13
	v_add_nc_u32_e32 v13, 0xffffff91, v13
	v_cndmask_b32_e64 v27, v27, 0x6f, vcc_lo
	s_delay_alu instid0(VALU_DEP_4) | instskip(NEXT) | instid1(VALU_DEP_3)
	v_cndmask_b32_e32 v26, v36, v26, vcc_lo
	v_cndmask_b32_e64 v13, v13, 0xffffff92, vcc_lo
	s_delay_alu instid0(VALU_DEP_3) | instskip(NEXT) | instid1(VALU_DEP_3)
	v_lshl_add_u32 v36, 0x200000, v27, -1
	v_lshrrev_b32_e32 v37, v27, v26
	v_lshlrev_b32_e64 v39, v27, 0x100000
	s_delay_alu instid0(VALU_DEP_4) | instskip(NEXT) | instid1(VALU_DEP_4)
	v_add_nc_u32_e32 v27, v27, v13
	v_and_b32_e32 v26, v36, v26
	s_delay_alu instid0(VALU_DEP_4) | instskip(NEXT) | instid1(VALU_DEP_2)
	v_bfe_u32 v38, v37, 21, 1
	v_cmp_eq_u32_e64 s13, v26, v39
	s_delay_alu instid0(VALU_DEP_2) | instskip(NEXT) | instid1(VALU_DEP_1)
	v_add_nc_u32_e32 v36, -1, v38
	v_cndmask_b32_e64 v26, 0, v36, s13
	v_lshrrev_b32_e32 v36, 23, v37
	s_mov_b32 s13, exec_lo
	s_delay_alu instid0(VALU_DEP_2) | instskip(NEXT) | instid1(VALU_DEP_2)
	v_add_nc_u32_e32 v26, v26, v37
	v_xor_b32_e32 v36, 1, v36
	s_delay_alu instid0(VALU_DEP_2) | instskip(NEXT) | instid1(VALU_DEP_1)
	v_and_b32_e32 v13, 0x1fffff, v26
	v_add_nc_u32_e32 v26, v13, v37
                                        ; implicit-def: $vgpr13
	s_delay_alu instid0(VALU_DEP_3)
	v_cmpx_ne_u32_e64 v27, v36
	s_xor_b32 s13, exec_lo, s13
; %bb.544:                              ;   in Loop: Header=BB6_144 Depth=3
	s_delay_alu instid0(VALU_DEP_2) | instskip(SKIP_2) | instid1(VALU_DEP_2)
	v_cmp_lt_u32_e32 vcc_lo, 0xffffff, v26
	v_sub_nc_u32_e32 v13, v27, v36
	v_cndmask_b32_e64 v27, 0, 1, vcc_lo
	v_add_co_ci_u32_e32 v13, vcc_lo, 0, v13, vcc_lo
	s_delay_alu instid0(VALU_DEP_2)
	v_lshrrev_b32_e32 v26, v27, v26
; %bb.545:                              ;   in Loop: Header=BB6_144 Depth=3
	s_and_not1_saveexec_b32 s13, s13
; %bb.546:                              ;   in Loop: Header=BB6_144 Depth=3
	s_delay_alu instid0(VALU_DEP_1)
	v_bfe_u32 v13, v26, 23, 1
; %bb.547:                              ;   in Loop: Header=BB6_144 Depth=3
	s_or_b32 exec_lo, exec_lo, s13
	v_lshrrev_b32_e32 v26, 21, v26
	s_delay_alu instid0(VALU_DEP_2) | instskip(SKIP_2) | instid1(VALU_DEP_4)
	v_cmp_gt_i32_e32 vcc_lo, 32, v13
	v_lshrrev_b32_e32 v2, 24, v2
	v_min_i32_e32 v27, 31, v13
	v_dual_mov_b32 v51, v128 :: v_dual_cndmask_b32 v26, 3, v26
	s_delay_alu instid0(VALU_DEP_3) | instskip(NEXT) | instid1(VALU_DEP_3)
	v_and_b32_e32 v2, 0x80, v2
	v_lshlrev_b32_e32 v27, 2, v27
	s_delay_alu instid0(VALU_DEP_3) | instskip(SKIP_1) | instid1(VALU_DEP_2)
	v_and_b32_e32 v36, 3, v26
	v_or_b32_e32 v13, v13, v26
	v_or3_b32 v2, v27, v2, v36
	s_delay_alu instid0(VALU_DEP_2) | instskip(NEXT) | instid1(VALU_DEP_2)
	v_cmp_ne_u32_e32 vcc_lo, 0, v13
	v_cndmask_b32_e32 v131, 0, v2, vcc_lo
.LBB6_548:                              ;   in Loop: Header=BB6_144 Depth=3
	s_or_b32 exec_lo, exec_lo, s36
.LBB6_549:                              ;   in Loop: Header=BB6_144 Depth=3
	s_delay_alu instid0(SALU_CYCLE_1) | instskip(SKIP_3) | instid1(VALU_DEP_1)
	s_or_b32 exec_lo, exec_lo, s35
	v_lshrrev_b16 v2, 8, v8
	s_mov_b32 s13, 0
	s_mov_b32 s36, exec_lo
                                        ; implicit-def: $sgpr35
	v_cmpx_lt_i16_e32 0x7f, v2
	s_xor_b32 s36, exec_lo, s36
	s_cbranch_execnz .LBB6_1819
; %bb.550:                              ;   in Loop: Header=BB6_144 Depth=3
	s_or_saveexec_b32 s36, s36
	v_mov_b32_e32 v13, s35
	s_xor_b32 exec_lo, exec_lo, s36
	s_cbranch_execnz .LBB6_1822
.LBB6_551:                              ;   in Loop: Header=BB6_144 Depth=3
	s_or_b32 exec_lo, exec_lo, s36
	s_and_saveexec_b32 s35, s13
	s_cbranch_execz .LBB6_553
.LBB6_552:                              ;   in Loop: Header=BB6_144 Depth=3
	v_and_b32_e32 v13, 0xffff, v2
	v_lshlrev_b32_e32 v2, 24, v2
	s_delay_alu instid0(VALU_DEP_2) | instskip(NEXT) | instid1(VALU_DEP_2)
	v_and_b32_e32 v26, 3, v13
	v_and_b32_e32 v2, 0x80000000, v2
	s_delay_alu instid0(VALU_DEP_2) | instskip(NEXT) | instid1(VALU_DEP_1)
	v_clz_i32_u32_e32 v27, v26
	v_min_u32_e32 v27, 32, v27
	s_delay_alu instid0(VALU_DEP_1) | instskip(SKIP_1) | instid1(VALU_DEP_2)
	v_subrev_nc_u32_e32 v36, 29, v27
	v_sub_nc_u32_e32 v27, 30, v27
	v_lshlrev_b32_e32 v36, v36, v13
	v_bfe_u32 v13, v13, 2, 5
	s_delay_alu instid0(VALU_DEP_2) | instskip(NEXT) | instid1(VALU_DEP_2)
	v_and_b32_e32 v36, 3, v36
	v_cmp_eq_u32_e32 vcc_lo, 0, v13
	s_delay_alu instid0(VALU_DEP_2) | instskip(NEXT) | instid1(VALU_DEP_1)
	v_dual_cndmask_b32 v13, v13, v27 :: v_dual_cndmask_b32 v26, v26, v36
	v_lshl_add_u32 v13, v13, 23, 0x37800000
	s_delay_alu instid0(VALU_DEP_2) | instskip(NEXT) | instid1(VALU_DEP_1)
	v_lshlrev_b32_e32 v26, 21, v26
	v_or3_b32 v13, v2, v13, v26
.LBB6_553:                              ;   in Loop: Header=BB6_144 Depth=3
	s_or_b32 exec_lo, exec_lo, s35
	s_delay_alu instid0(VALU_DEP_1) | instskip(SKIP_2) | instid1(VALU_DEP_2)
	v_mul_f32_e32 v2, s34, v13
	v_mov_b32_e32 v100, 0x80
	s_mov_b32 s35, exec_lo
	v_and_b32_e32 v13, 0x7f800000, v2
	s_delay_alu instid0(VALU_DEP_1)
	v_cmpx_ne_u32_e32 0x7f800000, v13
	s_cbranch_execz .LBB6_561
; %bb.554:                              ;   in Loop: Header=BB6_144 Depth=3
	v_mov_b32_e32 v100, 0
	s_mov_b32 s36, exec_lo
	v_cmpx_ne_u32_e32 0, v2
	s_cbranch_execz .LBB6_560
; %bb.555:                              ;   in Loop: Header=BB6_144 Depth=3
	v_bfe_u32 v13, v2, 23, 8
	s_delay_alu instid0(VALU_DEP_1) | instskip(SKIP_1) | instid1(VALU_DEP_2)
	v_sub_nc_u32_e32 v27, 0x70, v13
	v_cmp_gt_u32_e32 vcc_lo, 0x71, v13
	v_dual_cndmask_b32 v27, 0, v27 :: v_dual_and_b32 v26, 0x7fffff, v2
	s_delay_alu instid0(VALU_DEP_1) | instskip(SKIP_2) | instid1(VALU_DEP_4)
	v_or_b32_e32 v36, 0x800000, v26
	v_cmp_eq_u32_e32 vcc_lo, 0, v13
	v_add_nc_u32_e32 v13, 0xffffff91, v13
	v_cndmask_b32_e64 v27, v27, 0x6f, vcc_lo
	s_delay_alu instid0(VALU_DEP_4) | instskip(NEXT) | instid1(VALU_DEP_3)
	v_cndmask_b32_e32 v26, v36, v26, vcc_lo
	v_cndmask_b32_e64 v13, v13, 0xffffff92, vcc_lo
	s_delay_alu instid0(VALU_DEP_3) | instskip(NEXT) | instid1(VALU_DEP_3)
	v_lshl_add_u32 v36, 0x200000, v27, -1
	v_lshrrev_b32_e32 v37, v27, v26
	v_lshlrev_b32_e64 v39, v27, 0x100000
	s_delay_alu instid0(VALU_DEP_4) | instskip(NEXT) | instid1(VALU_DEP_4)
	v_add_nc_u32_e32 v27, v27, v13
	v_and_b32_e32 v26, v36, v26
	s_delay_alu instid0(VALU_DEP_4) | instskip(NEXT) | instid1(VALU_DEP_2)
	v_bfe_u32 v38, v37, 21, 1
	v_cmp_eq_u32_e64 s13, v26, v39
	s_delay_alu instid0(VALU_DEP_2) | instskip(NEXT) | instid1(VALU_DEP_1)
	v_add_nc_u32_e32 v36, -1, v38
	v_cndmask_b32_e64 v26, 0, v36, s13
	v_lshrrev_b32_e32 v36, 23, v37
	s_mov_b32 s13, exec_lo
	s_delay_alu instid0(VALU_DEP_2) | instskip(NEXT) | instid1(VALU_DEP_2)
	v_add_nc_u32_e32 v26, v26, v37
	v_xor_b32_e32 v36, 1, v36
	s_delay_alu instid0(VALU_DEP_2) | instskip(NEXT) | instid1(VALU_DEP_1)
	v_and_b32_e32 v13, 0x1fffff, v26
	v_add_nc_u32_e32 v26, v13, v37
                                        ; implicit-def: $vgpr13
	s_delay_alu instid0(VALU_DEP_3)
	v_cmpx_ne_u32_e64 v27, v36
	s_xor_b32 s13, exec_lo, s13
; %bb.556:                              ;   in Loop: Header=BB6_144 Depth=3
	s_delay_alu instid0(VALU_DEP_2) | instskip(SKIP_2) | instid1(VALU_DEP_2)
	v_cmp_lt_u32_e32 vcc_lo, 0xffffff, v26
	v_sub_nc_u32_e32 v13, v27, v36
	v_cndmask_b32_e64 v27, 0, 1, vcc_lo
	v_add_co_ci_u32_e32 v13, vcc_lo, 0, v13, vcc_lo
	s_delay_alu instid0(VALU_DEP_2)
	v_lshrrev_b32_e32 v26, v27, v26
; %bb.557:                              ;   in Loop: Header=BB6_144 Depth=3
	s_and_not1_saveexec_b32 s13, s13
; %bb.558:                              ;   in Loop: Header=BB6_144 Depth=3
	s_delay_alu instid0(VALU_DEP_1)
	v_bfe_u32 v13, v26, 23, 1
; %bb.559:                              ;   in Loop: Header=BB6_144 Depth=3
	s_or_b32 exec_lo, exec_lo, s13
	v_lshrrev_b32_e32 v26, 21, v26
	s_delay_alu instid0(VALU_DEP_2) | instskip(SKIP_2) | instid1(VALU_DEP_4)
	v_cmp_gt_i32_e32 vcc_lo, 32, v13
	v_lshrrev_b32_e32 v2, 24, v2
	v_min_i32_e32 v27, 31, v13
	v_dual_mov_b32 v51, v128 :: v_dual_cndmask_b32 v26, 3, v26
	s_delay_alu instid0(VALU_DEP_3) | instskip(NEXT) | instid1(VALU_DEP_3)
	v_and_b32_e32 v2, 0x80, v2
	v_lshlrev_b32_e32 v27, 2, v27
	s_delay_alu instid0(VALU_DEP_3) | instskip(SKIP_1) | instid1(VALU_DEP_2)
	v_and_b32_e32 v36, 3, v26
	v_or_b32_e32 v13, v13, v26
	v_or3_b32 v2, v27, v2, v36
	s_delay_alu instid0(VALU_DEP_2) | instskip(NEXT) | instid1(VALU_DEP_2)
	v_cmp_ne_u32_e32 vcc_lo, 0, v13
	v_cndmask_b32_e32 v100, 0, v2, vcc_lo
.LBB6_560:                              ;   in Loop: Header=BB6_144 Depth=3
	s_or_b32 exec_lo, exec_lo, s36
.LBB6_561:                              ;   in Loop: Header=BB6_144 Depth=3
	s_delay_alu instid0(SALU_CYCLE_1) | instskip(SKIP_3) | instid1(VALU_DEP_1)
	s_or_b32 exec_lo, exec_lo, s35
	v_lshrrev_b32_e32 v2, 16, v8
	s_mov_b32 s13, 0
	s_mov_b32 s36, exec_lo
                                        ; implicit-def: $sgpr35
	v_and_b32_e32 v26, 0xff, v2
	s_delay_alu instid0(VALU_DEP_1)
	v_cmpx_lt_i16_e32 0x7f, v26
	s_xor_b32 s36, exec_lo, s36
	s_cbranch_execnz .LBB6_1823
; %bb.562:                              ;   in Loop: Header=BB6_144 Depth=3
	s_or_saveexec_b32 s36, s36
	v_mov_b32_e32 v13, s35
	s_xor_b32 exec_lo, exec_lo, s36
	s_cbranch_execnz .LBB6_1826
.LBB6_563:                              ;   in Loop: Header=BB6_144 Depth=3
	s_or_b32 exec_lo, exec_lo, s36
	s_and_saveexec_b32 s35, s13
	s_cbranch_execz .LBB6_565
.LBB6_564:                              ;   in Loop: Header=BB6_144 Depth=3
	v_bfe_u32 v13, v8, 16, 2
	v_lshlrev_b32_e32 v36, 8, v8
	s_delay_alu instid0(VALU_DEP_2) | instskip(NEXT) | instid1(VALU_DEP_1)
	v_clz_i32_u32_e32 v26, v13
	v_min_u32_e32 v26, 32, v26
	s_delay_alu instid0(VALU_DEP_1) | instskip(SKIP_1) | instid1(VALU_DEP_2)
	v_subrev_nc_u32_e32 v27, 29, v26
	v_sub_nc_u32_e32 v26, 30, v26
	v_lshlrev_b32_e32 v2, v27, v2
	v_bfe_u32 v27, v8, 18, 5
	s_delay_alu instid0(VALU_DEP_2) | instskip(NEXT) | instid1(VALU_DEP_2)
	v_and_b32_e32 v2, 3, v2
	v_cmp_eq_u32_e32 vcc_lo, 0, v27
	v_cndmask_b32_e32 v26, v27, v26, vcc_lo
	s_delay_alu instid0(VALU_DEP_3) | instskip(NEXT) | instid1(VALU_DEP_2)
	v_dual_cndmask_b32 v2, v13, v2 :: v_dual_and_b32 v13, 0x80000000, v36
	v_lshl_add_u32 v26, v26, 23, 0x37800000
	s_delay_alu instid0(VALU_DEP_2) | instskip(NEXT) | instid1(VALU_DEP_1)
	v_lshlrev_b32_e32 v2, 21, v2
	v_or3_b32 v13, v13, v26, v2
.LBB6_565:                              ;   in Loop: Header=BB6_144 Depth=3
	s_or_b32 exec_lo, exec_lo, s35
	s_delay_alu instid0(VALU_DEP_1) | instskip(SKIP_2) | instid1(VALU_DEP_2)
	v_mul_f32_e32 v2, s34, v13
	v_mov_b32_e32 v134, 0x80
	s_mov_b32 s35, exec_lo
	v_and_b32_e32 v13, 0x7f800000, v2
	s_delay_alu instid0(VALU_DEP_1)
	v_cmpx_ne_u32_e32 0x7f800000, v13
	s_cbranch_execz .LBB6_573
; %bb.566:                              ;   in Loop: Header=BB6_144 Depth=3
	v_mov_b32_e32 v134, 0
	s_mov_b32 s36, exec_lo
	v_cmpx_ne_u32_e32 0, v2
	s_cbranch_execz .LBB6_572
; %bb.567:                              ;   in Loop: Header=BB6_144 Depth=3
	v_bfe_u32 v13, v2, 23, 8
	s_delay_alu instid0(VALU_DEP_1) | instskip(SKIP_1) | instid1(VALU_DEP_2)
	v_sub_nc_u32_e32 v27, 0x70, v13
	v_cmp_gt_u32_e32 vcc_lo, 0x71, v13
	v_dual_cndmask_b32 v27, 0, v27 :: v_dual_and_b32 v26, 0x7fffff, v2
	s_delay_alu instid0(VALU_DEP_1) | instskip(SKIP_2) | instid1(VALU_DEP_4)
	v_or_b32_e32 v36, 0x800000, v26
	v_cmp_eq_u32_e32 vcc_lo, 0, v13
	v_add_nc_u32_e32 v13, 0xffffff91, v13
	v_cndmask_b32_e64 v27, v27, 0x6f, vcc_lo
	s_delay_alu instid0(VALU_DEP_4) | instskip(NEXT) | instid1(VALU_DEP_3)
	v_cndmask_b32_e32 v26, v36, v26, vcc_lo
	v_cndmask_b32_e64 v13, v13, 0xffffff92, vcc_lo
	s_delay_alu instid0(VALU_DEP_3) | instskip(NEXT) | instid1(VALU_DEP_3)
	v_lshl_add_u32 v36, 0x200000, v27, -1
	v_lshrrev_b32_e32 v37, v27, v26
	v_lshlrev_b32_e64 v39, v27, 0x100000
	s_delay_alu instid0(VALU_DEP_4) | instskip(NEXT) | instid1(VALU_DEP_4)
	v_add_nc_u32_e32 v27, v27, v13
	v_and_b32_e32 v26, v36, v26
	s_delay_alu instid0(VALU_DEP_4) | instskip(NEXT) | instid1(VALU_DEP_2)
	v_bfe_u32 v38, v37, 21, 1
	v_cmp_eq_u32_e64 s13, v26, v39
	s_delay_alu instid0(VALU_DEP_2) | instskip(NEXT) | instid1(VALU_DEP_1)
	v_add_nc_u32_e32 v36, -1, v38
	v_cndmask_b32_e64 v26, 0, v36, s13
	v_lshrrev_b32_e32 v36, 23, v37
	s_mov_b32 s13, exec_lo
	s_delay_alu instid0(VALU_DEP_2) | instskip(NEXT) | instid1(VALU_DEP_2)
	v_add_nc_u32_e32 v26, v26, v37
	v_xor_b32_e32 v36, 1, v36
	s_delay_alu instid0(VALU_DEP_2) | instskip(NEXT) | instid1(VALU_DEP_1)
	v_and_b32_e32 v13, 0x1fffff, v26
	v_add_nc_u32_e32 v26, v13, v37
                                        ; implicit-def: $vgpr13
	s_delay_alu instid0(VALU_DEP_3)
	v_cmpx_ne_u32_e64 v27, v36
	s_xor_b32 s13, exec_lo, s13
; %bb.568:                              ;   in Loop: Header=BB6_144 Depth=3
	s_delay_alu instid0(VALU_DEP_2) | instskip(SKIP_2) | instid1(VALU_DEP_2)
	v_cmp_lt_u32_e32 vcc_lo, 0xffffff, v26
	v_sub_nc_u32_e32 v13, v27, v36
	v_cndmask_b32_e64 v27, 0, 1, vcc_lo
	v_add_co_ci_u32_e32 v13, vcc_lo, 0, v13, vcc_lo
	s_delay_alu instid0(VALU_DEP_2)
	v_lshrrev_b32_e32 v26, v27, v26
; %bb.569:                              ;   in Loop: Header=BB6_144 Depth=3
	s_and_not1_saveexec_b32 s13, s13
; %bb.570:                              ;   in Loop: Header=BB6_144 Depth=3
	s_delay_alu instid0(VALU_DEP_1)
	v_bfe_u32 v13, v26, 23, 1
; %bb.571:                              ;   in Loop: Header=BB6_144 Depth=3
	s_or_b32 exec_lo, exec_lo, s13
	v_lshrrev_b32_e32 v26, 21, v26
	s_delay_alu instid0(VALU_DEP_2) | instskip(SKIP_2) | instid1(VALU_DEP_4)
	v_cmp_gt_i32_e32 vcc_lo, 32, v13
	v_lshrrev_b32_e32 v2, 24, v2
	v_min_i32_e32 v27, 31, v13
	v_dual_mov_b32 v51, v128 :: v_dual_cndmask_b32 v26, 3, v26
	s_delay_alu instid0(VALU_DEP_3) | instskip(NEXT) | instid1(VALU_DEP_3)
	v_and_b32_e32 v2, 0x80, v2
	v_lshlrev_b32_e32 v27, 2, v27
	s_delay_alu instid0(VALU_DEP_3) | instskip(SKIP_1) | instid1(VALU_DEP_2)
	v_and_b32_e32 v36, 3, v26
	v_or_b32_e32 v13, v13, v26
	v_or3_b32 v2, v27, v2, v36
	s_delay_alu instid0(VALU_DEP_2) | instskip(NEXT) | instid1(VALU_DEP_2)
	v_cmp_ne_u32_e32 vcc_lo, 0, v13
	v_cndmask_b32_e32 v134, 0, v2, vcc_lo
.LBB6_572:                              ;   in Loop: Header=BB6_144 Depth=3
	s_or_b32 exec_lo, exec_lo, s36
.LBB6_573:                              ;   in Loop: Header=BB6_144 Depth=3
	s_delay_alu instid0(SALU_CYCLE_1) | instskip(SKIP_3) | instid1(VALU_DEP_1)
	s_or_b32 exec_lo, exec_lo, s35
	v_lshrrev_b32_e32 v2, 24, v8
	s_mov_b32 s13, 0
	s_mov_b32 s36, exec_lo
                                        ; implicit-def: $sgpr35
	v_cmpx_lt_i16_e32 0x7f, v2
	s_xor_b32 s36, exec_lo, s36
	s_cbranch_execnz .LBB6_1827
; %bb.574:                              ;   in Loop: Header=BB6_144 Depth=3
	s_or_saveexec_b32 s36, s36
	v_mov_b32_e32 v13, s35
	s_xor_b32 exec_lo, exec_lo, s36
	s_cbranch_execnz .LBB6_1830
.LBB6_575:                              ;   in Loop: Header=BB6_144 Depth=3
	s_or_b32 exec_lo, exec_lo, s36
	s_and_saveexec_b32 s35, s13
	s_cbranch_execz .LBB6_577
.LBB6_576:                              ;   in Loop: Header=BB6_144 Depth=3
	v_bfe_u32 v13, v8, 24, 2
	s_delay_alu instid0(VALU_DEP_1) | instskip(NEXT) | instid1(VALU_DEP_1)
	v_clz_i32_u32_e32 v26, v13
	v_min_u32_e32 v26, 32, v26
	s_delay_alu instid0(VALU_DEP_1) | instskip(SKIP_1) | instid1(VALU_DEP_2)
	v_subrev_nc_u32_e32 v27, 29, v26
	v_sub_nc_u32_e32 v26, 30, v26
	v_lshlrev_b32_e32 v2, v27, v2
	v_bfe_u32 v27, v8, 26, 5
	v_and_b32_e32 v8, 0x80000000, v8
	s_delay_alu instid0(VALU_DEP_3) | instskip(NEXT) | instid1(VALU_DEP_3)
	v_and_b32_e32 v2, 3, v2
	v_cmp_eq_u32_e32 vcc_lo, 0, v27
	v_cndmask_b32_e32 v26, v27, v26, vcc_lo
	s_delay_alu instid0(VALU_DEP_3) | instskip(NEXT) | instid1(VALU_DEP_2)
	v_cndmask_b32_e32 v2, v13, v2, vcc_lo
	v_lshl_add_u32 v13, v26, 23, 0x37800000
	s_delay_alu instid0(VALU_DEP_2) | instskip(NEXT) | instid1(VALU_DEP_1)
	v_lshlrev_b32_e32 v2, 21, v2
	v_or3_b32 v13, v8, v13, v2
.LBB6_577:                              ;   in Loop: Header=BB6_144 Depth=3
	s_or_b32 exec_lo, exec_lo, s35
	s_delay_alu instid0(VALU_DEP_1) | instskip(SKIP_1) | instid1(VALU_DEP_1)
	v_dual_mul_f32 v2, s34, v13 :: v_dual_mov_b32 v135, 0x80
	s_mov_b32 s35, exec_lo
	v_and_b32_e32 v8, 0x7f800000, v2
	s_delay_alu instid0(VALU_DEP_1)
	v_cmpx_ne_u32_e32 0x7f800000, v8
	s_cbranch_execz .LBB6_585
; %bb.578:                              ;   in Loop: Header=BB6_144 Depth=3
	v_mov_b32_e32 v135, 0
	s_mov_b32 s36, exec_lo
	v_cmpx_ne_u32_e32 0, v2
	s_cbranch_execz .LBB6_584
; %bb.579:                              ;   in Loop: Header=BB6_144 Depth=3
	v_bfe_u32 v8, v2, 23, 8
	v_and_b32_e32 v13, 0x7fffff, v2
	s_delay_alu instid0(VALU_DEP_2) | instskip(SKIP_1) | instid1(VALU_DEP_3)
	v_sub_nc_u32_e32 v26, 0x70, v8
	v_cmp_gt_u32_e32 vcc_lo, 0x71, v8
	v_or_b32_e32 v27, 0x800000, v13
	s_delay_alu instid0(VALU_DEP_3) | instskip(SKIP_1) | instid1(VALU_DEP_3)
	v_cndmask_b32_e32 v26, 0, v26, vcc_lo
	v_cmp_eq_u32_e32 vcc_lo, 0, v8
	v_dual_cndmask_b32 v13, v27, v13 :: v_dual_add_nc_u32 v8, 0xffffff91, v8
	s_delay_alu instid0(VALU_DEP_3) | instskip(NEXT) | instid1(VALU_DEP_2)
	v_cndmask_b32_e64 v26, v26, 0x6f, vcc_lo
	v_cndmask_b32_e64 v8, v8, 0xffffff92, vcc_lo
	s_delay_alu instid0(VALU_DEP_2) | instskip(SKIP_2) | instid1(VALU_DEP_4)
	v_lshrrev_b32_e32 v36, v26, v13
	v_lshl_add_u32 v27, 0x200000, v26, -1
	v_lshlrev_b32_e64 v38, v26, 0x100000
	v_add_nc_u32_e32 v26, v26, v8
	s_delay_alu instid0(VALU_DEP_4) | instskip(NEXT) | instid1(VALU_DEP_4)
	v_bfe_u32 v37, v36, 21, 1
	v_and_b32_e32 v13, v27, v13
	s_delay_alu instid0(VALU_DEP_2) | instskip(NEXT) | instid1(VALU_DEP_2)
	v_add_nc_u32_e32 v27, -1, v37
	v_cmp_eq_u32_e64 s13, v13, v38
	s_delay_alu instid0(VALU_DEP_1) | instskip(SKIP_2) | instid1(VALU_DEP_2)
	v_cndmask_b32_e64 v13, 0, v27, s13
	v_lshrrev_b32_e32 v27, 23, v36
	s_mov_b32 s13, exec_lo
	v_add_nc_u32_e32 v13, v13, v36
	s_delay_alu instid0(VALU_DEP_2) | instskip(NEXT) | instid1(VALU_DEP_2)
	v_xor_b32_e32 v27, 1, v27
	v_and_b32_e32 v8, 0x1fffff, v13
	s_delay_alu instid0(VALU_DEP_1) | instskip(NEXT) | instid1(VALU_DEP_3)
	v_add_nc_u32_e32 v13, v8, v36
                                        ; implicit-def: $vgpr8
	v_cmpx_ne_u32_e64 v26, v27
	s_xor_b32 s13, exec_lo, s13
; %bb.580:                              ;   in Loop: Header=BB6_144 Depth=3
	s_delay_alu instid0(VALU_DEP_2) | instskip(SKIP_2) | instid1(VALU_DEP_2)
	v_cmp_lt_u32_e32 vcc_lo, 0xffffff, v13
	v_sub_nc_u32_e32 v8, v26, v27
	v_cndmask_b32_e64 v26, 0, 1, vcc_lo
	v_add_co_ci_u32_e32 v8, vcc_lo, 0, v8, vcc_lo
	s_delay_alu instid0(VALU_DEP_2)
	v_lshrrev_b32_e32 v13, v26, v13
; %bb.581:                              ;   in Loop: Header=BB6_144 Depth=3
	s_and_not1_saveexec_b32 s13, s13
; %bb.582:                              ;   in Loop: Header=BB6_144 Depth=3
	s_delay_alu instid0(VALU_DEP_1)
	v_bfe_u32 v8, v13, 23, 1
; %bb.583:                              ;   in Loop: Header=BB6_144 Depth=3
	s_or_b32 exec_lo, exec_lo, s13
	v_lshrrev_b32_e32 v13, 21, v13
	s_delay_alu instid0(VALU_DEP_2) | instskip(SKIP_3) | instid1(VALU_DEP_3)
	v_cmp_gt_i32_e32 vcc_lo, 32, v8
	v_lshrrev_b32_e32 v2, 24, v2
	v_min_i32_e32 v26, 31, v8
	v_mov_b32_e32 v51, v128
	v_dual_cndmask_b32 v13, 3, v13 :: v_dual_and_b32 v2, 0x80, v2
	s_delay_alu instid0(VALU_DEP_3) | instskip(NEXT) | instid1(VALU_DEP_2)
	v_lshlrev_b32_e32 v26, 2, v26
	v_and_b32_e32 v27, 3, v13
	v_or_b32_e32 v8, v8, v13
	s_delay_alu instid0(VALU_DEP_2) | instskip(NEXT) | instid1(VALU_DEP_2)
	v_or3_b32 v2, v26, v2, v27
	v_cmp_ne_u32_e32 vcc_lo, 0, v8
	s_delay_alu instid0(VALU_DEP_2)
	v_cndmask_b32_e32 v135, 0, v2, vcc_lo
.LBB6_584:                              ;   in Loop: Header=BB6_144 Depth=3
	s_or_b32 exec_lo, exec_lo, s36
.LBB6_585:                              ;   in Loop: Header=BB6_144 Depth=3
	s_delay_alu instid0(SALU_CYCLE_1) | instskip(SKIP_3) | instid1(VALU_DEP_1)
	s_or_b32 exec_lo, exec_lo, s35
	v_and_b32_e32 v8, 0xff, v9
	s_mov_b32 s13, 0
	s_mov_b32 s36, exec_lo
                                        ; implicit-def: $sgpr35
	v_cmpx_lt_i16_e32 0x7f, v8
	s_xor_b32 s36, exec_lo, s36
	s_cbranch_execnz .LBB6_1831
; %bb.586:                              ;   in Loop: Header=BB6_144 Depth=3
	s_or_saveexec_b32 s36, s36
	v_mov_b32_e32 v2, s35
	s_xor_b32 exec_lo, exec_lo, s36
	s_cbranch_execnz .LBB6_1834
.LBB6_587:                              ;   in Loop: Header=BB6_144 Depth=3
	s_or_b32 exec_lo, exec_lo, s36
	s_and_saveexec_b32 s35, s13
	s_cbranch_execz .LBB6_589
.LBB6_588:                              ;   in Loop: Header=BB6_144 Depth=3
	v_and_b32_e32 v2, 3, v9
	v_bfe_u32 v26, v9, 2, 5
	v_lshlrev_b32_e32 v27, 24, v9
	s_delay_alu instid0(VALU_DEP_3) | instskip(NEXT) | instid1(VALU_DEP_3)
	v_clz_i32_u32_e32 v8, v2
	v_cmp_eq_u32_e32 vcc_lo, 0, v26
	s_delay_alu instid0(VALU_DEP_2) | instskip(NEXT) | instid1(VALU_DEP_1)
	v_min_u32_e32 v8, 32, v8
	v_subrev_nc_u32_e32 v13, 29, v8
	v_sub_nc_u32_e32 v8, 30, v8
	s_delay_alu instid0(VALU_DEP_1) | instskip(NEXT) | instid1(VALU_DEP_1)
	v_dual_cndmask_b32 v8, v26, v8 :: v_dual_lshlrev_b32 v13, v13, v9
	v_and_b32_e32 v13, 3, v13
	s_delay_alu instid0(VALU_DEP_2) | instskip(NEXT) | instid1(VALU_DEP_2)
	v_lshl_add_u32 v8, v8, 23, 0x37800000
	v_dual_cndmask_b32 v2, v2, v13 :: v_dual_and_b32 v13, 0x80000000, v27
	s_delay_alu instid0(VALU_DEP_1) | instskip(NEXT) | instid1(VALU_DEP_1)
	v_lshlrev_b32_e32 v2, 21, v2
	v_or3_b32 v2, v13, v8, v2
.LBB6_589:                              ;   in Loop: Header=BB6_144 Depth=3
	s_or_b32 exec_lo, exec_lo, s35
	s_delay_alu instid0(VALU_DEP_1) | instskip(SKIP_2) | instid1(VALU_DEP_2)
	v_mul_f32_e32 v2, s34, v2
	v_mov_b32_e32 v116, 0x80
	s_mov_b32 s35, exec_lo
	v_and_b32_e32 v8, 0x7f800000, v2
	s_delay_alu instid0(VALU_DEP_1)
	v_cmpx_ne_u32_e32 0x7f800000, v8
	s_cbranch_execz .LBB6_597
; %bb.590:                              ;   in Loop: Header=BB6_144 Depth=3
	v_mov_b32_e32 v116, 0
	s_mov_b32 s36, exec_lo
	v_cmpx_ne_u32_e32 0, v2
	s_cbranch_execz .LBB6_596
; %bb.591:                              ;   in Loop: Header=BB6_144 Depth=3
	v_bfe_u32 v8, v2, 23, 8
	v_and_b32_e32 v13, 0x7fffff, v2
	s_delay_alu instid0(VALU_DEP_2) | instskip(SKIP_1) | instid1(VALU_DEP_3)
	v_sub_nc_u32_e32 v26, 0x70, v8
	v_cmp_gt_u32_e32 vcc_lo, 0x71, v8
	v_or_b32_e32 v27, 0x800000, v13
	s_delay_alu instid0(VALU_DEP_3) | instskip(SKIP_1) | instid1(VALU_DEP_3)
	v_cndmask_b32_e32 v26, 0, v26, vcc_lo
	v_cmp_eq_u32_e32 vcc_lo, 0, v8
	v_dual_cndmask_b32 v13, v27, v13 :: v_dual_add_nc_u32 v8, 0xffffff91, v8
	s_delay_alu instid0(VALU_DEP_3) | instskip(NEXT) | instid1(VALU_DEP_2)
	v_cndmask_b32_e64 v26, v26, 0x6f, vcc_lo
	v_cndmask_b32_e64 v8, v8, 0xffffff92, vcc_lo
	s_delay_alu instid0(VALU_DEP_2) | instskip(SKIP_2) | instid1(VALU_DEP_4)
	v_lshrrev_b32_e32 v36, v26, v13
	v_lshl_add_u32 v27, 0x200000, v26, -1
	v_lshlrev_b32_e64 v38, v26, 0x100000
	v_add_nc_u32_e32 v26, v26, v8
	s_delay_alu instid0(VALU_DEP_4) | instskip(NEXT) | instid1(VALU_DEP_4)
	v_bfe_u32 v37, v36, 21, 1
	v_and_b32_e32 v13, v27, v13
	s_delay_alu instid0(VALU_DEP_2) | instskip(NEXT) | instid1(VALU_DEP_2)
	v_add_nc_u32_e32 v27, -1, v37
	v_cmp_eq_u32_e64 s13, v13, v38
	s_delay_alu instid0(VALU_DEP_1) | instskip(SKIP_2) | instid1(VALU_DEP_2)
	v_cndmask_b32_e64 v13, 0, v27, s13
	v_lshrrev_b32_e32 v27, 23, v36
	s_mov_b32 s13, exec_lo
	v_add_nc_u32_e32 v13, v13, v36
	s_delay_alu instid0(VALU_DEP_2) | instskip(NEXT) | instid1(VALU_DEP_2)
	v_xor_b32_e32 v27, 1, v27
	v_and_b32_e32 v8, 0x1fffff, v13
	s_delay_alu instid0(VALU_DEP_1) | instskip(NEXT) | instid1(VALU_DEP_3)
	v_add_nc_u32_e32 v13, v8, v36
                                        ; implicit-def: $vgpr8
	v_cmpx_ne_u32_e64 v26, v27
	s_xor_b32 s13, exec_lo, s13
; %bb.592:                              ;   in Loop: Header=BB6_144 Depth=3
	s_delay_alu instid0(VALU_DEP_2) | instskip(SKIP_2) | instid1(VALU_DEP_2)
	v_cmp_lt_u32_e32 vcc_lo, 0xffffff, v13
	v_sub_nc_u32_e32 v8, v26, v27
	v_cndmask_b32_e64 v26, 0, 1, vcc_lo
	v_add_co_ci_u32_e32 v8, vcc_lo, 0, v8, vcc_lo
	s_delay_alu instid0(VALU_DEP_2)
	v_lshrrev_b32_e32 v13, v26, v13
; %bb.593:                              ;   in Loop: Header=BB6_144 Depth=3
	s_and_not1_saveexec_b32 s13, s13
; %bb.594:                              ;   in Loop: Header=BB6_144 Depth=3
	s_delay_alu instid0(VALU_DEP_1)
	v_bfe_u32 v8, v13, 23, 1
; %bb.595:                              ;   in Loop: Header=BB6_144 Depth=3
	s_or_b32 exec_lo, exec_lo, s13
	v_lshrrev_b32_e32 v13, 21, v13
	s_delay_alu instid0(VALU_DEP_2) | instskip(SKIP_3) | instid1(VALU_DEP_3)
	v_cmp_gt_i32_e32 vcc_lo, 32, v8
	v_min_i32_e32 v26, 31, v8
	v_lshrrev_b32_e32 v2, 24, v2
	v_mov_b32_e32 v51, v128
	v_dual_cndmask_b32 v13, 3, v13 :: v_dual_lshlrev_b32 v26, 2, v26
	s_delay_alu instid0(VALU_DEP_3) | instskip(NEXT) | instid1(VALU_DEP_2)
	v_and_b32_e32 v2, 0x80, v2
	v_or_b32_e32 v8, v8, v13
	s_delay_alu instid0(VALU_DEP_3) | instskip(NEXT) | instid1(VALU_DEP_2)
	v_and_b32_e32 v26, 0xfc, v26
	v_cmp_ne_u32_e32 vcc_lo, 0, v8
	v_and_b32_e32 v27, 3, v13
	s_delay_alu instid0(VALU_DEP_1) | instskip(NEXT) | instid1(VALU_DEP_1)
	v_or3_b32 v2, v26, v2, v27
	v_cndmask_b32_e32 v116, 0, v2, vcc_lo
.LBB6_596:                              ;   in Loop: Header=BB6_144 Depth=3
	s_or_b32 exec_lo, exec_lo, s36
.LBB6_597:                              ;   in Loop: Header=BB6_144 Depth=3
	s_delay_alu instid0(SALU_CYCLE_1) | instskip(SKIP_3) | instid1(VALU_DEP_1)
	s_or_b32 exec_lo, exec_lo, s35
	v_lshrrev_b16 v2, 8, v9
	s_mov_b32 s13, 0
	s_mov_b32 s36, exec_lo
                                        ; implicit-def: $sgpr35
	v_cmpx_lt_i16_e32 0x7f, v2
	s_xor_b32 s36, exec_lo, s36
	s_cbranch_execnz .LBB6_1835
; %bb.598:                              ;   in Loop: Header=BB6_144 Depth=3
	s_or_saveexec_b32 s36, s36
	v_mov_b32_e32 v8, s35
	s_xor_b32 exec_lo, exec_lo, s36
	s_cbranch_execnz .LBB6_1838
.LBB6_599:                              ;   in Loop: Header=BB6_144 Depth=3
	s_or_b32 exec_lo, exec_lo, s36
	s_and_saveexec_b32 s35, s13
	s_cbranch_execz .LBB6_601
.LBB6_600:                              ;   in Loop: Header=BB6_144 Depth=3
	v_and_b32_e32 v8, 0xffff, v2
	v_lshlrev_b32_e32 v2, 24, v2
	s_delay_alu instid0(VALU_DEP_2) | instskip(NEXT) | instid1(VALU_DEP_2)
	v_and_b32_e32 v13, 3, v8
	v_and_b32_e32 v2, 0x80000000, v2
	s_delay_alu instid0(VALU_DEP_2) | instskip(NEXT) | instid1(VALU_DEP_1)
	v_clz_i32_u32_e32 v26, v13
	v_min_u32_e32 v26, 32, v26
	s_delay_alu instid0(VALU_DEP_1) | instskip(SKIP_1) | instid1(VALU_DEP_2)
	v_subrev_nc_u32_e32 v27, 29, v26
	v_sub_nc_u32_e32 v26, 30, v26
	v_lshlrev_b32_e32 v27, v27, v8
	v_bfe_u32 v8, v8, 2, 5
	s_delay_alu instid0(VALU_DEP_2) | instskip(NEXT) | instid1(VALU_DEP_2)
	v_and_b32_e32 v27, 3, v27
	v_cmp_eq_u32_e32 vcc_lo, 0, v8
	s_delay_alu instid0(VALU_DEP_2) | instskip(NEXT) | instid1(VALU_DEP_1)
	v_dual_cndmask_b32 v8, v8, v26 :: v_dual_cndmask_b32 v13, v13, v27
	v_lshl_add_u32 v8, v8, 23, 0x37800000
	s_delay_alu instid0(VALU_DEP_2) | instskip(NEXT) | instid1(VALU_DEP_1)
	v_lshlrev_b32_e32 v13, 21, v13
	v_or3_b32 v8, v2, v8, v13
.LBB6_601:                              ;   in Loop: Header=BB6_144 Depth=3
	s_or_b32 exec_lo, exec_lo, s35
	s_delay_alu instid0(VALU_DEP_1) | instskip(SKIP_1) | instid1(VALU_DEP_1)
	v_dual_mul_f32 v2, s34, v8 :: v_dual_mov_b32 v117, 0x8000
	s_mov_b32 s35, exec_lo
	v_and_b32_e32 v8, 0x7f800000, v2
	s_delay_alu instid0(VALU_DEP_1)
	v_cmpx_ne_u32_e32 0x7f800000, v8
	s_cbranch_execz .LBB6_609
; %bb.602:                              ;   in Loop: Header=BB6_144 Depth=3
	v_mov_b32_e32 v117, 0
	s_mov_b32 s36, exec_lo
	v_cmpx_ne_u32_e32 0, v2
	s_cbranch_execz .LBB6_608
; %bb.603:                              ;   in Loop: Header=BB6_144 Depth=3
	v_bfe_u32 v8, v2, 23, 8
	v_and_b32_e32 v13, 0x7fffff, v2
	s_delay_alu instid0(VALU_DEP_2) | instskip(SKIP_1) | instid1(VALU_DEP_3)
	v_sub_nc_u32_e32 v26, 0x70, v8
	v_cmp_gt_u32_e32 vcc_lo, 0x71, v8
	v_or_b32_e32 v27, 0x800000, v13
	s_delay_alu instid0(VALU_DEP_3) | instskip(SKIP_1) | instid1(VALU_DEP_3)
	v_cndmask_b32_e32 v26, 0, v26, vcc_lo
	v_cmp_eq_u32_e32 vcc_lo, 0, v8
	v_dual_cndmask_b32 v13, v27, v13 :: v_dual_add_nc_u32 v8, 0xffffff91, v8
	s_delay_alu instid0(VALU_DEP_3) | instskip(NEXT) | instid1(VALU_DEP_2)
	v_cndmask_b32_e64 v26, v26, 0x6f, vcc_lo
	v_cndmask_b32_e64 v8, v8, 0xffffff92, vcc_lo
	s_delay_alu instid0(VALU_DEP_2) | instskip(SKIP_2) | instid1(VALU_DEP_4)
	v_lshrrev_b32_e32 v36, v26, v13
	v_lshl_add_u32 v27, 0x200000, v26, -1
	v_lshlrev_b32_e64 v38, v26, 0x100000
	v_add_nc_u32_e32 v26, v26, v8
	s_delay_alu instid0(VALU_DEP_4) | instskip(NEXT) | instid1(VALU_DEP_4)
	v_bfe_u32 v37, v36, 21, 1
	v_and_b32_e32 v13, v27, v13
	s_delay_alu instid0(VALU_DEP_2) | instskip(NEXT) | instid1(VALU_DEP_2)
	v_add_nc_u32_e32 v27, -1, v37
	v_cmp_eq_u32_e64 s13, v13, v38
	s_delay_alu instid0(VALU_DEP_1) | instskip(SKIP_2) | instid1(VALU_DEP_2)
	v_cndmask_b32_e64 v13, 0, v27, s13
	v_lshrrev_b32_e32 v27, 23, v36
	s_mov_b32 s13, exec_lo
	v_add_nc_u32_e32 v13, v13, v36
	s_delay_alu instid0(VALU_DEP_2) | instskip(NEXT) | instid1(VALU_DEP_2)
	v_xor_b32_e32 v27, 1, v27
	v_and_b32_e32 v8, 0x1fffff, v13
	s_delay_alu instid0(VALU_DEP_1) | instskip(NEXT) | instid1(VALU_DEP_3)
	v_add_nc_u32_e32 v13, v8, v36
                                        ; implicit-def: $vgpr8
	v_cmpx_ne_u32_e64 v26, v27
	s_xor_b32 s13, exec_lo, s13
; %bb.604:                              ;   in Loop: Header=BB6_144 Depth=3
	s_delay_alu instid0(VALU_DEP_2) | instskip(SKIP_2) | instid1(VALU_DEP_2)
	v_cmp_lt_u32_e32 vcc_lo, 0xffffff, v13
	v_sub_nc_u32_e32 v8, v26, v27
	v_cndmask_b32_e64 v26, 0, 1, vcc_lo
	v_add_co_ci_u32_e32 v8, vcc_lo, 0, v8, vcc_lo
	s_delay_alu instid0(VALU_DEP_2)
	v_lshrrev_b32_e32 v13, v26, v13
; %bb.605:                              ;   in Loop: Header=BB6_144 Depth=3
	s_and_not1_saveexec_b32 s13, s13
; %bb.606:                              ;   in Loop: Header=BB6_144 Depth=3
	s_delay_alu instid0(VALU_DEP_1)
	v_bfe_u32 v8, v13, 23, 1
; %bb.607:                              ;   in Loop: Header=BB6_144 Depth=3
	s_or_b32 exec_lo, exec_lo, s13
	v_lshrrev_b32_e32 v13, 21, v13
	s_delay_alu instid0(VALU_DEP_2) | instskip(SKIP_2) | instid1(VALU_DEP_3)
	v_min_i32_e32 v26, 31, v8
	v_cmp_gt_i32_e32 vcc_lo, 32, v8
	v_lshrrev_b32_e32 v2, 24, v2
	v_dual_mov_b32 v51, v128 :: v_dual_lshlrev_b32 v26, 2, v26
	s_delay_alu instid0(VALU_DEP_2) | instskip(NEXT) | instid1(VALU_DEP_2)
	v_dual_cndmask_b32 v13, 3, v13 :: v_dual_and_b32 v2, 0x80, v2
	v_and_b32_e32 v26, 0xfc, v26
	s_delay_alu instid0(VALU_DEP_2) | instskip(SKIP_1) | instid1(VALU_DEP_2)
	v_and_b32_e32 v27, 3, v13
	v_or_b32_e32 v8, v8, v13
	v_or3_b32 v2, v2, v26, v27
	s_delay_alu instid0(VALU_DEP_2) | instskip(NEXT) | instid1(VALU_DEP_2)
	v_cmp_ne_u32_e32 vcc_lo, 0, v8
	v_lshlrev_b32_e32 v2, 8, v2
	s_delay_alu instid0(VALU_DEP_1)
	v_cndmask_b32_e32 v117, 0, v2, vcc_lo
.LBB6_608:                              ;   in Loop: Header=BB6_144 Depth=3
	s_or_b32 exec_lo, exec_lo, s36
.LBB6_609:                              ;   in Loop: Header=BB6_144 Depth=3
	s_delay_alu instid0(SALU_CYCLE_1) | instskip(SKIP_3) | instid1(VALU_DEP_1)
	s_or_b32 exec_lo, exec_lo, s35
	v_lshrrev_b32_e32 v2, 16, v9
	s_mov_b32 s13, 0
	s_mov_b32 s36, exec_lo
                                        ; implicit-def: $sgpr35
	v_and_b32_e32 v13, 0xff, v2
	s_delay_alu instid0(VALU_DEP_1)
	v_cmpx_lt_i16_e32 0x7f, v13
	s_xor_b32 s36, exec_lo, s36
	s_cbranch_execnz .LBB6_1839
; %bb.610:                              ;   in Loop: Header=BB6_144 Depth=3
	s_or_saveexec_b32 s36, s36
	v_mov_b32_e32 v8, s35
	s_xor_b32 exec_lo, exec_lo, s36
	s_cbranch_execnz .LBB6_1842
.LBB6_611:                              ;   in Loop: Header=BB6_144 Depth=3
	s_or_b32 exec_lo, exec_lo, s36
	s_and_saveexec_b32 s35, s13
	s_cbranch_execz .LBB6_613
.LBB6_612:                              ;   in Loop: Header=BB6_144 Depth=3
	v_bfe_u32 v8, v9, 16, 2
	s_delay_alu instid0(VALU_DEP_1) | instskip(NEXT) | instid1(VALU_DEP_1)
	v_clz_i32_u32_e32 v13, v8
	v_min_u32_e32 v13, 32, v13
	s_delay_alu instid0(VALU_DEP_1) | instskip(SKIP_1) | instid1(VALU_DEP_2)
	v_subrev_nc_u32_e32 v26, 29, v13
	v_sub_nc_u32_e32 v13, 30, v13
	v_lshlrev_b32_e32 v2, v26, v2
	v_bfe_u32 v26, v9, 18, 5
	s_delay_alu instid0(VALU_DEP_1) | instskip(NEXT) | instid1(VALU_DEP_3)
	v_cmp_eq_u32_e32 vcc_lo, 0, v26
	v_dual_cndmask_b32 v13, v26, v13 :: v_dual_and_b32 v2, 3, v2
	s_delay_alu instid0(VALU_DEP_1) | instskip(NEXT) | instid1(VALU_DEP_2)
	v_dual_cndmask_b32 v2, v8, v2 :: v_dual_lshlrev_b32 v27, 8, v9
	v_lshl_add_u32 v13, v13, 23, 0x37800000
	s_delay_alu instid0(VALU_DEP_2) | instskip(NEXT) | instid1(VALU_DEP_3)
	v_and_b32_e32 v8, 0x80000000, v27
	v_lshlrev_b32_e32 v2, 21, v2
	s_delay_alu instid0(VALU_DEP_1)
	v_or3_b32 v8, v8, v13, v2
.LBB6_613:                              ;   in Loop: Header=BB6_144 Depth=3
	s_or_b32 exec_lo, exec_lo, s35
	s_delay_alu instid0(VALU_DEP_1) | instskip(SKIP_1) | instid1(VALU_DEP_1)
	v_dual_mul_f32 v2, s34, v8 :: v_dual_mov_b32 v13, 0x80
	s_mov_b32 s35, exec_lo
	v_and_b32_e32 v8, 0x7f800000, v2
	s_delay_alu instid0(VALU_DEP_1)
	v_cmpx_ne_u32_e32 0x7f800000, v8
	s_cbranch_execz .LBB6_621
; %bb.614:                              ;   in Loop: Header=BB6_144 Depth=3
	v_mov_b32_e32 v13, 0
	s_mov_b32 s36, exec_lo
	v_cmpx_ne_u32_e32 0, v2
	s_cbranch_execz .LBB6_620
; %bb.615:                              ;   in Loop: Header=BB6_144 Depth=3
	v_bfe_u32 v8, v2, 23, 8
	v_and_b32_e32 v13, 0x7fffff, v2
	s_delay_alu instid0(VALU_DEP_2) | instskip(SKIP_1) | instid1(VALU_DEP_3)
	v_sub_nc_u32_e32 v26, 0x70, v8
	v_cmp_gt_u32_e32 vcc_lo, 0x71, v8
	v_or_b32_e32 v27, 0x800000, v13
	s_delay_alu instid0(VALU_DEP_3) | instskip(SKIP_1) | instid1(VALU_DEP_3)
	v_cndmask_b32_e32 v26, 0, v26, vcc_lo
	v_cmp_eq_u32_e32 vcc_lo, 0, v8
	v_dual_cndmask_b32 v13, v27, v13 :: v_dual_add_nc_u32 v8, 0xffffff91, v8
	s_delay_alu instid0(VALU_DEP_3) | instskip(NEXT) | instid1(VALU_DEP_2)
	v_cndmask_b32_e64 v26, v26, 0x6f, vcc_lo
	v_cndmask_b32_e64 v8, v8, 0xffffff92, vcc_lo
	s_delay_alu instid0(VALU_DEP_2) | instskip(SKIP_2) | instid1(VALU_DEP_4)
	v_lshrrev_b32_e32 v36, v26, v13
	v_lshl_add_u32 v27, 0x200000, v26, -1
	v_lshlrev_b32_e64 v38, v26, 0x100000
	v_add_nc_u32_e32 v26, v26, v8
	s_delay_alu instid0(VALU_DEP_4) | instskip(NEXT) | instid1(VALU_DEP_4)
	v_bfe_u32 v37, v36, 21, 1
	v_and_b32_e32 v13, v27, v13
	s_delay_alu instid0(VALU_DEP_2) | instskip(NEXT) | instid1(VALU_DEP_2)
	v_add_nc_u32_e32 v27, -1, v37
	v_cmp_eq_u32_e64 s13, v13, v38
	s_delay_alu instid0(VALU_DEP_1) | instskip(SKIP_2) | instid1(VALU_DEP_2)
	v_cndmask_b32_e64 v13, 0, v27, s13
	v_lshrrev_b32_e32 v27, 23, v36
	s_mov_b32 s13, exec_lo
	v_add_nc_u32_e32 v13, v13, v36
	s_delay_alu instid0(VALU_DEP_2) | instskip(NEXT) | instid1(VALU_DEP_2)
	v_xor_b32_e32 v27, 1, v27
	v_and_b32_e32 v8, 0x1fffff, v13
	s_delay_alu instid0(VALU_DEP_1) | instskip(NEXT) | instid1(VALU_DEP_3)
	v_add_nc_u32_e32 v13, v8, v36
                                        ; implicit-def: $vgpr8
	v_cmpx_ne_u32_e64 v26, v27
	s_xor_b32 s13, exec_lo, s13
; %bb.616:                              ;   in Loop: Header=BB6_144 Depth=3
	s_delay_alu instid0(VALU_DEP_2) | instskip(SKIP_2) | instid1(VALU_DEP_2)
	v_cmp_lt_u32_e32 vcc_lo, 0xffffff, v13
	v_sub_nc_u32_e32 v8, v26, v27
	v_cndmask_b32_e64 v26, 0, 1, vcc_lo
	v_add_co_ci_u32_e32 v8, vcc_lo, 0, v8, vcc_lo
	s_delay_alu instid0(VALU_DEP_2)
	v_lshrrev_b32_e32 v13, v26, v13
; %bb.617:                              ;   in Loop: Header=BB6_144 Depth=3
	s_and_not1_saveexec_b32 s13, s13
; %bb.618:                              ;   in Loop: Header=BB6_144 Depth=3
	s_delay_alu instid0(VALU_DEP_1)
	v_bfe_u32 v8, v13, 23, 1
; %bb.619:                              ;   in Loop: Header=BB6_144 Depth=3
	s_or_b32 exec_lo, exec_lo, s13
	v_lshrrev_b32_e32 v13, 21, v13
	s_delay_alu instid0(VALU_DEP_2) | instskip(SKIP_2) | instid1(VALU_DEP_3)
	v_min_i32_e32 v26, 31, v8
	v_cmp_gt_i32_e32 vcc_lo, 32, v8
	v_lshrrev_b32_e32 v2, 24, v2
	v_dual_mov_b32 v51, v128 :: v_dual_lshlrev_b32 v26, 2, v26
	s_delay_alu instid0(VALU_DEP_2) | instskip(NEXT) | instid1(VALU_DEP_2)
	v_dual_cndmask_b32 v13, 3, v13 :: v_dual_and_b32 v2, 0x80, v2
	v_and_b32_e32 v26, 0xfc, v26
	s_delay_alu instid0(VALU_DEP_2) | instskip(SKIP_1) | instid1(VALU_DEP_2)
	v_and_b32_e32 v27, 3, v13
	v_or_b32_e32 v8, v8, v13
	v_or3_b32 v2, v26, v2, v27
	s_delay_alu instid0(VALU_DEP_2) | instskip(NEXT) | instid1(VALU_DEP_2)
	v_cmp_ne_u32_e32 vcc_lo, 0, v8
	v_cndmask_b32_e32 v13, 0, v2, vcc_lo
.LBB6_620:                              ;   in Loop: Header=BB6_144 Depth=3
	s_or_b32 exec_lo, exec_lo, s36
.LBB6_621:                              ;   in Loop: Header=BB6_144 Depth=3
	s_delay_alu instid0(SALU_CYCLE_1) | instskip(SKIP_3) | instid1(VALU_DEP_1)
	s_or_b32 exec_lo, exec_lo, s35
	v_lshrrev_b32_e32 v2, 24, v9
	s_mov_b32 s13, 0
	s_mov_b32 s36, exec_lo
                                        ; implicit-def: $sgpr35
	v_cmpx_lt_i16_e32 0x7f, v2
	s_xor_b32 s36, exec_lo, s36
	s_cbranch_execnz .LBB6_1843
; %bb.622:                              ;   in Loop: Header=BB6_144 Depth=3
	s_or_saveexec_b32 s36, s36
	v_mov_b32_e32 v8, s35
	s_xor_b32 exec_lo, exec_lo, s36
	s_cbranch_execnz .LBB6_1846
.LBB6_623:                              ;   in Loop: Header=BB6_144 Depth=3
	s_or_b32 exec_lo, exec_lo, s36
	s_and_saveexec_b32 s35, s13
	s_cbranch_execz .LBB6_625
.LBB6_624:                              ;   in Loop: Header=BB6_144 Depth=3
	v_bfe_u32 v8, v9, 24, 2
	s_delay_alu instid0(VALU_DEP_1) | instskip(NEXT) | instid1(VALU_DEP_1)
	v_clz_i32_u32_e32 v26, v8
	v_min_u32_e32 v26, 32, v26
	s_delay_alu instid0(VALU_DEP_1) | instskip(SKIP_1) | instid1(VALU_DEP_2)
	v_subrev_nc_u32_e32 v27, 29, v26
	v_sub_nc_u32_e32 v26, 30, v26
	v_lshlrev_b32_e32 v2, v27, v2
	v_bfe_u32 v27, v9, 26, 5
	s_delay_alu instid0(VALU_DEP_2) | instskip(NEXT) | instid1(VALU_DEP_2)
	v_and_b32_e32 v2, 3, v2
	v_cmp_eq_u32_e32 vcc_lo, 0, v27
	v_cndmask_b32_e32 v26, v27, v26, vcc_lo
	s_delay_alu instid0(VALU_DEP_3) | instskip(SKIP_1) | instid1(VALU_DEP_3)
	v_cndmask_b32_e32 v2, v8, v2, vcc_lo
	v_and_b32_e32 v8, 0x80000000, v9
	v_lshl_add_u32 v9, v26, 23, 0x37800000
	s_delay_alu instid0(VALU_DEP_3) | instskip(NEXT) | instid1(VALU_DEP_1)
	v_lshlrev_b32_e32 v2, 21, v2
	v_or3_b32 v8, v8, v9, v2
.LBB6_625:                              ;   in Loop: Header=BB6_144 Depth=3
	s_or_b32 exec_lo, exec_lo, s35
	s_delay_alu instid0(VALU_DEP_1) | instskip(SKIP_1) | instid1(VALU_DEP_1)
	v_dual_mul_f32 v2, s34, v8 :: v_dual_mov_b32 v113, 0x8000
	s_mov_b32 s35, exec_lo
	v_and_b32_e32 v8, 0x7f800000, v2
	s_delay_alu instid0(VALU_DEP_1)
	v_cmpx_ne_u32_e32 0x7f800000, v8
	s_cbranch_execz .LBB6_633
; %bb.626:                              ;   in Loop: Header=BB6_144 Depth=3
	v_mov_b32_e32 v113, 0
	s_mov_b32 s36, exec_lo
	v_cmpx_ne_u32_e32 0, v2
	s_cbranch_execz .LBB6_632
; %bb.627:                              ;   in Loop: Header=BB6_144 Depth=3
	v_bfe_u32 v8, v2, 23, 8
	v_and_b32_e32 v9, 0x7fffff, v2
	s_delay_alu instid0(VALU_DEP_2) | instskip(SKIP_1) | instid1(VALU_DEP_3)
	v_sub_nc_u32_e32 v26, 0x70, v8
	v_cmp_gt_u32_e32 vcc_lo, 0x71, v8
	v_or_b32_e32 v27, 0x800000, v9
	s_delay_alu instid0(VALU_DEP_3) | instskip(SKIP_1) | instid1(VALU_DEP_3)
	v_cndmask_b32_e32 v26, 0, v26, vcc_lo
	v_cmp_eq_u32_e32 vcc_lo, 0, v8
	v_dual_cndmask_b32 v9, v27, v9 :: v_dual_add_nc_u32 v8, 0xffffff91, v8
	s_delay_alu instid0(VALU_DEP_3) | instskip(NEXT) | instid1(VALU_DEP_2)
	v_cndmask_b32_e64 v26, v26, 0x6f, vcc_lo
	v_cndmask_b32_e64 v8, v8, 0xffffff92, vcc_lo
	s_delay_alu instid0(VALU_DEP_2) | instskip(SKIP_2) | instid1(VALU_DEP_4)
	v_lshrrev_b32_e32 v36, v26, v9
	v_lshl_add_u32 v27, 0x200000, v26, -1
	v_lshlrev_b32_e64 v38, v26, 0x100000
	v_add_nc_u32_e32 v26, v26, v8
	s_delay_alu instid0(VALU_DEP_4) | instskip(NEXT) | instid1(VALU_DEP_4)
	v_bfe_u32 v37, v36, 21, 1
	v_and_b32_e32 v9, v27, v9
	s_delay_alu instid0(VALU_DEP_2) | instskip(NEXT) | instid1(VALU_DEP_2)
	v_add_nc_u32_e32 v27, -1, v37
	v_cmp_eq_u32_e64 s13, v9, v38
	s_delay_alu instid0(VALU_DEP_1) | instskip(SKIP_2) | instid1(VALU_DEP_2)
	v_cndmask_b32_e64 v9, 0, v27, s13
	v_lshrrev_b32_e32 v27, 23, v36
	s_mov_b32 s13, exec_lo
	v_add_nc_u32_e32 v9, v9, v36
	s_delay_alu instid0(VALU_DEP_2) | instskip(NEXT) | instid1(VALU_DEP_2)
	v_xor_b32_e32 v27, 1, v27
	v_and_b32_e32 v8, 0x1fffff, v9
	s_delay_alu instid0(VALU_DEP_1) | instskip(NEXT) | instid1(VALU_DEP_3)
	v_add_nc_u32_e32 v9, v8, v36
                                        ; implicit-def: $vgpr8
	v_cmpx_ne_u32_e64 v26, v27
	s_xor_b32 s13, exec_lo, s13
; %bb.628:                              ;   in Loop: Header=BB6_144 Depth=3
	s_delay_alu instid0(VALU_DEP_2) | instskip(SKIP_2) | instid1(VALU_DEP_2)
	v_cmp_lt_u32_e32 vcc_lo, 0xffffff, v9
	v_sub_nc_u32_e32 v8, v26, v27
	v_cndmask_b32_e64 v26, 0, 1, vcc_lo
	v_add_co_ci_u32_e32 v8, vcc_lo, 0, v8, vcc_lo
	s_delay_alu instid0(VALU_DEP_2)
	v_lshrrev_b32_e32 v9, v26, v9
; %bb.629:                              ;   in Loop: Header=BB6_144 Depth=3
	s_and_not1_saveexec_b32 s13, s13
; %bb.630:                              ;   in Loop: Header=BB6_144 Depth=3
	s_delay_alu instid0(VALU_DEP_1)
	v_bfe_u32 v8, v9, 23, 1
; %bb.631:                              ;   in Loop: Header=BB6_144 Depth=3
	s_or_b32 exec_lo, exec_lo, s13
	v_lshrrev_b32_e32 v9, 21, v9
	s_delay_alu instid0(VALU_DEP_2) | instskip(SKIP_2) | instid1(VALU_DEP_3)
	v_min_i32_e32 v26, 31, v8
	v_cmp_gt_i32_e32 vcc_lo, 32, v8
	v_lshrrev_b32_e32 v2, 24, v2
	v_dual_mov_b32 v51, v128 :: v_dual_lshlrev_b32 v26, 2, v26
	s_delay_alu instid0(VALU_DEP_2) | instskip(NEXT) | instid1(VALU_DEP_2)
	v_dual_cndmask_b32 v9, 3, v9 :: v_dual_and_b32 v2, 0x80, v2
	v_and_b32_e32 v26, 0xfc, v26
	s_delay_alu instid0(VALU_DEP_2) | instskip(SKIP_1) | instid1(VALU_DEP_2)
	v_and_b32_e32 v27, 3, v9
	v_or_b32_e32 v8, v8, v9
	v_or3_b32 v2, v2, v26, v27
	s_delay_alu instid0(VALU_DEP_2) | instskip(NEXT) | instid1(VALU_DEP_2)
	v_cmp_ne_u32_e32 vcc_lo, 0, v8
	v_lshlrev_b32_e32 v2, 8, v2
	s_delay_alu instid0(VALU_DEP_1)
	v_cndmask_b32_e32 v113, 0, v2, vcc_lo
.LBB6_632:                              ;   in Loop: Header=BB6_144 Depth=3
	s_or_b32 exec_lo, exec_lo, s36
.LBB6_633:                              ;   in Loop: Header=BB6_144 Depth=3
	s_delay_alu instid0(SALU_CYCLE_1) | instskip(SKIP_3) | instid1(VALU_DEP_1)
	s_or_b32 exec_lo, exec_lo, s35
	v_and_b32_e32 v8, 0xff, v10
	s_mov_b32 s13, 0
	s_mov_b32 s36, exec_lo
                                        ; implicit-def: $sgpr35
	v_cmpx_lt_i16_e32 0x7f, v8
	s_xor_b32 s36, exec_lo, s36
	s_cbranch_execnz .LBB6_1847
; %bb.634:                              ;   in Loop: Header=BB6_144 Depth=3
	s_or_saveexec_b32 s36, s36
	v_mov_b32_e32 v2, s35
	s_xor_b32 exec_lo, exec_lo, s36
	s_cbranch_execnz .LBB6_1850
.LBB6_635:                              ;   in Loop: Header=BB6_144 Depth=3
	s_or_b32 exec_lo, exec_lo, s36
	s_and_saveexec_b32 s35, s13
	s_cbranch_execz .LBB6_637
.LBB6_636:                              ;   in Loop: Header=BB6_144 Depth=3
	v_and_b32_e32 v2, 3, v10
	v_bfe_u32 v26, v10, 2, 5
	s_delay_alu instid0(VALU_DEP_2) | instskip(NEXT) | instid1(VALU_DEP_2)
	v_clz_i32_u32_e32 v8, v2
	v_cmp_eq_u32_e32 vcc_lo, 0, v26
	s_delay_alu instid0(VALU_DEP_2) | instskip(NEXT) | instid1(VALU_DEP_1)
	v_min_u32_e32 v8, 32, v8
	v_subrev_nc_u32_e32 v9, 29, v8
	v_sub_nc_u32_e32 v8, 30, v8
	s_delay_alu instid0(VALU_DEP_1) | instskip(NEXT) | instid1(VALU_DEP_1)
	v_dual_cndmask_b32 v8, v26, v8 :: v_dual_lshlrev_b32 v9, v9, v10
	v_and_b32_e32 v9, 3, v9
	v_lshlrev_b32_e32 v27, 24, v10
	s_delay_alu instid0(VALU_DEP_3) | instskip(NEXT) | instid1(VALU_DEP_2)
	v_lshl_add_u32 v8, v8, 23, 0x37800000
	v_dual_cndmask_b32 v2, v2, v9 :: v_dual_and_b32 v9, 0x80000000, v27
	s_delay_alu instid0(VALU_DEP_1) | instskip(NEXT) | instid1(VALU_DEP_1)
	v_lshlrev_b32_e32 v2, 21, v2
	v_or3_b32 v2, v9, v8, v2
.LBB6_637:                              ;   in Loop: Header=BB6_144 Depth=3
	s_or_b32 exec_lo, exec_lo, s35
	s_delay_alu instid0(VALU_DEP_1) | instskip(SKIP_2) | instid1(VALU_DEP_2)
	v_mul_f32_e32 v2, s34, v2
	v_mov_b32_e32 v112, 0x80
	s_mov_b32 s35, exec_lo
	v_and_b32_e32 v8, 0x7f800000, v2
	s_delay_alu instid0(VALU_DEP_1)
	v_cmpx_ne_u32_e32 0x7f800000, v8
	s_cbranch_execz .LBB6_645
; %bb.638:                              ;   in Loop: Header=BB6_144 Depth=3
	v_mov_b32_e32 v112, 0
	s_mov_b32 s36, exec_lo
	v_cmpx_ne_u32_e32 0, v2
	s_cbranch_execz .LBB6_644
; %bb.639:                              ;   in Loop: Header=BB6_144 Depth=3
	v_bfe_u32 v8, v2, 23, 8
	v_and_b32_e32 v9, 0x7fffff, v2
	s_delay_alu instid0(VALU_DEP_2) | instskip(SKIP_1) | instid1(VALU_DEP_3)
	v_sub_nc_u32_e32 v26, 0x70, v8
	v_cmp_gt_u32_e32 vcc_lo, 0x71, v8
	v_or_b32_e32 v27, 0x800000, v9
	s_delay_alu instid0(VALU_DEP_3) | instskip(SKIP_1) | instid1(VALU_DEP_3)
	v_cndmask_b32_e32 v26, 0, v26, vcc_lo
	v_cmp_eq_u32_e32 vcc_lo, 0, v8
	v_dual_cndmask_b32 v9, v27, v9 :: v_dual_add_nc_u32 v8, 0xffffff91, v8
	s_delay_alu instid0(VALU_DEP_3) | instskip(NEXT) | instid1(VALU_DEP_2)
	v_cndmask_b32_e64 v26, v26, 0x6f, vcc_lo
	v_cndmask_b32_e64 v8, v8, 0xffffff92, vcc_lo
	s_delay_alu instid0(VALU_DEP_2) | instskip(SKIP_2) | instid1(VALU_DEP_4)
	v_lshrrev_b32_e32 v36, v26, v9
	v_lshl_add_u32 v27, 0x200000, v26, -1
	v_lshlrev_b32_e64 v38, v26, 0x100000
	v_add_nc_u32_e32 v26, v26, v8
	s_delay_alu instid0(VALU_DEP_4) | instskip(NEXT) | instid1(VALU_DEP_4)
	v_bfe_u32 v37, v36, 21, 1
	v_and_b32_e32 v9, v27, v9
	s_delay_alu instid0(VALU_DEP_2) | instskip(NEXT) | instid1(VALU_DEP_2)
	v_add_nc_u32_e32 v27, -1, v37
	v_cmp_eq_u32_e64 s13, v9, v38
	s_delay_alu instid0(VALU_DEP_1) | instskip(SKIP_2) | instid1(VALU_DEP_2)
	v_cndmask_b32_e64 v9, 0, v27, s13
	v_lshrrev_b32_e32 v27, 23, v36
	s_mov_b32 s13, exec_lo
	v_add_nc_u32_e32 v9, v9, v36
	s_delay_alu instid0(VALU_DEP_2) | instskip(NEXT) | instid1(VALU_DEP_2)
	v_xor_b32_e32 v27, 1, v27
	v_and_b32_e32 v8, 0x1fffff, v9
	s_delay_alu instid0(VALU_DEP_1) | instskip(NEXT) | instid1(VALU_DEP_3)
	v_add_nc_u32_e32 v9, v8, v36
                                        ; implicit-def: $vgpr8
	v_cmpx_ne_u32_e64 v26, v27
	s_xor_b32 s13, exec_lo, s13
; %bb.640:                              ;   in Loop: Header=BB6_144 Depth=3
	s_delay_alu instid0(VALU_DEP_2) | instskip(SKIP_2) | instid1(VALU_DEP_2)
	v_cmp_lt_u32_e32 vcc_lo, 0xffffff, v9
	v_sub_nc_u32_e32 v8, v26, v27
	v_cndmask_b32_e64 v26, 0, 1, vcc_lo
	v_add_co_ci_u32_e32 v8, vcc_lo, 0, v8, vcc_lo
	s_delay_alu instid0(VALU_DEP_2)
	v_lshrrev_b32_e32 v9, v26, v9
; %bb.641:                              ;   in Loop: Header=BB6_144 Depth=3
	s_and_not1_saveexec_b32 s13, s13
; %bb.642:                              ;   in Loop: Header=BB6_144 Depth=3
	s_delay_alu instid0(VALU_DEP_1)
	v_bfe_u32 v8, v9, 23, 1
; %bb.643:                              ;   in Loop: Header=BB6_144 Depth=3
	s_or_b32 exec_lo, exec_lo, s13
	v_lshrrev_b32_e32 v9, 21, v9
	s_delay_alu instid0(VALU_DEP_2) | instskip(SKIP_3) | instid1(VALU_DEP_3)
	v_cmp_gt_i32_e32 vcc_lo, 32, v8
	v_lshrrev_b32_e32 v2, 24, v2
	v_min_i32_e32 v26, 31, v8
	v_mov_b32_e32 v51, v128
	v_dual_cndmask_b32 v9, 3, v9 :: v_dual_and_b32 v2, 0x80, v2
	s_delay_alu instid0(VALU_DEP_3) | instskip(NEXT) | instid1(VALU_DEP_2)
	v_lshlrev_b32_e32 v26, 2, v26
	v_or_b32_e32 v8, v8, v9
	s_delay_alu instid0(VALU_DEP_1) | instskip(SKIP_1) | instid1(VALU_DEP_1)
	v_cmp_ne_u32_e32 vcc_lo, 0, v8
	v_and_b32_e32 v27, 3, v9
	v_or3_b32 v2, v26, v2, v27
	s_delay_alu instid0(VALU_DEP_1)
	v_cndmask_b32_e32 v112, 0, v2, vcc_lo
.LBB6_644:                              ;   in Loop: Header=BB6_144 Depth=3
	s_or_b32 exec_lo, exec_lo, s36
.LBB6_645:                              ;   in Loop: Header=BB6_144 Depth=3
	s_delay_alu instid0(SALU_CYCLE_1) | instskip(SKIP_3) | instid1(VALU_DEP_1)
	s_or_b32 exec_lo, exec_lo, s35
	v_lshrrev_b16 v2, 8, v10
	s_mov_b32 s13, 0
	s_mov_b32 s36, exec_lo
                                        ; implicit-def: $sgpr35
	v_cmpx_lt_i16_e32 0x7f, v2
	s_xor_b32 s36, exec_lo, s36
	s_cbranch_execnz .LBB6_1851
; %bb.646:                              ;   in Loop: Header=BB6_144 Depth=3
	s_or_saveexec_b32 s36, s36
	v_mov_b32_e32 v8, s35
	s_xor_b32 exec_lo, exec_lo, s36
	s_cbranch_execnz .LBB6_1854
.LBB6_647:                              ;   in Loop: Header=BB6_144 Depth=3
	s_or_b32 exec_lo, exec_lo, s36
	s_and_saveexec_b32 s35, s13
	s_cbranch_execz .LBB6_649
.LBB6_648:                              ;   in Loop: Header=BB6_144 Depth=3
	v_and_b32_e32 v8, 0xffff, v2
	v_lshlrev_b32_e32 v2, 24, v2
	s_delay_alu instid0(VALU_DEP_2) | instskip(NEXT) | instid1(VALU_DEP_2)
	v_and_b32_e32 v9, 3, v8
	v_and_b32_e32 v2, 0x80000000, v2
	s_delay_alu instid0(VALU_DEP_2) | instskip(NEXT) | instid1(VALU_DEP_1)
	v_clz_i32_u32_e32 v26, v9
	v_min_u32_e32 v26, 32, v26
	s_delay_alu instid0(VALU_DEP_1) | instskip(SKIP_1) | instid1(VALU_DEP_2)
	v_subrev_nc_u32_e32 v27, 29, v26
	v_sub_nc_u32_e32 v26, 30, v26
	v_lshlrev_b32_e32 v27, v27, v8
	v_bfe_u32 v8, v8, 2, 5
	s_delay_alu instid0(VALU_DEP_2) | instskip(NEXT) | instid1(VALU_DEP_2)
	v_and_b32_e32 v27, 3, v27
	v_cmp_eq_u32_e32 vcc_lo, 0, v8
	s_delay_alu instid0(VALU_DEP_2) | instskip(NEXT) | instid1(VALU_DEP_1)
	v_dual_cndmask_b32 v8, v8, v26 :: v_dual_cndmask_b32 v9, v9, v27
	v_lshl_add_u32 v8, v8, 23, 0x37800000
	s_delay_alu instid0(VALU_DEP_2) | instskip(NEXT) | instid1(VALU_DEP_1)
	v_lshlrev_b32_e32 v9, 21, v9
	v_or3_b32 v8, v2, v8, v9
.LBB6_649:                              ;   in Loop: Header=BB6_144 Depth=3
	s_or_b32 exec_lo, exec_lo, s35
	s_delay_alu instid0(VALU_DEP_1) | instskip(SKIP_1) | instid1(VALU_DEP_1)
	v_dual_mul_f32 v2, s34, v8 :: v_dual_mov_b32 v145, 0x80
	s_mov_b32 s35, exec_lo
	v_and_b32_e32 v8, 0x7f800000, v2
	s_delay_alu instid0(VALU_DEP_1)
	v_cmpx_ne_u32_e32 0x7f800000, v8
	s_cbranch_execz .LBB6_657
; %bb.650:                              ;   in Loop: Header=BB6_144 Depth=3
	v_mov_b32_e32 v145, 0
	s_mov_b32 s36, exec_lo
	v_cmpx_ne_u32_e32 0, v2
	s_cbranch_execz .LBB6_656
; %bb.651:                              ;   in Loop: Header=BB6_144 Depth=3
	v_bfe_u32 v8, v2, 23, 8
	v_and_b32_e32 v9, 0x7fffff, v2
	s_delay_alu instid0(VALU_DEP_2) | instskip(SKIP_1) | instid1(VALU_DEP_3)
	v_sub_nc_u32_e32 v26, 0x70, v8
	v_cmp_gt_u32_e32 vcc_lo, 0x71, v8
	v_or_b32_e32 v27, 0x800000, v9
	s_delay_alu instid0(VALU_DEP_3) | instskip(SKIP_1) | instid1(VALU_DEP_3)
	v_cndmask_b32_e32 v26, 0, v26, vcc_lo
	v_cmp_eq_u32_e32 vcc_lo, 0, v8
	v_dual_cndmask_b32 v9, v27, v9 :: v_dual_add_nc_u32 v8, 0xffffff91, v8
	s_delay_alu instid0(VALU_DEP_3) | instskip(NEXT) | instid1(VALU_DEP_2)
	v_cndmask_b32_e64 v26, v26, 0x6f, vcc_lo
	v_cndmask_b32_e64 v8, v8, 0xffffff92, vcc_lo
	s_delay_alu instid0(VALU_DEP_2) | instskip(SKIP_2) | instid1(VALU_DEP_4)
	v_lshrrev_b32_e32 v36, v26, v9
	v_lshl_add_u32 v27, 0x200000, v26, -1
	v_lshlrev_b32_e64 v38, v26, 0x100000
	v_add_nc_u32_e32 v26, v26, v8
	s_delay_alu instid0(VALU_DEP_4) | instskip(NEXT) | instid1(VALU_DEP_4)
	v_bfe_u32 v37, v36, 21, 1
	v_and_b32_e32 v9, v27, v9
	s_delay_alu instid0(VALU_DEP_2) | instskip(NEXT) | instid1(VALU_DEP_2)
	v_add_nc_u32_e32 v27, -1, v37
	v_cmp_eq_u32_e64 s13, v9, v38
	s_delay_alu instid0(VALU_DEP_1) | instskip(SKIP_2) | instid1(VALU_DEP_2)
	v_cndmask_b32_e64 v9, 0, v27, s13
	v_lshrrev_b32_e32 v27, 23, v36
	s_mov_b32 s13, exec_lo
	v_add_nc_u32_e32 v9, v9, v36
	s_delay_alu instid0(VALU_DEP_2) | instskip(NEXT) | instid1(VALU_DEP_2)
	v_xor_b32_e32 v27, 1, v27
	v_and_b32_e32 v8, 0x1fffff, v9
	s_delay_alu instid0(VALU_DEP_1) | instskip(NEXT) | instid1(VALU_DEP_3)
	v_add_nc_u32_e32 v9, v8, v36
                                        ; implicit-def: $vgpr8
	v_cmpx_ne_u32_e64 v26, v27
	s_xor_b32 s13, exec_lo, s13
; %bb.652:                              ;   in Loop: Header=BB6_144 Depth=3
	s_delay_alu instid0(VALU_DEP_2) | instskip(SKIP_2) | instid1(VALU_DEP_2)
	v_cmp_lt_u32_e32 vcc_lo, 0xffffff, v9
	v_sub_nc_u32_e32 v8, v26, v27
	v_cndmask_b32_e64 v26, 0, 1, vcc_lo
	v_add_co_ci_u32_e32 v8, vcc_lo, 0, v8, vcc_lo
	s_delay_alu instid0(VALU_DEP_2)
	v_lshrrev_b32_e32 v9, v26, v9
; %bb.653:                              ;   in Loop: Header=BB6_144 Depth=3
	s_and_not1_saveexec_b32 s13, s13
; %bb.654:                              ;   in Loop: Header=BB6_144 Depth=3
	s_delay_alu instid0(VALU_DEP_1)
	v_bfe_u32 v8, v9, 23, 1
; %bb.655:                              ;   in Loop: Header=BB6_144 Depth=3
	s_or_b32 exec_lo, exec_lo, s13
	v_lshrrev_b32_e32 v9, 21, v9
	s_delay_alu instid0(VALU_DEP_2) | instskip(SKIP_3) | instid1(VALU_DEP_3)
	v_cmp_gt_i32_e32 vcc_lo, 32, v8
	v_lshrrev_b32_e32 v2, 24, v2
	v_min_i32_e32 v26, 31, v8
	v_mov_b32_e32 v51, v128
	v_dual_cndmask_b32 v9, 3, v9 :: v_dual_and_b32 v2, 0x80, v2
	s_delay_alu instid0(VALU_DEP_3) | instskip(NEXT) | instid1(VALU_DEP_2)
	v_lshlrev_b32_e32 v26, 2, v26
	v_and_b32_e32 v27, 3, v9
	v_or_b32_e32 v8, v8, v9
	s_delay_alu instid0(VALU_DEP_2) | instskip(NEXT) | instid1(VALU_DEP_2)
	v_or3_b32 v2, v26, v2, v27
	v_cmp_ne_u32_e32 vcc_lo, 0, v8
	s_delay_alu instid0(VALU_DEP_2)
	v_cndmask_b32_e32 v145, 0, v2, vcc_lo
.LBB6_656:                              ;   in Loop: Header=BB6_144 Depth=3
	s_or_b32 exec_lo, exec_lo, s36
.LBB6_657:                              ;   in Loop: Header=BB6_144 Depth=3
	s_delay_alu instid0(SALU_CYCLE_1) | instskip(SKIP_3) | instid1(VALU_DEP_1)
	s_or_b32 exec_lo, exec_lo, s35
	v_lshrrev_b32_e32 v2, 16, v10
	s_mov_b32 s13, 0
	s_mov_b32 s36, exec_lo
                                        ; implicit-def: $sgpr35
	v_and_b32_e32 v9, 0xff, v2
	s_delay_alu instid0(VALU_DEP_1)
	v_cmpx_lt_i16_e32 0x7f, v9
	s_xor_b32 s36, exec_lo, s36
	s_cbranch_execnz .LBB6_1855
; %bb.658:                              ;   in Loop: Header=BB6_144 Depth=3
	s_or_saveexec_b32 s36, s36
	v_mov_b32_e32 v8, s35
	s_xor_b32 exec_lo, exec_lo, s36
	s_cbranch_execnz .LBB6_1858
.LBB6_659:                              ;   in Loop: Header=BB6_144 Depth=3
	s_or_b32 exec_lo, exec_lo, s36
	s_and_saveexec_b32 s35, s13
	s_cbranch_execz .LBB6_661
.LBB6_660:                              ;   in Loop: Header=BB6_144 Depth=3
	v_bfe_u32 v8, v10, 16, 2
	v_lshlrev_b32_e32 v27, 8, v10
	s_delay_alu instid0(VALU_DEP_2) | instskip(NEXT) | instid1(VALU_DEP_1)
	v_clz_i32_u32_e32 v9, v8
	v_min_u32_e32 v9, 32, v9
	s_delay_alu instid0(VALU_DEP_1) | instskip(SKIP_1) | instid1(VALU_DEP_2)
	v_subrev_nc_u32_e32 v26, 29, v9
	v_sub_nc_u32_e32 v9, 30, v9
	v_lshlrev_b32_e32 v2, v26, v2
	v_bfe_u32 v26, v10, 18, 5
	s_delay_alu instid0(VALU_DEP_1) | instskip(NEXT) | instid1(VALU_DEP_3)
	v_cmp_eq_u32_e32 vcc_lo, 0, v26
	v_dual_cndmask_b32 v9, v26, v9 :: v_dual_and_b32 v2, 3, v2
	s_delay_alu instid0(VALU_DEP_1) | instskip(SKIP_1) | instid1(VALU_DEP_3)
	v_cndmask_b32_e32 v2, v8, v2, vcc_lo
	v_and_b32_e32 v8, 0x80000000, v27
	v_lshl_add_u32 v9, v9, 23, 0x37800000
	s_delay_alu instid0(VALU_DEP_3) | instskip(NEXT) | instid1(VALU_DEP_1)
	v_lshlrev_b32_e32 v2, 21, v2
	v_or3_b32 v8, v8, v9, v2
.LBB6_661:                              ;   in Loop: Header=BB6_144 Depth=3
	s_or_b32 exec_lo, exec_lo, s35
	s_delay_alu instid0(VALU_DEP_1) | instskip(SKIP_2) | instid1(VALU_DEP_2)
	v_mul_f32_e32 v2, s34, v8
	v_mov_b32_e32 v146, 0x80
	s_mov_b32 s35, exec_lo
	v_and_b32_e32 v8, 0x7f800000, v2
	s_delay_alu instid0(VALU_DEP_1)
	v_cmpx_ne_u32_e32 0x7f800000, v8
	s_cbranch_execz .LBB6_669
; %bb.662:                              ;   in Loop: Header=BB6_144 Depth=3
	v_mov_b32_e32 v146, 0
	s_mov_b32 s36, exec_lo
	v_cmpx_ne_u32_e32 0, v2
	s_cbranch_execz .LBB6_668
; %bb.663:                              ;   in Loop: Header=BB6_144 Depth=3
	v_bfe_u32 v8, v2, 23, 8
	v_and_b32_e32 v9, 0x7fffff, v2
	s_delay_alu instid0(VALU_DEP_2) | instskip(SKIP_1) | instid1(VALU_DEP_3)
	v_sub_nc_u32_e32 v26, 0x70, v8
	v_cmp_gt_u32_e32 vcc_lo, 0x71, v8
	v_or_b32_e32 v27, 0x800000, v9
	s_delay_alu instid0(VALU_DEP_3) | instskip(SKIP_1) | instid1(VALU_DEP_3)
	v_cndmask_b32_e32 v26, 0, v26, vcc_lo
	v_cmp_eq_u32_e32 vcc_lo, 0, v8
	v_dual_cndmask_b32 v9, v27, v9 :: v_dual_add_nc_u32 v8, 0xffffff91, v8
	s_delay_alu instid0(VALU_DEP_3) | instskip(NEXT) | instid1(VALU_DEP_2)
	v_cndmask_b32_e64 v26, v26, 0x6f, vcc_lo
	v_cndmask_b32_e64 v8, v8, 0xffffff92, vcc_lo
	s_delay_alu instid0(VALU_DEP_2) | instskip(SKIP_2) | instid1(VALU_DEP_4)
	v_lshrrev_b32_e32 v36, v26, v9
	v_lshl_add_u32 v27, 0x200000, v26, -1
	v_lshlrev_b32_e64 v38, v26, 0x100000
	v_add_nc_u32_e32 v26, v26, v8
	s_delay_alu instid0(VALU_DEP_4) | instskip(NEXT) | instid1(VALU_DEP_4)
	v_bfe_u32 v37, v36, 21, 1
	v_and_b32_e32 v9, v27, v9
	s_delay_alu instid0(VALU_DEP_2) | instskip(NEXT) | instid1(VALU_DEP_2)
	v_add_nc_u32_e32 v27, -1, v37
	v_cmp_eq_u32_e64 s13, v9, v38
	s_delay_alu instid0(VALU_DEP_1) | instskip(SKIP_2) | instid1(VALU_DEP_2)
	v_cndmask_b32_e64 v9, 0, v27, s13
	v_lshrrev_b32_e32 v27, 23, v36
	s_mov_b32 s13, exec_lo
	v_add_nc_u32_e32 v9, v9, v36
	s_delay_alu instid0(VALU_DEP_2) | instskip(NEXT) | instid1(VALU_DEP_2)
	v_xor_b32_e32 v27, 1, v27
	v_and_b32_e32 v8, 0x1fffff, v9
	s_delay_alu instid0(VALU_DEP_1) | instskip(NEXT) | instid1(VALU_DEP_3)
	v_add_nc_u32_e32 v9, v8, v36
                                        ; implicit-def: $vgpr8
	v_cmpx_ne_u32_e64 v26, v27
	s_xor_b32 s13, exec_lo, s13
; %bb.664:                              ;   in Loop: Header=BB6_144 Depth=3
	s_delay_alu instid0(VALU_DEP_2) | instskip(SKIP_2) | instid1(VALU_DEP_2)
	v_cmp_lt_u32_e32 vcc_lo, 0xffffff, v9
	v_sub_nc_u32_e32 v8, v26, v27
	v_cndmask_b32_e64 v26, 0, 1, vcc_lo
	v_add_co_ci_u32_e32 v8, vcc_lo, 0, v8, vcc_lo
	s_delay_alu instid0(VALU_DEP_2)
	v_lshrrev_b32_e32 v9, v26, v9
; %bb.665:                              ;   in Loop: Header=BB6_144 Depth=3
	s_and_not1_saveexec_b32 s13, s13
; %bb.666:                              ;   in Loop: Header=BB6_144 Depth=3
	s_delay_alu instid0(VALU_DEP_1)
	v_bfe_u32 v8, v9, 23, 1
; %bb.667:                              ;   in Loop: Header=BB6_144 Depth=3
	s_or_b32 exec_lo, exec_lo, s13
	v_lshrrev_b32_e32 v9, 21, v9
	s_delay_alu instid0(VALU_DEP_2) | instskip(SKIP_3) | instid1(VALU_DEP_3)
	v_cmp_gt_i32_e32 vcc_lo, 32, v8
	v_lshrrev_b32_e32 v2, 24, v2
	v_min_i32_e32 v26, 31, v8
	v_mov_b32_e32 v51, v128
	v_dual_cndmask_b32 v9, 3, v9 :: v_dual_and_b32 v2, 0x80, v2
	s_delay_alu instid0(VALU_DEP_3) | instskip(NEXT) | instid1(VALU_DEP_2)
	v_lshlrev_b32_e32 v26, 2, v26
	v_or_b32_e32 v8, v8, v9
	s_delay_alu instid0(VALU_DEP_1) | instskip(SKIP_1) | instid1(VALU_DEP_1)
	v_cmp_ne_u32_e32 vcc_lo, 0, v8
	v_and_b32_e32 v27, 3, v9
	v_or3_b32 v2, v26, v2, v27
	s_delay_alu instid0(VALU_DEP_1)
	v_cndmask_b32_e32 v146, 0, v2, vcc_lo
.LBB6_668:                              ;   in Loop: Header=BB6_144 Depth=3
	s_or_b32 exec_lo, exec_lo, s36
.LBB6_669:                              ;   in Loop: Header=BB6_144 Depth=3
	s_delay_alu instid0(SALU_CYCLE_1) | instskip(SKIP_3) | instid1(VALU_DEP_1)
	s_or_b32 exec_lo, exec_lo, s35
	v_lshrrev_b32_e32 v2, 24, v10
	s_mov_b32 s13, 0
	s_mov_b32 s36, exec_lo
                                        ; implicit-def: $sgpr35
	v_cmpx_lt_i16_e32 0x7f, v2
	s_xor_b32 s36, exec_lo, s36
	s_cbranch_execnz .LBB6_1859
; %bb.670:                              ;   in Loop: Header=BB6_144 Depth=3
	s_or_saveexec_b32 s36, s36
	v_mov_b32_e32 v8, s35
	s_xor_b32 exec_lo, exec_lo, s36
	s_cbranch_execnz .LBB6_1862
.LBB6_671:                              ;   in Loop: Header=BB6_144 Depth=3
	s_or_b32 exec_lo, exec_lo, s36
	s_and_saveexec_b32 s35, s13
	s_cbranch_execz .LBB6_673
.LBB6_672:                              ;   in Loop: Header=BB6_144 Depth=3
	v_bfe_u32 v8, v10, 24, 2
	s_delay_alu instid0(VALU_DEP_1) | instskip(NEXT) | instid1(VALU_DEP_1)
	v_clz_i32_u32_e32 v9, v8
	v_min_u32_e32 v9, 32, v9
	s_delay_alu instid0(VALU_DEP_1) | instskip(SKIP_1) | instid1(VALU_DEP_2)
	v_subrev_nc_u32_e32 v26, 29, v9
	v_sub_nc_u32_e32 v9, 30, v9
	v_lshlrev_b32_e32 v2, v26, v2
	v_bfe_u32 v26, v10, 26, 5
	s_delay_alu instid0(VALU_DEP_1) | instskip(NEXT) | instid1(VALU_DEP_3)
	v_cmp_eq_u32_e32 vcc_lo, 0, v26
	v_dual_cndmask_b32 v9, v26, v9 :: v_dual_and_b32 v2, 3, v2
	s_delay_alu instid0(VALU_DEP_1) | instskip(SKIP_1) | instid1(VALU_DEP_3)
	v_cndmask_b32_e32 v2, v8, v2, vcc_lo
	v_and_b32_e32 v8, 0x80000000, v10
	v_lshl_add_u32 v9, v9, 23, 0x37800000
	s_delay_alu instid0(VALU_DEP_3) | instskip(NEXT) | instid1(VALU_DEP_1)
	v_lshlrev_b32_e32 v2, 21, v2
	v_or3_b32 v8, v8, v9, v2
.LBB6_673:                              ;   in Loop: Header=BB6_144 Depth=3
	s_or_b32 exec_lo, exec_lo, s35
	s_delay_alu instid0(VALU_DEP_1) | instskip(SKIP_2) | instid1(VALU_DEP_2)
	v_mul_f32_e32 v2, s34, v8
	v_mov_b32_e32 v102, 0x80
	s_mov_b32 s35, exec_lo
	v_and_b32_e32 v8, 0x7f800000, v2
	s_delay_alu instid0(VALU_DEP_1)
	v_cmpx_ne_u32_e32 0x7f800000, v8
	s_cbranch_execz .LBB6_681
; %bb.674:                              ;   in Loop: Header=BB6_144 Depth=3
	v_mov_b32_e32 v102, 0
	s_mov_b32 s36, exec_lo
	v_cmpx_ne_u32_e32 0, v2
	s_cbranch_execz .LBB6_680
; %bb.675:                              ;   in Loop: Header=BB6_144 Depth=3
	v_bfe_u32 v8, v2, 23, 8
	v_and_b32_e32 v9, 0x7fffff, v2
	s_delay_alu instid0(VALU_DEP_2) | instskip(SKIP_1) | instid1(VALU_DEP_3)
	v_sub_nc_u32_e32 v10, 0x70, v8
	v_cmp_gt_u32_e32 vcc_lo, 0x71, v8
	v_or_b32_e32 v26, 0x800000, v9
	s_delay_alu instid0(VALU_DEP_3) | instskip(SKIP_1) | instid1(VALU_DEP_3)
	v_cndmask_b32_e32 v10, 0, v10, vcc_lo
	v_cmp_eq_u32_e32 vcc_lo, 0, v8
	v_dual_cndmask_b32 v9, v26, v9 :: v_dual_add_nc_u32 v8, 0xffffff91, v8
	s_delay_alu instid0(VALU_DEP_3) | instskip(NEXT) | instid1(VALU_DEP_2)
	v_cndmask_b32_e64 v10, v10, 0x6f, vcc_lo
	v_cndmask_b32_e64 v8, v8, 0xffffff92, vcc_lo
	s_delay_alu instid0(VALU_DEP_2) | instskip(SKIP_2) | instid1(VALU_DEP_4)
	v_lshrrev_b32_e32 v27, v10, v9
	v_lshl_add_u32 v26, 0x200000, v10, -1
	v_lshlrev_b32_e64 v37, v10, 0x100000
	v_add_nc_u32_e32 v10, v10, v8
	s_delay_alu instid0(VALU_DEP_4) | instskip(NEXT) | instid1(VALU_DEP_4)
	v_bfe_u32 v36, v27, 21, 1
	v_and_b32_e32 v9, v26, v9
	s_delay_alu instid0(VALU_DEP_2) | instskip(NEXT) | instid1(VALU_DEP_2)
	v_add_nc_u32_e32 v26, -1, v36
	v_cmp_eq_u32_e64 s13, v9, v37
	s_delay_alu instid0(VALU_DEP_1) | instskip(SKIP_2) | instid1(VALU_DEP_2)
	v_cndmask_b32_e64 v9, 0, v26, s13
	v_lshrrev_b32_e32 v26, 23, v27
	s_mov_b32 s13, exec_lo
	v_add_nc_u32_e32 v9, v9, v27
	s_delay_alu instid0(VALU_DEP_2) | instskip(NEXT) | instid1(VALU_DEP_2)
	v_xor_b32_e32 v26, 1, v26
	v_and_b32_e32 v8, 0x1fffff, v9
	s_delay_alu instid0(VALU_DEP_1) | instskip(NEXT) | instid1(VALU_DEP_3)
	v_add_nc_u32_e32 v9, v8, v27
                                        ; implicit-def: $vgpr8
	v_cmpx_ne_u32_e64 v10, v26
	s_xor_b32 s13, exec_lo, s13
; %bb.676:                              ;   in Loop: Header=BB6_144 Depth=3
	s_delay_alu instid0(VALU_DEP_2) | instskip(SKIP_2) | instid1(VALU_DEP_2)
	v_cmp_lt_u32_e32 vcc_lo, 0xffffff, v9
	v_sub_nc_u32_e32 v8, v10, v26
	v_cndmask_b32_e64 v10, 0, 1, vcc_lo
	v_add_co_ci_u32_e32 v8, vcc_lo, 0, v8, vcc_lo
	s_delay_alu instid0(VALU_DEP_2)
	v_lshrrev_b32_e32 v9, v10, v9
; %bb.677:                              ;   in Loop: Header=BB6_144 Depth=3
	s_and_not1_saveexec_b32 s13, s13
; %bb.678:                              ;   in Loop: Header=BB6_144 Depth=3
	s_delay_alu instid0(VALU_DEP_1)
	v_bfe_u32 v8, v9, 23, 1
; %bb.679:                              ;   in Loop: Header=BB6_144 Depth=3
	s_or_b32 exec_lo, exec_lo, s13
	v_lshrrev_b32_e32 v9, 21, v9
	s_delay_alu instid0(VALU_DEP_2) | instskip(SKIP_3) | instid1(VALU_DEP_3)
	v_cmp_gt_i32_e32 vcc_lo, 32, v8
	v_lshrrev_b32_e32 v2, 24, v2
	v_min_i32_e32 v10, 31, v8
	v_mov_b32_e32 v51, v128
	v_dual_cndmask_b32 v9, 3, v9 :: v_dual_and_b32 v2, 0x80, v2
	s_delay_alu instid0(VALU_DEP_3) | instskip(NEXT) | instid1(VALU_DEP_2)
	v_lshlrev_b32_e32 v10, 2, v10
	v_and_b32_e32 v26, 3, v9
	v_or_b32_e32 v8, v8, v9
	s_delay_alu instid0(VALU_DEP_2) | instskip(NEXT) | instid1(VALU_DEP_2)
	v_or3_b32 v2, v10, v2, v26
	v_cmp_ne_u32_e32 vcc_lo, 0, v8
	s_delay_alu instid0(VALU_DEP_2)
	v_cndmask_b32_e32 v102, 0, v2, vcc_lo
.LBB6_680:                              ;   in Loop: Header=BB6_144 Depth=3
	s_or_b32 exec_lo, exec_lo, s36
.LBB6_681:                              ;   in Loop: Header=BB6_144 Depth=3
	s_delay_alu instid0(SALU_CYCLE_1) | instskip(SKIP_3) | instid1(VALU_DEP_1)
	s_or_b32 exec_lo, exec_lo, s35
	v_and_b32_e32 v8, 0xff, v11
	s_mov_b32 s13, 0
	s_mov_b32 s36, exec_lo
                                        ; implicit-def: $sgpr35
	v_cmpx_lt_i16_e32 0x7f, v8
	s_xor_b32 s36, exec_lo, s36
	s_cbranch_execnz .LBB6_1863
; %bb.682:                              ;   in Loop: Header=BB6_144 Depth=3
	s_or_saveexec_b32 s36, s36
	v_mov_b32_e32 v2, s35
	s_xor_b32 exec_lo, exec_lo, s36
	s_cbranch_execnz .LBB6_1866
.LBB6_683:                              ;   in Loop: Header=BB6_144 Depth=3
	s_or_b32 exec_lo, exec_lo, s36
	s_and_saveexec_b32 s35, s13
	s_cbranch_execz .LBB6_685
.LBB6_684:                              ;   in Loop: Header=BB6_144 Depth=3
	v_and_b32_e32 v2, 3, v11
	v_bfe_u32 v10, v11, 2, 5
	v_lshlrev_b32_e32 v26, 24, v11
	s_delay_alu instid0(VALU_DEP_3) | instskip(NEXT) | instid1(VALU_DEP_3)
	v_clz_i32_u32_e32 v8, v2
	v_cmp_eq_u32_e32 vcc_lo, 0, v10
	s_delay_alu instid0(VALU_DEP_2) | instskip(NEXT) | instid1(VALU_DEP_1)
	v_min_u32_e32 v8, 32, v8
	v_subrev_nc_u32_e32 v9, 29, v8
	v_sub_nc_u32_e32 v8, 30, v8
	s_delay_alu instid0(VALU_DEP_1) | instskip(NEXT) | instid1(VALU_DEP_1)
	v_dual_cndmask_b32 v8, v10, v8 :: v_dual_lshlrev_b32 v9, v9, v11
	v_and_b32_e32 v9, 3, v9
	s_delay_alu instid0(VALU_DEP_2) | instskip(NEXT) | instid1(VALU_DEP_2)
	v_lshl_add_u32 v8, v8, 23, 0x37800000
	v_dual_cndmask_b32 v2, v2, v9 :: v_dual_and_b32 v9, 0x80000000, v26
	s_delay_alu instid0(VALU_DEP_1) | instskip(NEXT) | instid1(VALU_DEP_1)
	v_lshlrev_b32_e32 v2, 21, v2
	v_or3_b32 v2, v9, v8, v2
.LBB6_685:                              ;   in Loop: Header=BB6_144 Depth=3
	s_or_b32 exec_lo, exec_lo, s35
	s_delay_alu instid0(VALU_DEP_1) | instskip(SKIP_2) | instid1(VALU_DEP_2)
	v_mul_f32_e32 v2, s34, v2
	v_mov_b32_e32 v118, 0x80
	s_mov_b32 s35, exec_lo
	v_and_b32_e32 v8, 0x7f800000, v2
	s_delay_alu instid0(VALU_DEP_1)
	v_cmpx_ne_u32_e32 0x7f800000, v8
	s_cbranch_execz .LBB6_693
; %bb.686:                              ;   in Loop: Header=BB6_144 Depth=3
	v_mov_b32_e32 v118, 0
	s_mov_b32 s36, exec_lo
	v_cmpx_ne_u32_e32 0, v2
	s_cbranch_execz .LBB6_692
; %bb.687:                              ;   in Loop: Header=BB6_144 Depth=3
	v_bfe_u32 v8, v2, 23, 8
	v_and_b32_e32 v9, 0x7fffff, v2
	s_delay_alu instid0(VALU_DEP_2) | instskip(SKIP_1) | instid1(VALU_DEP_3)
	v_sub_nc_u32_e32 v10, 0x70, v8
	v_cmp_gt_u32_e32 vcc_lo, 0x71, v8
	v_or_b32_e32 v26, 0x800000, v9
	s_delay_alu instid0(VALU_DEP_3) | instskip(SKIP_1) | instid1(VALU_DEP_3)
	v_cndmask_b32_e32 v10, 0, v10, vcc_lo
	v_cmp_eq_u32_e32 vcc_lo, 0, v8
	v_dual_cndmask_b32 v9, v26, v9 :: v_dual_add_nc_u32 v8, 0xffffff91, v8
	s_delay_alu instid0(VALU_DEP_3) | instskip(NEXT) | instid1(VALU_DEP_2)
	v_cndmask_b32_e64 v10, v10, 0x6f, vcc_lo
	v_cndmask_b32_e64 v8, v8, 0xffffff92, vcc_lo
	s_delay_alu instid0(VALU_DEP_2) | instskip(SKIP_2) | instid1(VALU_DEP_4)
	v_lshrrev_b32_e32 v27, v10, v9
	v_lshl_add_u32 v26, 0x200000, v10, -1
	v_lshlrev_b32_e64 v37, v10, 0x100000
	v_add_nc_u32_e32 v10, v10, v8
	s_delay_alu instid0(VALU_DEP_4) | instskip(NEXT) | instid1(VALU_DEP_4)
	v_bfe_u32 v36, v27, 21, 1
	v_and_b32_e32 v9, v26, v9
	s_delay_alu instid0(VALU_DEP_2) | instskip(NEXT) | instid1(VALU_DEP_2)
	v_add_nc_u32_e32 v26, -1, v36
	v_cmp_eq_u32_e64 s13, v9, v37
	s_delay_alu instid0(VALU_DEP_1) | instskip(SKIP_2) | instid1(VALU_DEP_2)
	v_cndmask_b32_e64 v9, 0, v26, s13
	v_lshrrev_b32_e32 v26, 23, v27
	s_mov_b32 s13, exec_lo
	v_add_nc_u32_e32 v9, v9, v27
	s_delay_alu instid0(VALU_DEP_2) | instskip(NEXT) | instid1(VALU_DEP_2)
	v_xor_b32_e32 v26, 1, v26
	v_and_b32_e32 v8, 0x1fffff, v9
	s_delay_alu instid0(VALU_DEP_1) | instskip(NEXT) | instid1(VALU_DEP_3)
	v_add_nc_u32_e32 v9, v8, v27
                                        ; implicit-def: $vgpr8
	v_cmpx_ne_u32_e64 v10, v26
	s_xor_b32 s13, exec_lo, s13
; %bb.688:                              ;   in Loop: Header=BB6_144 Depth=3
	s_delay_alu instid0(VALU_DEP_2) | instskip(SKIP_2) | instid1(VALU_DEP_2)
	v_cmp_lt_u32_e32 vcc_lo, 0xffffff, v9
	v_sub_nc_u32_e32 v8, v10, v26
	v_cndmask_b32_e64 v10, 0, 1, vcc_lo
	v_add_co_ci_u32_e32 v8, vcc_lo, 0, v8, vcc_lo
	s_delay_alu instid0(VALU_DEP_2)
	v_lshrrev_b32_e32 v9, v10, v9
; %bb.689:                              ;   in Loop: Header=BB6_144 Depth=3
	s_and_not1_saveexec_b32 s13, s13
; %bb.690:                              ;   in Loop: Header=BB6_144 Depth=3
	s_delay_alu instid0(VALU_DEP_1)
	v_bfe_u32 v8, v9, 23, 1
; %bb.691:                              ;   in Loop: Header=BB6_144 Depth=3
	s_or_b32 exec_lo, exec_lo, s13
	v_lshrrev_b32_e32 v9, 21, v9
	s_delay_alu instid0(VALU_DEP_2) | instskip(SKIP_2) | instid1(VALU_DEP_3)
	v_min_i32_e32 v10, 31, v8
	v_cmp_gt_i32_e32 vcc_lo, 32, v8
	v_lshrrev_b32_e32 v2, 24, v2
	v_dual_mov_b32 v51, v128 :: v_dual_lshlrev_b32 v10, 2, v10
	s_delay_alu instid0(VALU_DEP_2) | instskip(NEXT) | instid1(VALU_DEP_2)
	v_dual_cndmask_b32 v9, 3, v9 :: v_dual_and_b32 v2, 0x80, v2
	v_and_b32_e32 v10, 0xfc, v10
	s_delay_alu instid0(VALU_DEP_2) | instskip(SKIP_1) | instid1(VALU_DEP_2)
	v_and_b32_e32 v26, 3, v9
	v_or_b32_e32 v8, v8, v9
	v_or3_b32 v2, v10, v2, v26
	s_delay_alu instid0(VALU_DEP_2) | instskip(NEXT) | instid1(VALU_DEP_2)
	v_cmp_ne_u32_e32 vcc_lo, 0, v8
	v_cndmask_b32_e32 v118, 0, v2, vcc_lo
.LBB6_692:                              ;   in Loop: Header=BB6_144 Depth=3
	s_or_b32 exec_lo, exec_lo, s36
.LBB6_693:                              ;   in Loop: Header=BB6_144 Depth=3
	s_delay_alu instid0(SALU_CYCLE_1) | instskip(SKIP_3) | instid1(VALU_DEP_1)
	s_or_b32 exec_lo, exec_lo, s35
	v_lshrrev_b16 v2, 8, v11
	s_mov_b32 s13, 0
	s_mov_b32 s36, exec_lo
                                        ; implicit-def: $sgpr35
	v_cmpx_lt_i16_e32 0x7f, v2
	s_xor_b32 s36, exec_lo, s36
	s_cbranch_execnz .LBB6_1867
; %bb.694:                              ;   in Loop: Header=BB6_144 Depth=3
	s_or_saveexec_b32 s36, s36
	v_mov_b32_e32 v8, s35
	s_xor_b32 exec_lo, exec_lo, s36
	s_cbranch_execnz .LBB6_1870
.LBB6_695:                              ;   in Loop: Header=BB6_144 Depth=3
	s_or_b32 exec_lo, exec_lo, s36
	s_and_saveexec_b32 s35, s13
	s_cbranch_execz .LBB6_697
.LBB6_696:                              ;   in Loop: Header=BB6_144 Depth=3
	v_and_b32_e32 v8, 0xffff, v2
	v_lshlrev_b32_e32 v2, 24, v2
	s_delay_alu instid0(VALU_DEP_2) | instskip(NEXT) | instid1(VALU_DEP_2)
	v_and_b32_e32 v9, 3, v8
	v_and_b32_e32 v2, 0x80000000, v2
	s_delay_alu instid0(VALU_DEP_2) | instskip(NEXT) | instid1(VALU_DEP_1)
	v_clz_i32_u32_e32 v10, v9
	v_min_u32_e32 v10, 32, v10
	s_delay_alu instid0(VALU_DEP_1) | instskip(SKIP_1) | instid1(VALU_DEP_2)
	v_subrev_nc_u32_e32 v26, 29, v10
	v_sub_nc_u32_e32 v10, 30, v10
	v_lshlrev_b32_e32 v26, v26, v8
	v_bfe_u32 v8, v8, 2, 5
	s_delay_alu instid0(VALU_DEP_2) | instskip(NEXT) | instid1(VALU_DEP_2)
	v_and_b32_e32 v26, 3, v26
	v_cmp_eq_u32_e32 vcc_lo, 0, v8
	v_cndmask_b32_e32 v8, v8, v10, vcc_lo
	s_delay_alu instid0(VALU_DEP_3) | instskip(NEXT) | instid1(VALU_DEP_2)
	v_cndmask_b32_e32 v9, v9, v26, vcc_lo
	v_lshl_add_u32 v8, v8, 23, 0x37800000
	s_delay_alu instid0(VALU_DEP_2) | instskip(NEXT) | instid1(VALU_DEP_1)
	v_lshlrev_b32_e32 v9, 21, v9
	v_or3_b32 v8, v2, v8, v9
.LBB6_697:                              ;   in Loop: Header=BB6_144 Depth=3
	s_or_b32 exec_lo, exec_lo, s35
	s_delay_alu instid0(VALU_DEP_1) | instskip(SKIP_2) | instid1(VALU_DEP_2)
	v_mul_f32_e32 v2, s34, v8
	v_mov_b32_e32 v98, 0x8000
	s_mov_b32 s35, exec_lo
	v_and_b32_e32 v8, 0x7f800000, v2
	s_delay_alu instid0(VALU_DEP_1)
	v_cmpx_ne_u32_e32 0x7f800000, v8
	s_cbranch_execz .LBB6_705
; %bb.698:                              ;   in Loop: Header=BB6_144 Depth=3
	v_mov_b32_e32 v98, 0
	s_mov_b32 s36, exec_lo
	v_cmpx_ne_u32_e32 0, v2
	s_cbranch_execz .LBB6_704
; %bb.699:                              ;   in Loop: Header=BB6_144 Depth=3
	v_bfe_u32 v8, v2, 23, 8
	v_and_b32_e32 v9, 0x7fffff, v2
	s_delay_alu instid0(VALU_DEP_2) | instskip(SKIP_1) | instid1(VALU_DEP_3)
	v_sub_nc_u32_e32 v10, 0x70, v8
	v_cmp_gt_u32_e32 vcc_lo, 0x71, v8
	v_or_b32_e32 v26, 0x800000, v9
	s_delay_alu instid0(VALU_DEP_3) | instskip(SKIP_1) | instid1(VALU_DEP_3)
	v_cndmask_b32_e32 v10, 0, v10, vcc_lo
	v_cmp_eq_u32_e32 vcc_lo, 0, v8
	v_dual_cndmask_b32 v9, v26, v9 :: v_dual_add_nc_u32 v8, 0xffffff91, v8
	s_delay_alu instid0(VALU_DEP_3) | instskip(NEXT) | instid1(VALU_DEP_2)
	v_cndmask_b32_e64 v10, v10, 0x6f, vcc_lo
	v_cndmask_b32_e64 v8, v8, 0xffffff92, vcc_lo
	s_delay_alu instid0(VALU_DEP_2) | instskip(SKIP_2) | instid1(VALU_DEP_4)
	v_lshrrev_b32_e32 v27, v10, v9
	v_lshl_add_u32 v26, 0x200000, v10, -1
	v_lshlrev_b32_e64 v37, v10, 0x100000
	v_add_nc_u32_e32 v10, v10, v8
	s_delay_alu instid0(VALU_DEP_4) | instskip(NEXT) | instid1(VALU_DEP_4)
	v_bfe_u32 v36, v27, 21, 1
	v_and_b32_e32 v9, v26, v9
	s_delay_alu instid0(VALU_DEP_2) | instskip(NEXT) | instid1(VALU_DEP_2)
	v_add_nc_u32_e32 v26, -1, v36
	v_cmp_eq_u32_e64 s13, v9, v37
	s_delay_alu instid0(VALU_DEP_1) | instskip(SKIP_2) | instid1(VALU_DEP_2)
	v_cndmask_b32_e64 v9, 0, v26, s13
	v_lshrrev_b32_e32 v26, 23, v27
	s_mov_b32 s13, exec_lo
	v_add_nc_u32_e32 v9, v9, v27
	s_delay_alu instid0(VALU_DEP_2) | instskip(NEXT) | instid1(VALU_DEP_2)
	v_xor_b32_e32 v26, 1, v26
	v_and_b32_e32 v8, 0x1fffff, v9
	s_delay_alu instid0(VALU_DEP_1) | instskip(NEXT) | instid1(VALU_DEP_3)
	v_add_nc_u32_e32 v9, v8, v27
                                        ; implicit-def: $vgpr8
	v_cmpx_ne_u32_e64 v10, v26
	s_xor_b32 s13, exec_lo, s13
; %bb.700:                              ;   in Loop: Header=BB6_144 Depth=3
	s_delay_alu instid0(VALU_DEP_2) | instskip(SKIP_2) | instid1(VALU_DEP_2)
	v_cmp_lt_u32_e32 vcc_lo, 0xffffff, v9
	v_sub_nc_u32_e32 v8, v10, v26
	v_cndmask_b32_e64 v10, 0, 1, vcc_lo
	v_add_co_ci_u32_e32 v8, vcc_lo, 0, v8, vcc_lo
	s_delay_alu instid0(VALU_DEP_2)
	v_lshrrev_b32_e32 v9, v10, v9
; %bb.701:                              ;   in Loop: Header=BB6_144 Depth=3
	s_and_not1_saveexec_b32 s13, s13
; %bb.702:                              ;   in Loop: Header=BB6_144 Depth=3
	s_delay_alu instid0(VALU_DEP_1)
	v_bfe_u32 v8, v9, 23, 1
; %bb.703:                              ;   in Loop: Header=BB6_144 Depth=3
	s_or_b32 exec_lo, exec_lo, s13
	v_lshrrev_b32_e32 v9, 21, v9
	s_delay_alu instid0(VALU_DEP_2) | instskip(SKIP_2) | instid1(VALU_DEP_3)
	v_min_i32_e32 v10, 31, v8
	v_cmp_gt_i32_e32 vcc_lo, 32, v8
	v_lshrrev_b32_e32 v2, 24, v2
	v_dual_mov_b32 v51, v128 :: v_dual_lshlrev_b32 v10, 2, v10
	s_delay_alu instid0(VALU_DEP_2) | instskip(NEXT) | instid1(VALU_DEP_2)
	v_dual_cndmask_b32 v9, 3, v9 :: v_dual_and_b32 v2, 0x80, v2
	v_and_b32_e32 v10, 0xfc, v10
	s_delay_alu instid0(VALU_DEP_2) | instskip(SKIP_1) | instid1(VALU_DEP_2)
	v_and_b32_e32 v26, 3, v9
	v_or_b32_e32 v8, v8, v9
	v_or3_b32 v2, v2, v10, v26
	s_delay_alu instid0(VALU_DEP_2) | instskip(NEXT) | instid1(VALU_DEP_2)
	v_cmp_ne_u32_e32 vcc_lo, 0, v8
	v_lshlrev_b32_e32 v2, 8, v2
	s_delay_alu instid0(VALU_DEP_1)
	v_cndmask_b32_e32 v98, 0, v2, vcc_lo
.LBB6_704:                              ;   in Loop: Header=BB6_144 Depth=3
	s_or_b32 exec_lo, exec_lo, s36
.LBB6_705:                              ;   in Loop: Header=BB6_144 Depth=3
	s_delay_alu instid0(SALU_CYCLE_1) | instskip(SKIP_3) | instid1(VALU_DEP_1)
	s_or_b32 exec_lo, exec_lo, s35
	v_lshrrev_b32_e32 v2, 16, v11
	s_mov_b32 s13, 0
	s_mov_b32 s36, exec_lo
                                        ; implicit-def: $sgpr35
	v_and_b32_e32 v9, 0xff, v2
	s_delay_alu instid0(VALU_DEP_1)
	v_cmpx_lt_i16_e32 0x7f, v9
	s_xor_b32 s36, exec_lo, s36
	s_cbranch_execnz .LBB6_1871
; %bb.706:                              ;   in Loop: Header=BB6_144 Depth=3
	s_or_saveexec_b32 s36, s36
	v_mov_b32_e32 v8, s35
	s_xor_b32 exec_lo, exec_lo, s36
	s_cbranch_execnz .LBB6_1874
.LBB6_707:                              ;   in Loop: Header=BB6_144 Depth=3
	s_or_b32 exec_lo, exec_lo, s36
	s_and_saveexec_b32 s35, s13
	s_cbranch_execz .LBB6_709
.LBB6_708:                              ;   in Loop: Header=BB6_144 Depth=3
	v_bfe_u32 v8, v11, 16, 2
	v_lshlrev_b32_e32 v26, 8, v11
	s_delay_alu instid0(VALU_DEP_2) | instskip(NEXT) | instid1(VALU_DEP_1)
	v_clz_i32_u32_e32 v9, v8
	v_min_u32_e32 v9, 32, v9
	s_delay_alu instid0(VALU_DEP_1) | instskip(SKIP_1) | instid1(VALU_DEP_2)
	v_subrev_nc_u32_e32 v10, 29, v9
	v_sub_nc_u32_e32 v9, 30, v9
	v_lshlrev_b32_e32 v2, v10, v2
	v_bfe_u32 v10, v11, 18, 5
	s_delay_alu instid0(VALU_DEP_1) | instskip(NEXT) | instid1(VALU_DEP_3)
	v_cmp_eq_u32_e32 vcc_lo, 0, v10
	v_dual_cndmask_b32 v9, v10, v9 :: v_dual_and_b32 v2, 3, v2
	s_delay_alu instid0(VALU_DEP_1) | instskip(SKIP_1) | instid1(VALU_DEP_3)
	v_cndmask_b32_e32 v2, v8, v2, vcc_lo
	v_and_b32_e32 v8, 0x80000000, v26
	v_lshl_add_u32 v9, v9, 23, 0x37800000
	s_delay_alu instid0(VALU_DEP_3) | instskip(NEXT) | instid1(VALU_DEP_1)
	v_lshlrev_b32_e32 v2, 21, v2
	v_or3_b32 v8, v8, v9, v2
.LBB6_709:                              ;   in Loop: Header=BB6_144 Depth=3
	s_or_b32 exec_lo, exec_lo, s35
	s_delay_alu instid0(VALU_DEP_1) | instskip(SKIP_1) | instid1(VALU_DEP_1)
	v_dual_mul_f32 v2, s34, v8 :: v_dual_mov_b32 v101, 0x80
	s_mov_b32 s35, exec_lo
	v_and_b32_e32 v8, 0x7f800000, v2
	s_delay_alu instid0(VALU_DEP_1)
	v_cmpx_ne_u32_e32 0x7f800000, v8
	s_cbranch_execz .LBB6_717
; %bb.710:                              ;   in Loop: Header=BB6_144 Depth=3
	v_mov_b32_e32 v101, 0
	s_mov_b32 s36, exec_lo
	v_cmpx_ne_u32_e32 0, v2
	s_cbranch_execz .LBB6_716
; %bb.711:                              ;   in Loop: Header=BB6_144 Depth=3
	v_bfe_u32 v8, v2, 23, 8
	v_and_b32_e32 v9, 0x7fffff, v2
	s_delay_alu instid0(VALU_DEP_2) | instskip(SKIP_1) | instid1(VALU_DEP_3)
	v_sub_nc_u32_e32 v10, 0x70, v8
	v_cmp_gt_u32_e32 vcc_lo, 0x71, v8
	v_or_b32_e32 v26, 0x800000, v9
	s_delay_alu instid0(VALU_DEP_3) | instskip(SKIP_1) | instid1(VALU_DEP_3)
	v_cndmask_b32_e32 v10, 0, v10, vcc_lo
	v_cmp_eq_u32_e32 vcc_lo, 0, v8
	v_dual_cndmask_b32 v9, v26, v9 :: v_dual_add_nc_u32 v8, 0xffffff91, v8
	s_delay_alu instid0(VALU_DEP_3) | instskip(NEXT) | instid1(VALU_DEP_2)
	v_cndmask_b32_e64 v10, v10, 0x6f, vcc_lo
	v_cndmask_b32_e64 v8, v8, 0xffffff92, vcc_lo
	s_delay_alu instid0(VALU_DEP_2) | instskip(SKIP_2) | instid1(VALU_DEP_4)
	v_lshrrev_b32_e32 v27, v10, v9
	v_lshl_add_u32 v26, 0x200000, v10, -1
	v_lshlrev_b32_e64 v37, v10, 0x100000
	v_add_nc_u32_e32 v10, v10, v8
	s_delay_alu instid0(VALU_DEP_4) | instskip(NEXT) | instid1(VALU_DEP_4)
	v_bfe_u32 v36, v27, 21, 1
	v_and_b32_e32 v9, v26, v9
	s_delay_alu instid0(VALU_DEP_2) | instskip(NEXT) | instid1(VALU_DEP_2)
	v_add_nc_u32_e32 v26, -1, v36
	v_cmp_eq_u32_e64 s13, v9, v37
	s_delay_alu instid0(VALU_DEP_1) | instskip(SKIP_2) | instid1(VALU_DEP_2)
	v_cndmask_b32_e64 v9, 0, v26, s13
	v_lshrrev_b32_e32 v26, 23, v27
	s_mov_b32 s13, exec_lo
	v_add_nc_u32_e32 v9, v9, v27
	s_delay_alu instid0(VALU_DEP_2) | instskip(NEXT) | instid1(VALU_DEP_2)
	v_xor_b32_e32 v26, 1, v26
	v_and_b32_e32 v8, 0x1fffff, v9
	s_delay_alu instid0(VALU_DEP_1) | instskip(NEXT) | instid1(VALU_DEP_3)
	v_add_nc_u32_e32 v9, v8, v27
                                        ; implicit-def: $vgpr8
	v_cmpx_ne_u32_e64 v10, v26
	s_xor_b32 s13, exec_lo, s13
; %bb.712:                              ;   in Loop: Header=BB6_144 Depth=3
	s_delay_alu instid0(VALU_DEP_2) | instskip(SKIP_2) | instid1(VALU_DEP_2)
	v_cmp_lt_u32_e32 vcc_lo, 0xffffff, v9
	v_sub_nc_u32_e32 v8, v10, v26
	v_cndmask_b32_e64 v10, 0, 1, vcc_lo
	v_add_co_ci_u32_e32 v8, vcc_lo, 0, v8, vcc_lo
	s_delay_alu instid0(VALU_DEP_2)
	v_lshrrev_b32_e32 v9, v10, v9
; %bb.713:                              ;   in Loop: Header=BB6_144 Depth=3
	s_and_not1_saveexec_b32 s13, s13
; %bb.714:                              ;   in Loop: Header=BB6_144 Depth=3
	s_delay_alu instid0(VALU_DEP_1)
	v_bfe_u32 v8, v9, 23, 1
; %bb.715:                              ;   in Loop: Header=BB6_144 Depth=3
	s_or_b32 exec_lo, exec_lo, s13
	v_lshrrev_b32_e32 v9, 21, v9
	s_delay_alu instid0(VALU_DEP_2) | instskip(SKIP_3) | instid1(VALU_DEP_3)
	v_cmp_gt_i32_e32 vcc_lo, 32, v8
	v_min_i32_e32 v10, 31, v8
	v_lshrrev_b32_e32 v2, 24, v2
	v_mov_b32_e32 v51, v128
	v_dual_cndmask_b32 v9, 3, v9 :: v_dual_lshlrev_b32 v10, 2, v10
	s_delay_alu instid0(VALU_DEP_3) | instskip(NEXT) | instid1(VALU_DEP_2)
	v_and_b32_e32 v2, 0x80, v2
	v_or_b32_e32 v8, v8, v9
	s_delay_alu instid0(VALU_DEP_3) | instskip(NEXT) | instid1(VALU_DEP_2)
	v_and_b32_e32 v10, 0xfc, v10
	v_cmp_ne_u32_e32 vcc_lo, 0, v8
	v_and_b32_e32 v26, 3, v9
	s_delay_alu instid0(VALU_DEP_1) | instskip(NEXT) | instid1(VALU_DEP_1)
	v_or3_b32 v2, v10, v2, v26
	v_cndmask_b32_e32 v101, 0, v2, vcc_lo
.LBB6_716:                              ;   in Loop: Header=BB6_144 Depth=3
	s_or_b32 exec_lo, exec_lo, s36
.LBB6_717:                              ;   in Loop: Header=BB6_144 Depth=3
	s_delay_alu instid0(SALU_CYCLE_1) | instskip(SKIP_3) | instid1(VALU_DEP_1)
	s_or_b32 exec_lo, exec_lo, s35
	v_lshrrev_b32_e32 v2, 24, v11
	s_mov_b32 s13, 0
	s_mov_b32 s36, exec_lo
                                        ; implicit-def: $sgpr35
	v_cmpx_lt_i16_e32 0x7f, v2
	s_xor_b32 s36, exec_lo, s36
	s_cbranch_execnz .LBB6_1875
; %bb.718:                              ;   in Loop: Header=BB6_144 Depth=3
	s_or_saveexec_b32 s36, s36
	v_mov_b32_e32 v8, s35
	s_xor_b32 exec_lo, exec_lo, s36
	s_cbranch_execnz .LBB6_1878
.LBB6_719:                              ;   in Loop: Header=BB6_144 Depth=3
	s_or_b32 exec_lo, exec_lo, s36
	s_and_saveexec_b32 s35, s13
	s_cbranch_execz .LBB6_721
.LBB6_720:                              ;   in Loop: Header=BB6_144 Depth=3
	v_bfe_u32 v8, v11, 24, 2
	s_delay_alu instid0(VALU_DEP_1) | instskip(NEXT) | instid1(VALU_DEP_1)
	v_clz_i32_u32_e32 v9, v8
	v_min_u32_e32 v9, 32, v9
	s_delay_alu instid0(VALU_DEP_1) | instskip(SKIP_1) | instid1(VALU_DEP_2)
	v_subrev_nc_u32_e32 v10, 29, v9
	v_sub_nc_u32_e32 v9, 30, v9
	v_lshlrev_b32_e32 v2, v10, v2
	v_bfe_u32 v10, v11, 26, 5
	s_delay_alu instid0(VALU_DEP_1) | instskip(NEXT) | instid1(VALU_DEP_3)
	v_cmp_eq_u32_e32 vcc_lo, 0, v10
	v_dual_cndmask_b32 v9, v10, v9 :: v_dual_and_b32 v2, 3, v2
	s_delay_alu instid0(VALU_DEP_1) | instskip(SKIP_1) | instid1(VALU_DEP_3)
	v_cndmask_b32_e32 v2, v8, v2, vcc_lo
	v_and_b32_e32 v8, 0x80000000, v11
	v_lshl_add_u32 v9, v9, 23, 0x37800000
	s_delay_alu instid0(VALU_DEP_3) | instskip(NEXT) | instid1(VALU_DEP_1)
	v_lshlrev_b32_e32 v2, 21, v2
	v_or3_b32 v8, v8, v9, v2
.LBB6_721:                              ;   in Loop: Header=BB6_144 Depth=3
	s_or_b32 exec_lo, exec_lo, s35
	s_delay_alu instid0(VALU_DEP_1) | instskip(SKIP_1) | instid1(VALU_DEP_1)
	v_dual_mul_f32 v2, s34, v8 :: v_dual_mov_b32 v73, 0x8000
	s_mov_b32 s35, exec_lo
	v_and_b32_e32 v8, 0x7f800000, v2
	s_delay_alu instid0(VALU_DEP_1)
	v_cmpx_ne_u32_e32 0x7f800000, v8
	s_cbranch_execz .LBB6_729
; %bb.722:                              ;   in Loop: Header=BB6_144 Depth=3
	v_mov_b32_e32 v73, 0
	s_mov_b32 s36, exec_lo
	v_cmpx_ne_u32_e32 0, v2
	s_cbranch_execz .LBB6_728
; %bb.723:                              ;   in Loop: Header=BB6_144 Depth=3
	v_bfe_u32 v8, v2, 23, 8
	v_and_b32_e32 v9, 0x7fffff, v2
	s_delay_alu instid0(VALU_DEP_2) | instskip(SKIP_1) | instid1(VALU_DEP_3)
	v_sub_nc_u32_e32 v10, 0x70, v8
	v_cmp_gt_u32_e32 vcc_lo, 0x71, v8
	v_or_b32_e32 v11, 0x800000, v9
	s_delay_alu instid0(VALU_DEP_3) | instskip(SKIP_1) | instid1(VALU_DEP_3)
	v_cndmask_b32_e32 v10, 0, v10, vcc_lo
	v_cmp_eq_u32_e32 vcc_lo, 0, v8
	v_dual_cndmask_b32 v9, v11, v9 :: v_dual_add_nc_u32 v8, 0xffffff91, v8
	s_delay_alu instid0(VALU_DEP_3) | instskip(NEXT) | instid1(VALU_DEP_2)
	v_cndmask_b32_e64 v10, v10, 0x6f, vcc_lo
	v_cndmask_b32_e64 v8, v8, 0xffffff92, vcc_lo
	s_delay_alu instid0(VALU_DEP_2) | instskip(SKIP_2) | instid1(VALU_DEP_4)
	v_lshrrev_b32_e32 v26, v10, v9
	v_lshl_add_u32 v11, 0x200000, v10, -1
	v_lshlrev_b32_e64 v36, v10, 0x100000
	v_add_nc_u32_e32 v10, v10, v8
	s_delay_alu instid0(VALU_DEP_4) | instskip(NEXT) | instid1(VALU_DEP_4)
	v_bfe_u32 v27, v26, 21, 1
	v_and_b32_e32 v9, v11, v9
	s_delay_alu instid0(VALU_DEP_2) | instskip(NEXT) | instid1(VALU_DEP_2)
	v_add_nc_u32_e32 v11, -1, v27
	v_cmp_eq_u32_e64 s13, v9, v36
	s_delay_alu instid0(VALU_DEP_1) | instskip(SKIP_2) | instid1(VALU_DEP_2)
	v_cndmask_b32_e64 v9, 0, v11, s13
	v_lshrrev_b32_e32 v11, 23, v26
	s_mov_b32 s13, exec_lo
	v_add_nc_u32_e32 v9, v9, v26
	s_delay_alu instid0(VALU_DEP_2) | instskip(NEXT) | instid1(VALU_DEP_2)
	v_xor_b32_e32 v11, 1, v11
	v_and_b32_e32 v8, 0x1fffff, v9
	s_delay_alu instid0(VALU_DEP_1) | instskip(NEXT) | instid1(VALU_DEP_3)
	v_add_nc_u32_e32 v9, v8, v26
                                        ; implicit-def: $vgpr8
	v_cmpx_ne_u32_e64 v10, v11
	s_xor_b32 s13, exec_lo, s13
; %bb.724:                              ;   in Loop: Header=BB6_144 Depth=3
	s_delay_alu instid0(VALU_DEP_2) | instskip(SKIP_2) | instid1(VALU_DEP_2)
	v_cmp_lt_u32_e32 vcc_lo, 0xffffff, v9
	v_sub_nc_u32_e32 v8, v10, v11
	v_cndmask_b32_e64 v10, 0, 1, vcc_lo
	v_add_co_ci_u32_e32 v8, vcc_lo, 0, v8, vcc_lo
	s_delay_alu instid0(VALU_DEP_2)
	v_lshrrev_b32_e32 v9, v10, v9
; %bb.725:                              ;   in Loop: Header=BB6_144 Depth=3
	s_and_not1_saveexec_b32 s13, s13
; %bb.726:                              ;   in Loop: Header=BB6_144 Depth=3
	s_delay_alu instid0(VALU_DEP_1)
	v_bfe_u32 v8, v9, 23, 1
; %bb.727:                              ;   in Loop: Header=BB6_144 Depth=3
	s_or_b32 exec_lo, exec_lo, s13
	v_lshrrev_b32_e32 v9, 21, v9
	s_delay_alu instid0(VALU_DEP_2) | instskip(SKIP_2) | instid1(VALU_DEP_3)
	v_min_i32_e32 v10, 31, v8
	v_cmp_gt_i32_e32 vcc_lo, 32, v8
	v_lshrrev_b32_e32 v2, 24, v2
	v_dual_mov_b32 v51, v128 :: v_dual_lshlrev_b32 v10, 2, v10
	s_delay_alu instid0(VALU_DEP_2) | instskip(NEXT) | instid1(VALU_DEP_2)
	v_dual_cndmask_b32 v9, 3, v9 :: v_dual_and_b32 v2, 0x80, v2
	v_and_b32_e32 v10, 0xfc, v10
	s_delay_alu instid0(VALU_DEP_2) | instskip(SKIP_1) | instid1(VALU_DEP_2)
	v_and_b32_e32 v11, 3, v9
	v_or_b32_e32 v8, v8, v9
	v_or3_b32 v2, v2, v10, v11
	s_delay_alu instid0(VALU_DEP_2) | instskip(NEXT) | instid1(VALU_DEP_2)
	v_cmp_ne_u32_e32 vcc_lo, 0, v8
	v_lshlrev_b32_e32 v2, 8, v2
	s_delay_alu instid0(VALU_DEP_1)
	v_cndmask_b32_e32 v73, 0, v2, vcc_lo
.LBB6_728:                              ;   in Loop: Header=BB6_144 Depth=3
	s_or_b32 exec_lo, exec_lo, s36
.LBB6_729:                              ;   in Loop: Header=BB6_144 Depth=3
	s_delay_alu instid0(SALU_CYCLE_1)
	s_or_b32 exec_lo, exec_lo, s35
	global_load_b128 v[8:11], v[20:21], off offset:1536 slc dlc
	s_mov_b32 s13, 0
	s_mov_b32 s36, exec_lo
                                        ; implicit-def: $sgpr35
	s_waitcnt vmcnt(0)
	v_and_b32_e32 v26, 0xff, v8
	s_delay_alu instid0(VALU_DEP_1)
	v_cmpx_lt_i16_e32 0x7f, v26
	s_xor_b32 s36, exec_lo, s36
	s_cbranch_execnz .LBB6_1879
; %bb.730:                              ;   in Loop: Header=BB6_144 Depth=3
	s_or_saveexec_b32 s36, s36
	v_mov_b32_e32 v2, s35
	s_xor_b32 exec_lo, exec_lo, s36
	s_cbranch_execnz .LBB6_1882
.LBB6_731:                              ;   in Loop: Header=BB6_144 Depth=3
	s_or_b32 exec_lo, exec_lo, s36
	s_and_saveexec_b32 s35, s13
	s_cbranch_execz .LBB6_733
.LBB6_732:                              ;   in Loop: Header=BB6_144 Depth=3
	v_and_b32_e32 v2, 3, v8
	v_bfe_u32 v36, v8, 2, 5
	s_delay_alu instid0(VALU_DEP_2) | instskip(NEXT) | instid1(VALU_DEP_2)
	v_clz_i32_u32_e32 v26, v2
	v_cmp_eq_u32_e32 vcc_lo, 0, v36
	s_delay_alu instid0(VALU_DEP_2) | instskip(NEXT) | instid1(VALU_DEP_1)
	v_min_u32_e32 v26, 32, v26
	v_subrev_nc_u32_e32 v27, 29, v26
	v_sub_nc_u32_e32 v26, 30, v26
	s_delay_alu instid0(VALU_DEP_1) | instskip(NEXT) | instid1(VALU_DEP_1)
	v_dual_cndmask_b32 v26, v36, v26 :: v_dual_lshlrev_b32 v27, v27, v8
	v_and_b32_e32 v27, 3, v27
	v_lshlrev_b32_e32 v37, 24, v8
	s_delay_alu instid0(VALU_DEP_3) | instskip(NEXT) | instid1(VALU_DEP_2)
	v_lshl_add_u32 v26, v26, 23, 0x37800000
	v_dual_cndmask_b32 v2, v2, v27 :: v_dual_and_b32 v27, 0x80000000, v37
	s_delay_alu instid0(VALU_DEP_1) | instskip(NEXT) | instid1(VALU_DEP_1)
	v_lshlrev_b32_e32 v2, 21, v2
	v_or3_b32 v2, v27, v26, v2
.LBB6_733:                              ;   in Loop: Header=BB6_144 Depth=3
	s_or_b32 exec_lo, exec_lo, s35
	s_delay_alu instid0(VALU_DEP_1) | instskip(SKIP_2) | instid1(VALU_DEP_2)
	v_mul_f32_e32 v2, s34, v2
	v_mov_b32_e32 v52, 0x80
	s_mov_b32 s35, exec_lo
	v_and_b32_e32 v26, 0x7f800000, v2
	s_delay_alu instid0(VALU_DEP_1)
	v_cmpx_ne_u32_e32 0x7f800000, v26
	s_cbranch_execz .LBB6_741
; %bb.734:                              ;   in Loop: Header=BB6_144 Depth=3
	v_mov_b32_e32 v52, 0
	s_mov_b32 s36, exec_lo
	v_cmpx_ne_u32_e32 0, v2
	s_cbranch_execz .LBB6_740
; %bb.735:                              ;   in Loop: Header=BB6_144 Depth=3
	v_bfe_u32 v26, v2, 23, 8
	s_delay_alu instid0(VALU_DEP_1) | instskip(SKIP_1) | instid1(VALU_DEP_2)
	v_sub_nc_u32_e32 v36, 0x70, v26
	v_cmp_gt_u32_e32 vcc_lo, 0x71, v26
	v_dual_cndmask_b32 v36, 0, v36 :: v_dual_and_b32 v27, 0x7fffff, v2
	s_delay_alu instid0(VALU_DEP_1) | instskip(SKIP_2) | instid1(VALU_DEP_4)
	v_or_b32_e32 v37, 0x800000, v27
	v_cmp_eq_u32_e32 vcc_lo, 0, v26
	v_add_nc_u32_e32 v26, 0xffffff91, v26
	v_cndmask_b32_e64 v36, v36, 0x6f, vcc_lo
	s_delay_alu instid0(VALU_DEP_4) | instskip(NEXT) | instid1(VALU_DEP_3)
	v_cndmask_b32_e32 v27, v37, v27, vcc_lo
	v_cndmask_b32_e64 v26, v26, 0xffffff92, vcc_lo
	s_delay_alu instid0(VALU_DEP_3) | instskip(NEXT) | instid1(VALU_DEP_3)
	v_lshl_add_u32 v37, 0x200000, v36, -1
	v_lshrrev_b32_e32 v38, v36, v27
	v_lshlrev_b32_e64 v48, v36, 0x100000
	s_delay_alu instid0(VALU_DEP_4) | instskip(NEXT) | instid1(VALU_DEP_4)
	v_add_nc_u32_e32 v36, v36, v26
	v_and_b32_e32 v27, v37, v27
	s_delay_alu instid0(VALU_DEP_4) | instskip(NEXT) | instid1(VALU_DEP_2)
	v_bfe_u32 v39, v38, 21, 1
	v_cmp_eq_u32_e64 s13, v27, v48
	s_delay_alu instid0(VALU_DEP_2) | instskip(NEXT) | instid1(VALU_DEP_1)
	v_add_nc_u32_e32 v37, -1, v39
	v_cndmask_b32_e64 v27, 0, v37, s13
	v_lshrrev_b32_e32 v37, 23, v38
	s_mov_b32 s13, exec_lo
	s_delay_alu instid0(VALU_DEP_2) | instskip(NEXT) | instid1(VALU_DEP_2)
	v_add_nc_u32_e32 v27, v27, v38
	v_xor_b32_e32 v37, 1, v37
	s_delay_alu instid0(VALU_DEP_2) | instskip(NEXT) | instid1(VALU_DEP_1)
	v_and_b32_e32 v26, 0x1fffff, v27
	v_add_nc_u32_e32 v27, v26, v38
                                        ; implicit-def: $vgpr26
	s_delay_alu instid0(VALU_DEP_3)
	v_cmpx_ne_u32_e64 v36, v37
	s_xor_b32 s13, exec_lo, s13
; %bb.736:                              ;   in Loop: Header=BB6_144 Depth=3
	s_delay_alu instid0(VALU_DEP_2) | instskip(SKIP_2) | instid1(VALU_DEP_2)
	v_cmp_lt_u32_e32 vcc_lo, 0xffffff, v27
	v_sub_nc_u32_e32 v26, v36, v37
	v_cndmask_b32_e64 v36, 0, 1, vcc_lo
	v_add_co_ci_u32_e32 v26, vcc_lo, 0, v26, vcc_lo
	s_delay_alu instid0(VALU_DEP_2)
	v_lshrrev_b32_e32 v27, v36, v27
; %bb.737:                              ;   in Loop: Header=BB6_144 Depth=3
	s_and_not1_saveexec_b32 s13, s13
; %bb.738:                              ;   in Loop: Header=BB6_144 Depth=3
	s_delay_alu instid0(VALU_DEP_1)
	v_bfe_u32 v26, v27, 23, 1
; %bb.739:                              ;   in Loop: Header=BB6_144 Depth=3
	s_or_b32 exec_lo, exec_lo, s13
	v_lshrrev_b32_e32 v27, 21, v27
	s_delay_alu instid0(VALU_DEP_2) | instskip(SKIP_3) | instid1(VALU_DEP_3)
	v_cmp_gt_i32_e32 vcc_lo, 32, v26
	v_lshrrev_b32_e32 v2, 24, v2
	v_min_i32_e32 v36, 31, v26
	v_mov_b32_e32 v51, v128
	v_dual_cndmask_b32 v27, 3, v27 :: v_dual_and_b32 v2, 0x80, v2
	s_delay_alu instid0(VALU_DEP_3) | instskip(NEXT) | instid1(VALU_DEP_2)
	v_lshlrev_b32_e32 v36, 2, v36
	v_or_b32_e32 v26, v26, v27
	s_delay_alu instid0(VALU_DEP_1) | instskip(SKIP_1) | instid1(VALU_DEP_1)
	v_cmp_ne_u32_e32 vcc_lo, 0, v26
	v_and_b32_e32 v37, 3, v27
	v_or3_b32 v2, v36, v2, v37
	s_delay_alu instid0(VALU_DEP_1)
	v_cndmask_b32_e32 v52, 0, v2, vcc_lo
.LBB6_740:                              ;   in Loop: Header=BB6_144 Depth=3
	s_or_b32 exec_lo, exec_lo, s36
.LBB6_741:                              ;   in Loop: Header=BB6_144 Depth=3
	s_delay_alu instid0(SALU_CYCLE_1) | instskip(SKIP_3) | instid1(VALU_DEP_1)
	s_or_b32 exec_lo, exec_lo, s35
	v_lshrrev_b16 v2, 8, v8
	s_mov_b32 s13, 0
	s_mov_b32 s36, exec_lo
                                        ; implicit-def: $sgpr35
	v_cmpx_lt_i16_e32 0x7f, v2
	s_xor_b32 s36, exec_lo, s36
	s_cbranch_execnz .LBB6_1883
; %bb.742:                              ;   in Loop: Header=BB6_144 Depth=3
	s_or_saveexec_b32 s36, s36
	v_mov_b32_e32 v26, s35
	s_xor_b32 exec_lo, exec_lo, s36
	s_cbranch_execnz .LBB6_1886
.LBB6_743:                              ;   in Loop: Header=BB6_144 Depth=3
	s_or_b32 exec_lo, exec_lo, s36
	s_and_saveexec_b32 s35, s13
	s_cbranch_execz .LBB6_745
.LBB6_744:                              ;   in Loop: Header=BB6_144 Depth=3
	v_and_b32_e32 v26, 0xffff, v2
	v_lshlrev_b32_e32 v2, 24, v2
	s_delay_alu instid0(VALU_DEP_2) | instskip(NEXT) | instid1(VALU_DEP_2)
	v_and_b32_e32 v27, 3, v26
	v_and_b32_e32 v2, 0x80000000, v2
	s_delay_alu instid0(VALU_DEP_2) | instskip(NEXT) | instid1(VALU_DEP_1)
	v_clz_i32_u32_e32 v36, v27
	v_min_u32_e32 v36, 32, v36
	s_delay_alu instid0(VALU_DEP_1) | instskip(SKIP_1) | instid1(VALU_DEP_2)
	v_subrev_nc_u32_e32 v37, 29, v36
	v_sub_nc_u32_e32 v36, 30, v36
	v_lshlrev_b32_e32 v37, v37, v26
	v_bfe_u32 v26, v26, 2, 5
	s_delay_alu instid0(VALU_DEP_2) | instskip(NEXT) | instid1(VALU_DEP_2)
	v_and_b32_e32 v37, 3, v37
	v_cmp_eq_u32_e32 vcc_lo, 0, v26
	s_delay_alu instid0(VALU_DEP_2) | instskip(NEXT) | instid1(VALU_DEP_1)
	v_dual_cndmask_b32 v26, v26, v36 :: v_dual_cndmask_b32 v27, v27, v37
	v_lshl_add_u32 v26, v26, 23, 0x37800000
	s_delay_alu instid0(VALU_DEP_2) | instskip(NEXT) | instid1(VALU_DEP_1)
	v_lshlrev_b32_e32 v27, 21, v27
	v_or3_b32 v26, v2, v26, v27
.LBB6_745:                              ;   in Loop: Header=BB6_144 Depth=3
	s_or_b32 exec_lo, exec_lo, s35
	s_delay_alu instid0(VALU_DEP_1) | instskip(SKIP_2) | instid1(VALU_DEP_2)
	v_mul_f32_e32 v2, s34, v26
	v_mov_b32_e32 v70, 0x80
	s_mov_b32 s35, exec_lo
	v_and_b32_e32 v26, 0x7f800000, v2
	s_delay_alu instid0(VALU_DEP_1)
	v_cmpx_ne_u32_e32 0x7f800000, v26
	s_cbranch_execz .LBB6_753
; %bb.746:                              ;   in Loop: Header=BB6_144 Depth=3
	v_mov_b32_e32 v70, 0
	s_mov_b32 s36, exec_lo
	v_cmpx_ne_u32_e32 0, v2
	s_cbranch_execz .LBB6_752
; %bb.747:                              ;   in Loop: Header=BB6_144 Depth=3
	v_bfe_u32 v26, v2, 23, 8
	s_delay_alu instid0(VALU_DEP_1) | instskip(SKIP_1) | instid1(VALU_DEP_2)
	v_sub_nc_u32_e32 v36, 0x70, v26
	v_cmp_gt_u32_e32 vcc_lo, 0x71, v26
	v_dual_cndmask_b32 v36, 0, v36 :: v_dual_and_b32 v27, 0x7fffff, v2
	s_delay_alu instid0(VALU_DEP_1) | instskip(SKIP_2) | instid1(VALU_DEP_4)
	v_or_b32_e32 v37, 0x800000, v27
	v_cmp_eq_u32_e32 vcc_lo, 0, v26
	v_add_nc_u32_e32 v26, 0xffffff91, v26
	v_cndmask_b32_e64 v36, v36, 0x6f, vcc_lo
	s_delay_alu instid0(VALU_DEP_4) | instskip(NEXT) | instid1(VALU_DEP_3)
	v_cndmask_b32_e32 v27, v37, v27, vcc_lo
	v_cndmask_b32_e64 v26, v26, 0xffffff92, vcc_lo
	s_delay_alu instid0(VALU_DEP_3) | instskip(NEXT) | instid1(VALU_DEP_3)
	v_lshl_add_u32 v37, 0x200000, v36, -1
	v_lshrrev_b32_e32 v38, v36, v27
	v_lshlrev_b32_e64 v48, v36, 0x100000
	s_delay_alu instid0(VALU_DEP_4) | instskip(NEXT) | instid1(VALU_DEP_4)
	v_add_nc_u32_e32 v36, v36, v26
	v_and_b32_e32 v27, v37, v27
	s_delay_alu instid0(VALU_DEP_4) | instskip(NEXT) | instid1(VALU_DEP_2)
	v_bfe_u32 v39, v38, 21, 1
	v_cmp_eq_u32_e64 s13, v27, v48
	s_delay_alu instid0(VALU_DEP_2) | instskip(NEXT) | instid1(VALU_DEP_1)
	v_add_nc_u32_e32 v37, -1, v39
	v_cndmask_b32_e64 v27, 0, v37, s13
	v_lshrrev_b32_e32 v37, 23, v38
	s_mov_b32 s13, exec_lo
	s_delay_alu instid0(VALU_DEP_2) | instskip(NEXT) | instid1(VALU_DEP_2)
	v_add_nc_u32_e32 v27, v27, v38
	v_xor_b32_e32 v37, 1, v37
	s_delay_alu instid0(VALU_DEP_2) | instskip(NEXT) | instid1(VALU_DEP_1)
	v_and_b32_e32 v26, 0x1fffff, v27
	v_add_nc_u32_e32 v27, v26, v38
                                        ; implicit-def: $vgpr26
	s_delay_alu instid0(VALU_DEP_3)
	v_cmpx_ne_u32_e64 v36, v37
	s_xor_b32 s13, exec_lo, s13
; %bb.748:                              ;   in Loop: Header=BB6_144 Depth=3
	s_delay_alu instid0(VALU_DEP_2) | instskip(SKIP_2) | instid1(VALU_DEP_2)
	v_cmp_lt_u32_e32 vcc_lo, 0xffffff, v27
	v_sub_nc_u32_e32 v26, v36, v37
	v_cndmask_b32_e64 v36, 0, 1, vcc_lo
	v_add_co_ci_u32_e32 v26, vcc_lo, 0, v26, vcc_lo
	s_delay_alu instid0(VALU_DEP_2)
	v_lshrrev_b32_e32 v27, v36, v27
; %bb.749:                              ;   in Loop: Header=BB6_144 Depth=3
	s_and_not1_saveexec_b32 s13, s13
; %bb.750:                              ;   in Loop: Header=BB6_144 Depth=3
	s_delay_alu instid0(VALU_DEP_1)
	v_bfe_u32 v26, v27, 23, 1
; %bb.751:                              ;   in Loop: Header=BB6_144 Depth=3
	s_or_b32 exec_lo, exec_lo, s13
	v_lshrrev_b32_e32 v27, 21, v27
	s_delay_alu instid0(VALU_DEP_2) | instskip(SKIP_3) | instid1(VALU_DEP_3)
	v_cmp_gt_i32_e32 vcc_lo, 32, v26
	v_lshrrev_b32_e32 v2, 24, v2
	v_min_i32_e32 v36, 31, v26
	v_mov_b32_e32 v51, v128
	v_dual_cndmask_b32 v27, 3, v27 :: v_dual_and_b32 v2, 0x80, v2
	s_delay_alu instid0(VALU_DEP_3) | instskip(NEXT) | instid1(VALU_DEP_2)
	v_lshlrev_b32_e32 v36, 2, v36
	v_or_b32_e32 v26, v26, v27
	s_delay_alu instid0(VALU_DEP_1) | instskip(SKIP_1) | instid1(VALU_DEP_1)
	v_cmp_ne_u32_e32 vcc_lo, 0, v26
	v_and_b32_e32 v37, 3, v27
	v_or3_b32 v2, v36, v2, v37
	s_delay_alu instid0(VALU_DEP_1)
	v_cndmask_b32_e32 v70, 0, v2, vcc_lo
.LBB6_752:                              ;   in Loop: Header=BB6_144 Depth=3
	s_or_b32 exec_lo, exec_lo, s36
.LBB6_753:                              ;   in Loop: Header=BB6_144 Depth=3
	s_delay_alu instid0(SALU_CYCLE_1) | instskip(SKIP_3) | instid1(VALU_DEP_1)
	s_or_b32 exec_lo, exec_lo, s35
	v_lshrrev_b32_e32 v2, 16, v8
	s_mov_b32 s13, 0
	s_mov_b32 s36, exec_lo
                                        ; implicit-def: $sgpr35
	v_and_b32_e32 v27, 0xff, v2
	s_delay_alu instid0(VALU_DEP_1)
	v_cmpx_lt_i16_e32 0x7f, v27
	s_xor_b32 s36, exec_lo, s36
	s_cbranch_execnz .LBB6_1887
; %bb.754:                              ;   in Loop: Header=BB6_144 Depth=3
	s_or_saveexec_b32 s36, s36
	v_mov_b32_e32 v26, s35
	s_xor_b32 exec_lo, exec_lo, s36
	s_cbranch_execnz .LBB6_1890
.LBB6_755:                              ;   in Loop: Header=BB6_144 Depth=3
	s_or_b32 exec_lo, exec_lo, s36
	s_and_saveexec_b32 s35, s13
	s_cbranch_execz .LBB6_757
.LBB6_756:                              ;   in Loop: Header=BB6_144 Depth=3
	v_bfe_u32 v26, v8, 16, 2
	s_delay_alu instid0(VALU_DEP_1) | instskip(NEXT) | instid1(VALU_DEP_1)
	v_clz_i32_u32_e32 v27, v26
	v_min_u32_e32 v27, 32, v27
	s_delay_alu instid0(VALU_DEP_1) | instskip(SKIP_1) | instid1(VALU_DEP_2)
	v_subrev_nc_u32_e32 v36, 29, v27
	v_sub_nc_u32_e32 v27, 30, v27
	v_lshlrev_b32_e32 v2, v36, v2
	v_bfe_u32 v36, v8, 18, 5
	s_delay_alu instid0(VALU_DEP_1) | instskip(NEXT) | instid1(VALU_DEP_3)
	v_cmp_eq_u32_e32 vcc_lo, 0, v36
	v_dual_cndmask_b32 v27, v36, v27 :: v_dual_and_b32 v2, 3, v2
	s_delay_alu instid0(VALU_DEP_1) | instskip(NEXT) | instid1(VALU_DEP_2)
	v_dual_cndmask_b32 v2, v26, v2 :: v_dual_lshlrev_b32 v37, 8, v8
	v_lshl_add_u32 v27, v27, 23, 0x37800000
	s_delay_alu instid0(VALU_DEP_2) | instskip(NEXT) | instid1(VALU_DEP_3)
	v_and_b32_e32 v26, 0x80000000, v37
	v_lshlrev_b32_e32 v2, 21, v2
	s_delay_alu instid0(VALU_DEP_1)
	v_or3_b32 v26, v26, v27, v2
.LBB6_757:                              ;   in Loop: Header=BB6_144 Depth=3
	s_or_b32 exec_lo, exec_lo, s35
	s_delay_alu instid0(VALU_DEP_1) | instskip(SKIP_1) | instid1(VALU_DEP_1)
	v_dual_mul_f32 v2, s34, v26 :: v_dual_mov_b32 v71, 0x80
	s_mov_b32 s35, exec_lo
	v_and_b32_e32 v26, 0x7f800000, v2
	s_delay_alu instid0(VALU_DEP_1)
	v_cmpx_ne_u32_e32 0x7f800000, v26
	s_cbranch_execz .LBB6_765
; %bb.758:                              ;   in Loop: Header=BB6_144 Depth=3
	v_mov_b32_e32 v71, 0
	s_mov_b32 s36, exec_lo
	v_cmpx_ne_u32_e32 0, v2
	s_cbranch_execz .LBB6_764
; %bb.759:                              ;   in Loop: Header=BB6_144 Depth=3
	v_bfe_u32 v26, v2, 23, 8
	s_delay_alu instid0(VALU_DEP_1) | instskip(SKIP_1) | instid1(VALU_DEP_2)
	v_sub_nc_u32_e32 v36, 0x70, v26
	v_cmp_gt_u32_e32 vcc_lo, 0x71, v26
	v_dual_cndmask_b32 v36, 0, v36 :: v_dual_and_b32 v27, 0x7fffff, v2
	s_delay_alu instid0(VALU_DEP_1) | instskip(SKIP_2) | instid1(VALU_DEP_4)
	v_or_b32_e32 v37, 0x800000, v27
	v_cmp_eq_u32_e32 vcc_lo, 0, v26
	v_add_nc_u32_e32 v26, 0xffffff91, v26
	v_cndmask_b32_e64 v36, v36, 0x6f, vcc_lo
	s_delay_alu instid0(VALU_DEP_4) | instskip(NEXT) | instid1(VALU_DEP_3)
	v_cndmask_b32_e32 v27, v37, v27, vcc_lo
	v_cndmask_b32_e64 v26, v26, 0xffffff92, vcc_lo
	s_delay_alu instid0(VALU_DEP_3) | instskip(NEXT) | instid1(VALU_DEP_3)
	v_lshl_add_u32 v37, 0x200000, v36, -1
	v_lshrrev_b32_e32 v38, v36, v27
	v_lshlrev_b32_e64 v48, v36, 0x100000
	s_delay_alu instid0(VALU_DEP_4) | instskip(NEXT) | instid1(VALU_DEP_4)
	v_add_nc_u32_e32 v36, v36, v26
	v_and_b32_e32 v27, v37, v27
	s_delay_alu instid0(VALU_DEP_4) | instskip(NEXT) | instid1(VALU_DEP_2)
	v_bfe_u32 v39, v38, 21, 1
	v_cmp_eq_u32_e64 s13, v27, v48
	s_delay_alu instid0(VALU_DEP_2) | instskip(NEXT) | instid1(VALU_DEP_1)
	v_add_nc_u32_e32 v37, -1, v39
	v_cndmask_b32_e64 v27, 0, v37, s13
	v_lshrrev_b32_e32 v37, 23, v38
	s_mov_b32 s13, exec_lo
	s_delay_alu instid0(VALU_DEP_2) | instskip(NEXT) | instid1(VALU_DEP_2)
	v_add_nc_u32_e32 v27, v27, v38
	v_xor_b32_e32 v37, 1, v37
	s_delay_alu instid0(VALU_DEP_2) | instskip(NEXT) | instid1(VALU_DEP_1)
	v_and_b32_e32 v26, 0x1fffff, v27
	v_add_nc_u32_e32 v27, v26, v38
                                        ; implicit-def: $vgpr26
	s_delay_alu instid0(VALU_DEP_3)
	v_cmpx_ne_u32_e64 v36, v37
	s_xor_b32 s13, exec_lo, s13
; %bb.760:                              ;   in Loop: Header=BB6_144 Depth=3
	s_delay_alu instid0(VALU_DEP_2) | instskip(SKIP_2) | instid1(VALU_DEP_2)
	v_cmp_lt_u32_e32 vcc_lo, 0xffffff, v27
	v_sub_nc_u32_e32 v26, v36, v37
	v_cndmask_b32_e64 v36, 0, 1, vcc_lo
	v_add_co_ci_u32_e32 v26, vcc_lo, 0, v26, vcc_lo
	s_delay_alu instid0(VALU_DEP_2)
	v_lshrrev_b32_e32 v27, v36, v27
; %bb.761:                              ;   in Loop: Header=BB6_144 Depth=3
	s_and_not1_saveexec_b32 s13, s13
; %bb.762:                              ;   in Loop: Header=BB6_144 Depth=3
	s_delay_alu instid0(VALU_DEP_1)
	v_bfe_u32 v26, v27, 23, 1
; %bb.763:                              ;   in Loop: Header=BB6_144 Depth=3
	s_or_b32 exec_lo, exec_lo, s13
	v_lshrrev_b32_e32 v27, 21, v27
	s_delay_alu instid0(VALU_DEP_2) | instskip(SKIP_3) | instid1(VALU_DEP_3)
	v_cmp_gt_i32_e32 vcc_lo, 32, v26
	v_lshrrev_b32_e32 v2, 24, v2
	v_min_i32_e32 v36, 31, v26
	v_mov_b32_e32 v51, v128
	v_dual_cndmask_b32 v27, 3, v27 :: v_dual_and_b32 v2, 0x80, v2
	s_delay_alu instid0(VALU_DEP_1) | instskip(SKIP_1) | instid1(VALU_DEP_2)
	v_or_b32_e32 v26, v26, v27
	v_and_b32_e32 v37, 3, v27
	v_cmp_ne_u32_e32 vcc_lo, 0, v26
	v_lshlrev_b32_e32 v36, 2, v36
	s_delay_alu instid0(VALU_DEP_1) | instskip(NEXT) | instid1(VALU_DEP_1)
	v_or3_b32 v2, v36, v2, v37
	v_cndmask_b32_e32 v71, 0, v2, vcc_lo
.LBB6_764:                              ;   in Loop: Header=BB6_144 Depth=3
	s_or_b32 exec_lo, exec_lo, s36
.LBB6_765:                              ;   in Loop: Header=BB6_144 Depth=3
	s_delay_alu instid0(SALU_CYCLE_1) | instskip(SKIP_3) | instid1(VALU_DEP_1)
	s_or_b32 exec_lo, exec_lo, s35
	v_lshrrev_b32_e32 v2, 24, v8
	s_mov_b32 s13, 0
	s_mov_b32 s36, exec_lo
                                        ; implicit-def: $sgpr35
	v_cmpx_lt_i16_e32 0x7f, v2
	s_xor_b32 s36, exec_lo, s36
	s_cbranch_execnz .LBB6_1891
; %bb.766:                              ;   in Loop: Header=BB6_144 Depth=3
	s_or_saveexec_b32 s36, s36
	v_mov_b32_e32 v26, s35
	s_xor_b32 exec_lo, exec_lo, s36
	s_cbranch_execnz .LBB6_1894
.LBB6_767:                              ;   in Loop: Header=BB6_144 Depth=3
	s_or_b32 exec_lo, exec_lo, s36
	s_and_saveexec_b32 s35, s13
	s_cbranch_execz .LBB6_769
.LBB6_768:                              ;   in Loop: Header=BB6_144 Depth=3
	v_bfe_u32 v26, v8, 24, 2
	s_delay_alu instid0(VALU_DEP_1) | instskip(NEXT) | instid1(VALU_DEP_1)
	v_clz_i32_u32_e32 v27, v26
	v_min_u32_e32 v27, 32, v27
	s_delay_alu instid0(VALU_DEP_1) | instskip(SKIP_1) | instid1(VALU_DEP_2)
	v_subrev_nc_u32_e32 v36, 29, v27
	v_sub_nc_u32_e32 v27, 30, v27
	v_lshlrev_b32_e32 v2, v36, v2
	v_bfe_u32 v36, v8, 26, 5
	v_and_b32_e32 v8, 0x80000000, v8
	s_delay_alu instid0(VALU_DEP_2) | instskip(NEXT) | instid1(VALU_DEP_4)
	v_cmp_eq_u32_e32 vcc_lo, 0, v36
	v_dual_cndmask_b32 v27, v36, v27 :: v_dual_and_b32 v2, 3, v2
	s_delay_alu instid0(VALU_DEP_1) | instskip(NEXT) | instid1(VALU_DEP_2)
	v_cndmask_b32_e32 v2, v26, v2, vcc_lo
	v_lshl_add_u32 v26, v27, 23, 0x37800000
	s_delay_alu instid0(VALU_DEP_2) | instskip(NEXT) | instid1(VALU_DEP_1)
	v_lshlrev_b32_e32 v2, 21, v2
	v_or3_b32 v26, v8, v26, v2
.LBB6_769:                              ;   in Loop: Header=BB6_144 Depth=3
	s_or_b32 exec_lo, exec_lo, s35
	s_delay_alu instid0(VALU_DEP_1) | instskip(SKIP_2) | instid1(VALU_DEP_2)
	v_mul_f32_e32 v2, s34, v26
	v_mov_b32_e32 v80, 0x80
	s_mov_b32 s35, exec_lo
	v_and_b32_e32 v8, 0x7f800000, v2
	s_delay_alu instid0(VALU_DEP_1)
	v_cmpx_ne_u32_e32 0x7f800000, v8
	s_cbranch_execz .LBB6_777
; %bb.770:                              ;   in Loop: Header=BB6_144 Depth=3
	v_mov_b32_e32 v80, 0
	s_mov_b32 s36, exec_lo
	v_cmpx_ne_u32_e32 0, v2
	s_cbranch_execz .LBB6_776
; %bb.771:                              ;   in Loop: Header=BB6_144 Depth=3
	v_bfe_u32 v8, v2, 23, 8
	s_delay_alu instid0(VALU_DEP_1) | instskip(SKIP_1) | instid1(VALU_DEP_2)
	v_sub_nc_u32_e32 v27, 0x70, v8
	v_cmp_gt_u32_e32 vcc_lo, 0x71, v8
	v_dual_cndmask_b32 v27, 0, v27 :: v_dual_and_b32 v26, 0x7fffff, v2
	s_delay_alu instid0(VALU_DEP_1) | instskip(SKIP_2) | instid1(VALU_DEP_4)
	v_or_b32_e32 v36, 0x800000, v26
	v_cmp_eq_u32_e32 vcc_lo, 0, v8
	v_add_nc_u32_e32 v8, 0xffffff91, v8
	v_cndmask_b32_e64 v27, v27, 0x6f, vcc_lo
	s_delay_alu instid0(VALU_DEP_2) | instskip(SKIP_1) | instid1(VALU_DEP_3)
	v_cndmask_b32_e64 v8, v8, 0xffffff92, vcc_lo
	v_cndmask_b32_e32 v26, v36, v26, vcc_lo
	v_lshl_add_u32 v36, 0x200000, v27, -1
	v_lshlrev_b32_e64 v39, v27, 0x100000
	s_delay_alu instid0(VALU_DEP_3) | instskip(SKIP_1) | instid1(VALU_DEP_4)
	v_lshrrev_b32_e32 v37, v27, v26
	v_add_nc_u32_e32 v27, v27, v8
	v_and_b32_e32 v26, v36, v26
	s_delay_alu instid0(VALU_DEP_3) | instskip(NEXT) | instid1(VALU_DEP_2)
	v_bfe_u32 v38, v37, 21, 1
	v_cmp_eq_u32_e64 s13, v26, v39
	s_delay_alu instid0(VALU_DEP_2) | instskip(NEXT) | instid1(VALU_DEP_1)
	v_add_nc_u32_e32 v36, -1, v38
	v_cndmask_b32_e64 v26, 0, v36, s13
	v_lshrrev_b32_e32 v36, 23, v37
	s_mov_b32 s13, exec_lo
	s_delay_alu instid0(VALU_DEP_2) | instskip(NEXT) | instid1(VALU_DEP_2)
	v_add_nc_u32_e32 v26, v26, v37
	v_xor_b32_e32 v36, 1, v36
	s_delay_alu instid0(VALU_DEP_2) | instskip(NEXT) | instid1(VALU_DEP_1)
	v_and_b32_e32 v8, 0x1fffff, v26
	v_add_nc_u32_e32 v26, v8, v37
                                        ; implicit-def: $vgpr8
	s_delay_alu instid0(VALU_DEP_3)
	v_cmpx_ne_u32_e64 v27, v36
	s_xor_b32 s13, exec_lo, s13
; %bb.772:                              ;   in Loop: Header=BB6_144 Depth=3
	s_delay_alu instid0(VALU_DEP_2) | instskip(SKIP_2) | instid1(VALU_DEP_2)
	v_cmp_lt_u32_e32 vcc_lo, 0xffffff, v26
	v_sub_nc_u32_e32 v8, v27, v36
	v_cndmask_b32_e64 v27, 0, 1, vcc_lo
	v_add_co_ci_u32_e32 v8, vcc_lo, 0, v8, vcc_lo
	s_delay_alu instid0(VALU_DEP_2)
	v_lshrrev_b32_e32 v26, v27, v26
; %bb.773:                              ;   in Loop: Header=BB6_144 Depth=3
	s_and_not1_saveexec_b32 s13, s13
; %bb.774:                              ;   in Loop: Header=BB6_144 Depth=3
	s_delay_alu instid0(VALU_DEP_1)
	v_bfe_u32 v8, v26, 23, 1
; %bb.775:                              ;   in Loop: Header=BB6_144 Depth=3
	s_or_b32 exec_lo, exec_lo, s13
	v_lshrrev_b32_e32 v26, 21, v26
	s_delay_alu instid0(VALU_DEP_2) | instskip(SKIP_2) | instid1(VALU_DEP_4)
	v_cmp_gt_i32_e32 vcc_lo, 32, v8
	v_lshrrev_b32_e32 v2, 24, v2
	v_min_i32_e32 v27, 31, v8
	v_dual_mov_b32 v51, v128 :: v_dual_cndmask_b32 v26, 3, v26
	s_delay_alu instid0(VALU_DEP_3) | instskip(NEXT) | instid1(VALU_DEP_3)
	v_and_b32_e32 v2, 0x80, v2
	v_lshlrev_b32_e32 v27, 2, v27
	s_delay_alu instid0(VALU_DEP_3) | instskip(SKIP_1) | instid1(VALU_DEP_2)
	v_and_b32_e32 v36, 3, v26
	v_or_b32_e32 v8, v8, v26
	v_or3_b32 v2, v27, v2, v36
	s_delay_alu instid0(VALU_DEP_2) | instskip(NEXT) | instid1(VALU_DEP_2)
	v_cmp_ne_u32_e32 vcc_lo, 0, v8
	v_cndmask_b32_e32 v80, 0, v2, vcc_lo
.LBB6_776:                              ;   in Loop: Header=BB6_144 Depth=3
	s_or_b32 exec_lo, exec_lo, s36
.LBB6_777:                              ;   in Loop: Header=BB6_144 Depth=3
	s_delay_alu instid0(SALU_CYCLE_1) | instskip(SKIP_3) | instid1(VALU_DEP_1)
	s_or_b32 exec_lo, exec_lo, s35
	v_and_b32_e32 v8, 0xff, v9
	s_mov_b32 s13, 0
	s_mov_b32 s36, exec_lo
                                        ; implicit-def: $sgpr35
	v_cmpx_lt_i16_e32 0x7f, v8
	s_xor_b32 s36, exec_lo, s36
	s_cbranch_execnz .LBB6_1895
; %bb.778:                              ;   in Loop: Header=BB6_144 Depth=3
	s_or_saveexec_b32 s36, s36
	v_mov_b32_e32 v2, s35
	s_xor_b32 exec_lo, exec_lo, s36
	s_cbranch_execnz .LBB6_1898
.LBB6_779:                              ;   in Loop: Header=BB6_144 Depth=3
	s_or_b32 exec_lo, exec_lo, s36
	s_and_saveexec_b32 s35, s13
	s_cbranch_execz .LBB6_781
.LBB6_780:                              ;   in Loop: Header=BB6_144 Depth=3
	v_and_b32_e32 v2, 3, v9
	v_bfe_u32 v27, v9, 2, 5
	v_lshlrev_b32_e32 v36, 24, v9
	s_delay_alu instid0(VALU_DEP_3) | instskip(NEXT) | instid1(VALU_DEP_3)
	v_clz_i32_u32_e32 v8, v2
	v_cmp_eq_u32_e32 vcc_lo, 0, v27
	s_delay_alu instid0(VALU_DEP_2) | instskip(NEXT) | instid1(VALU_DEP_1)
	v_min_u32_e32 v8, 32, v8
	v_subrev_nc_u32_e32 v26, 29, v8
	v_sub_nc_u32_e32 v8, 30, v8
	s_delay_alu instid0(VALU_DEP_2) | instskip(NEXT) | instid1(VALU_DEP_2)
	v_lshlrev_b32_e32 v26, v26, v9
	v_cndmask_b32_e32 v8, v27, v8, vcc_lo
	s_delay_alu instid0(VALU_DEP_2) | instskip(NEXT) | instid1(VALU_DEP_2)
	v_and_b32_e32 v26, 3, v26
	v_lshl_add_u32 v8, v8, 23, 0x37800000
	s_delay_alu instid0(VALU_DEP_2) | instskip(SKIP_1) | instid1(VALU_DEP_2)
	v_cndmask_b32_e32 v2, v2, v26, vcc_lo
	v_and_b32_e32 v26, 0x80000000, v36
	v_lshlrev_b32_e32 v2, 21, v2
	s_delay_alu instid0(VALU_DEP_1)
	v_or3_b32 v2, v26, v8, v2
.LBB6_781:                              ;   in Loop: Header=BB6_144 Depth=3
	s_or_b32 exec_lo, exec_lo, s35
	s_delay_alu instid0(VALU_DEP_1) | instskip(SKIP_1) | instid1(VALU_DEP_1)
	v_dual_mul_f32 v2, s34, v2 :: v_dual_mov_b32 v81, 0x80
	s_mov_b32 s35, exec_lo
	v_and_b32_e32 v8, 0x7f800000, v2
	s_delay_alu instid0(VALU_DEP_1)
	v_cmpx_ne_u32_e32 0x7f800000, v8
	s_cbranch_execz .LBB6_789
; %bb.782:                              ;   in Loop: Header=BB6_144 Depth=3
	v_mov_b32_e32 v81, 0
	s_mov_b32 s36, exec_lo
	v_cmpx_ne_u32_e32 0, v2
	s_cbranch_execz .LBB6_788
; %bb.783:                              ;   in Loop: Header=BB6_144 Depth=3
	v_bfe_u32 v8, v2, 23, 8
	s_delay_alu instid0(VALU_DEP_1) | instskip(SKIP_1) | instid1(VALU_DEP_2)
	v_sub_nc_u32_e32 v27, 0x70, v8
	v_cmp_gt_u32_e32 vcc_lo, 0x71, v8
	v_dual_cndmask_b32 v27, 0, v27 :: v_dual_and_b32 v26, 0x7fffff, v2
	s_delay_alu instid0(VALU_DEP_1) | instskip(SKIP_2) | instid1(VALU_DEP_4)
	v_or_b32_e32 v36, 0x800000, v26
	v_cmp_eq_u32_e32 vcc_lo, 0, v8
	v_add_nc_u32_e32 v8, 0xffffff91, v8
	v_cndmask_b32_e64 v27, v27, 0x6f, vcc_lo
	s_delay_alu instid0(VALU_DEP_2) | instskip(SKIP_1) | instid1(VALU_DEP_3)
	v_cndmask_b32_e64 v8, v8, 0xffffff92, vcc_lo
	v_cndmask_b32_e32 v26, v36, v26, vcc_lo
	v_lshl_add_u32 v36, 0x200000, v27, -1
	v_lshlrev_b32_e64 v39, v27, 0x100000
	s_delay_alu instid0(VALU_DEP_3) | instskip(SKIP_1) | instid1(VALU_DEP_4)
	v_lshrrev_b32_e32 v37, v27, v26
	v_add_nc_u32_e32 v27, v27, v8
	v_and_b32_e32 v26, v36, v26
	s_delay_alu instid0(VALU_DEP_3) | instskip(NEXT) | instid1(VALU_DEP_2)
	v_bfe_u32 v38, v37, 21, 1
	v_cmp_eq_u32_e64 s13, v26, v39
	s_delay_alu instid0(VALU_DEP_2) | instskip(NEXT) | instid1(VALU_DEP_1)
	v_add_nc_u32_e32 v36, -1, v38
	v_cndmask_b32_e64 v26, 0, v36, s13
	v_lshrrev_b32_e32 v36, 23, v37
	s_mov_b32 s13, exec_lo
	s_delay_alu instid0(VALU_DEP_2) | instskip(NEXT) | instid1(VALU_DEP_2)
	v_add_nc_u32_e32 v26, v26, v37
	v_xor_b32_e32 v36, 1, v36
	s_delay_alu instid0(VALU_DEP_2) | instskip(NEXT) | instid1(VALU_DEP_1)
	v_and_b32_e32 v8, 0x1fffff, v26
	v_add_nc_u32_e32 v26, v8, v37
                                        ; implicit-def: $vgpr8
	s_delay_alu instid0(VALU_DEP_3)
	v_cmpx_ne_u32_e64 v27, v36
	s_xor_b32 s13, exec_lo, s13
; %bb.784:                              ;   in Loop: Header=BB6_144 Depth=3
	s_delay_alu instid0(VALU_DEP_2) | instskip(SKIP_2) | instid1(VALU_DEP_2)
	v_cmp_lt_u32_e32 vcc_lo, 0xffffff, v26
	v_sub_nc_u32_e32 v8, v27, v36
	v_cndmask_b32_e64 v27, 0, 1, vcc_lo
	v_add_co_ci_u32_e32 v8, vcc_lo, 0, v8, vcc_lo
	s_delay_alu instid0(VALU_DEP_2)
	v_lshrrev_b32_e32 v26, v27, v26
; %bb.785:                              ;   in Loop: Header=BB6_144 Depth=3
	s_and_not1_saveexec_b32 s13, s13
; %bb.786:                              ;   in Loop: Header=BB6_144 Depth=3
	s_delay_alu instid0(VALU_DEP_1)
	v_bfe_u32 v8, v26, 23, 1
; %bb.787:                              ;   in Loop: Header=BB6_144 Depth=3
	s_or_b32 exec_lo, exec_lo, s13
	v_lshrrev_b32_e32 v26, 21, v26
	s_delay_alu instid0(VALU_DEP_2) | instskip(SKIP_3) | instid1(VALU_DEP_4)
	v_min_i32_e32 v27, 31, v8
	v_cmp_gt_i32_e32 vcc_lo, 32, v8
	v_lshrrev_b32_e32 v2, 24, v2
	v_mov_b32_e32 v51, v128
	v_dual_cndmask_b32 v26, 3, v26 :: v_dual_lshlrev_b32 v27, 2, v27
	s_delay_alu instid0(VALU_DEP_3) | instskip(NEXT) | instid1(VALU_DEP_2)
	v_and_b32_e32 v2, 0x80, v2
	v_and_b32_e32 v27, 0xfc, v27
	s_delay_alu instid0(VALU_DEP_3) | instskip(SKIP_1) | instid1(VALU_DEP_2)
	v_and_b32_e32 v36, 3, v26
	v_or_b32_e32 v8, v8, v26
	v_or3_b32 v2, v27, v2, v36
	s_delay_alu instid0(VALU_DEP_2) | instskip(NEXT) | instid1(VALU_DEP_2)
	v_cmp_ne_u32_e32 vcc_lo, 0, v8
	v_cndmask_b32_e32 v81, 0, v2, vcc_lo
.LBB6_788:                              ;   in Loop: Header=BB6_144 Depth=3
	s_or_b32 exec_lo, exec_lo, s36
.LBB6_789:                              ;   in Loop: Header=BB6_144 Depth=3
	s_delay_alu instid0(SALU_CYCLE_1) | instskip(SKIP_3) | instid1(VALU_DEP_1)
	s_or_b32 exec_lo, exec_lo, s35
	v_lshrrev_b16 v2, 8, v9
	s_mov_b32 s13, 0
	s_mov_b32 s36, exec_lo
                                        ; implicit-def: $sgpr35
	v_cmpx_lt_i16_e32 0x7f, v2
	s_xor_b32 s36, exec_lo, s36
	s_cbranch_execnz .LBB6_1899
; %bb.790:                              ;   in Loop: Header=BB6_144 Depth=3
	s_or_saveexec_b32 s36, s36
	v_mov_b32_e32 v8, s35
	s_xor_b32 exec_lo, exec_lo, s36
	s_cbranch_execnz .LBB6_1902
.LBB6_791:                              ;   in Loop: Header=BB6_144 Depth=3
	s_or_b32 exec_lo, exec_lo, s36
	s_and_saveexec_b32 s35, s13
	s_cbranch_execz .LBB6_793
.LBB6_792:                              ;   in Loop: Header=BB6_144 Depth=3
	v_and_b32_e32 v8, 0xffff, v2
	v_lshlrev_b32_e32 v2, 24, v2
	s_delay_alu instid0(VALU_DEP_2) | instskip(NEXT) | instid1(VALU_DEP_2)
	v_and_b32_e32 v26, 3, v8
	v_and_b32_e32 v2, 0x80000000, v2
	s_delay_alu instid0(VALU_DEP_2) | instskip(NEXT) | instid1(VALU_DEP_1)
	v_clz_i32_u32_e32 v27, v26
	v_min_u32_e32 v27, 32, v27
	s_delay_alu instid0(VALU_DEP_1) | instskip(SKIP_1) | instid1(VALU_DEP_2)
	v_subrev_nc_u32_e32 v36, 29, v27
	v_sub_nc_u32_e32 v27, 30, v27
	v_lshlrev_b32_e32 v36, v36, v8
	v_bfe_u32 v8, v8, 2, 5
	s_delay_alu instid0(VALU_DEP_2) | instskip(NEXT) | instid1(VALU_DEP_2)
	v_and_b32_e32 v36, 3, v36
	v_cmp_eq_u32_e32 vcc_lo, 0, v8
	v_cndmask_b32_e32 v8, v8, v27, vcc_lo
	s_delay_alu instid0(VALU_DEP_3) | instskip(NEXT) | instid1(VALU_DEP_2)
	v_cndmask_b32_e32 v26, v26, v36, vcc_lo
	v_lshl_add_u32 v8, v8, 23, 0x37800000
	s_delay_alu instid0(VALU_DEP_2) | instskip(NEXT) | instid1(VALU_DEP_1)
	v_lshlrev_b32_e32 v26, 21, v26
	v_or3_b32 v8, v2, v8, v26
.LBB6_793:                              ;   in Loop: Header=BB6_144 Depth=3
	s_or_b32 exec_lo, exec_lo, s35
	s_delay_alu instid0(VALU_DEP_1) | instskip(SKIP_2) | instid1(VALU_DEP_2)
	v_mul_f32_e32 v2, s34, v8
	v_mov_b32_e32 v82, 0x8000
	s_mov_b32 s35, exec_lo
	v_and_b32_e32 v8, 0x7f800000, v2
	s_delay_alu instid0(VALU_DEP_1)
	v_cmpx_ne_u32_e32 0x7f800000, v8
	s_cbranch_execz .LBB6_801
; %bb.794:                              ;   in Loop: Header=BB6_144 Depth=3
	v_mov_b32_e32 v82, 0
	s_mov_b32 s36, exec_lo
	v_cmpx_ne_u32_e32 0, v2
	s_cbranch_execz .LBB6_800
; %bb.795:                              ;   in Loop: Header=BB6_144 Depth=3
	v_bfe_u32 v8, v2, 23, 8
	s_delay_alu instid0(VALU_DEP_1) | instskip(SKIP_1) | instid1(VALU_DEP_2)
	v_sub_nc_u32_e32 v27, 0x70, v8
	v_cmp_gt_u32_e32 vcc_lo, 0x71, v8
	v_dual_cndmask_b32 v27, 0, v27 :: v_dual_and_b32 v26, 0x7fffff, v2
	s_delay_alu instid0(VALU_DEP_1) | instskip(SKIP_2) | instid1(VALU_DEP_4)
	v_or_b32_e32 v36, 0x800000, v26
	v_cmp_eq_u32_e32 vcc_lo, 0, v8
	v_add_nc_u32_e32 v8, 0xffffff91, v8
	v_cndmask_b32_e64 v27, v27, 0x6f, vcc_lo
	s_delay_alu instid0(VALU_DEP_2) | instskip(SKIP_1) | instid1(VALU_DEP_3)
	v_cndmask_b32_e64 v8, v8, 0xffffff92, vcc_lo
	v_cndmask_b32_e32 v26, v36, v26, vcc_lo
	v_lshl_add_u32 v36, 0x200000, v27, -1
	v_lshlrev_b32_e64 v39, v27, 0x100000
	s_delay_alu instid0(VALU_DEP_3) | instskip(SKIP_1) | instid1(VALU_DEP_4)
	v_lshrrev_b32_e32 v37, v27, v26
	v_add_nc_u32_e32 v27, v27, v8
	v_and_b32_e32 v26, v36, v26
	s_delay_alu instid0(VALU_DEP_3) | instskip(NEXT) | instid1(VALU_DEP_2)
	v_bfe_u32 v38, v37, 21, 1
	v_cmp_eq_u32_e64 s13, v26, v39
	s_delay_alu instid0(VALU_DEP_2) | instskip(NEXT) | instid1(VALU_DEP_1)
	v_add_nc_u32_e32 v36, -1, v38
	v_cndmask_b32_e64 v26, 0, v36, s13
	v_lshrrev_b32_e32 v36, 23, v37
	s_mov_b32 s13, exec_lo
	s_delay_alu instid0(VALU_DEP_2) | instskip(NEXT) | instid1(VALU_DEP_2)
	v_add_nc_u32_e32 v26, v26, v37
	v_xor_b32_e32 v36, 1, v36
	s_delay_alu instid0(VALU_DEP_2) | instskip(NEXT) | instid1(VALU_DEP_1)
	v_and_b32_e32 v8, 0x1fffff, v26
	v_add_nc_u32_e32 v26, v8, v37
                                        ; implicit-def: $vgpr8
	s_delay_alu instid0(VALU_DEP_3)
	v_cmpx_ne_u32_e64 v27, v36
	s_xor_b32 s13, exec_lo, s13
; %bb.796:                              ;   in Loop: Header=BB6_144 Depth=3
	s_delay_alu instid0(VALU_DEP_2) | instskip(SKIP_2) | instid1(VALU_DEP_2)
	v_cmp_lt_u32_e32 vcc_lo, 0xffffff, v26
	v_sub_nc_u32_e32 v8, v27, v36
	v_cndmask_b32_e64 v27, 0, 1, vcc_lo
	v_add_co_ci_u32_e32 v8, vcc_lo, 0, v8, vcc_lo
	s_delay_alu instid0(VALU_DEP_2)
	v_lshrrev_b32_e32 v26, v27, v26
; %bb.797:                              ;   in Loop: Header=BB6_144 Depth=3
	s_and_not1_saveexec_b32 s13, s13
; %bb.798:                              ;   in Loop: Header=BB6_144 Depth=3
	s_delay_alu instid0(VALU_DEP_1)
	v_bfe_u32 v8, v26, 23, 1
; %bb.799:                              ;   in Loop: Header=BB6_144 Depth=3
	s_or_b32 exec_lo, exec_lo, s13
	v_lshrrev_b32_e32 v26, 21, v26
	s_delay_alu instid0(VALU_DEP_2) | instskip(SKIP_2) | instid1(VALU_DEP_4)
	v_cmp_gt_i32_e32 vcc_lo, 32, v8
	v_min_i32_e32 v27, 31, v8
	v_lshrrev_b32_e32 v2, 24, v2
	v_dual_mov_b32 v51, v128 :: v_dual_cndmask_b32 v26, 3, v26
	s_delay_alu instid0(VALU_DEP_3) | instskip(NEXT) | instid1(VALU_DEP_3)
	v_lshlrev_b32_e32 v27, 2, v27
	v_and_b32_e32 v2, 0x80, v2
	s_delay_alu instid0(VALU_DEP_3) | instskip(SKIP_1) | instid1(VALU_DEP_2)
	v_or_b32_e32 v8, v8, v26
	v_and_b32_e32 v36, 3, v26
	v_cmp_ne_u32_e32 vcc_lo, 0, v8
	v_and_b32_e32 v27, 0xfc, v27
	s_delay_alu instid0(VALU_DEP_1) | instskip(NEXT) | instid1(VALU_DEP_1)
	v_or3_b32 v2, v2, v27, v36
	v_lshlrev_b32_e32 v2, 8, v2
	s_delay_alu instid0(VALU_DEP_1)
	v_cndmask_b32_e32 v82, 0, v2, vcc_lo
.LBB6_800:                              ;   in Loop: Header=BB6_144 Depth=3
	s_or_b32 exec_lo, exec_lo, s36
.LBB6_801:                              ;   in Loop: Header=BB6_144 Depth=3
	s_delay_alu instid0(SALU_CYCLE_1) | instskip(SKIP_3) | instid1(VALU_DEP_1)
	s_or_b32 exec_lo, exec_lo, s35
	v_lshrrev_b32_e32 v2, 16, v9
	s_mov_b32 s13, 0
	s_mov_b32 s36, exec_lo
                                        ; implicit-def: $sgpr35
	v_and_b32_e32 v26, 0xff, v2
	s_delay_alu instid0(VALU_DEP_1)
	v_cmpx_lt_i16_e32 0x7f, v26
	s_xor_b32 s36, exec_lo, s36
	s_cbranch_execnz .LBB6_1903
; %bb.802:                              ;   in Loop: Header=BB6_144 Depth=3
	s_or_saveexec_b32 s36, s36
	v_mov_b32_e32 v8, s35
	s_xor_b32 exec_lo, exec_lo, s36
	s_cbranch_execnz .LBB6_1906
.LBB6_803:                              ;   in Loop: Header=BB6_144 Depth=3
	s_or_b32 exec_lo, exec_lo, s36
	s_and_saveexec_b32 s35, s13
	s_cbranch_execz .LBB6_805
.LBB6_804:                              ;   in Loop: Header=BB6_144 Depth=3
	v_bfe_u32 v8, v9, 16, 2
	v_lshlrev_b32_e32 v36, 8, v9
	s_delay_alu instid0(VALU_DEP_2) | instskip(NEXT) | instid1(VALU_DEP_1)
	v_clz_i32_u32_e32 v26, v8
	v_min_u32_e32 v26, 32, v26
	s_delay_alu instid0(VALU_DEP_1) | instskip(SKIP_1) | instid1(VALU_DEP_2)
	v_subrev_nc_u32_e32 v27, 29, v26
	v_sub_nc_u32_e32 v26, 30, v26
	v_lshlrev_b32_e32 v2, v27, v2
	v_bfe_u32 v27, v9, 18, 5
	s_delay_alu instid0(VALU_DEP_2) | instskip(NEXT) | instid1(VALU_DEP_2)
	v_and_b32_e32 v2, 3, v2
	v_cmp_eq_u32_e32 vcc_lo, 0, v27
	v_cndmask_b32_e32 v26, v27, v26, vcc_lo
	s_delay_alu instid0(VALU_DEP_3) | instskip(SKIP_1) | instid1(VALU_DEP_3)
	v_cndmask_b32_e32 v2, v8, v2, vcc_lo
	v_and_b32_e32 v8, 0x80000000, v36
	v_lshl_add_u32 v26, v26, 23, 0x37800000
	s_delay_alu instid0(VALU_DEP_3) | instskip(NEXT) | instid1(VALU_DEP_1)
	v_lshlrev_b32_e32 v2, 21, v2
	v_or3_b32 v8, v8, v26, v2
.LBB6_805:                              ;   in Loop: Header=BB6_144 Depth=3
	s_or_b32 exec_lo, exec_lo, s35
	s_delay_alu instid0(VALU_DEP_1) | instskip(SKIP_1) | instid1(VALU_DEP_1)
	v_dual_mul_f32 v2, s34, v8 :: v_dual_mov_b32 v83, 0x80
	s_mov_b32 s35, exec_lo
	v_and_b32_e32 v8, 0x7f800000, v2
	s_delay_alu instid0(VALU_DEP_1)
	v_cmpx_ne_u32_e32 0x7f800000, v8
	s_cbranch_execz .LBB6_813
; %bb.806:                              ;   in Loop: Header=BB6_144 Depth=3
	v_mov_b32_e32 v83, 0
	s_mov_b32 s36, exec_lo
	v_cmpx_ne_u32_e32 0, v2
	s_cbranch_execz .LBB6_812
; %bb.807:                              ;   in Loop: Header=BB6_144 Depth=3
	v_bfe_u32 v8, v2, 23, 8
	s_delay_alu instid0(VALU_DEP_1) | instskip(SKIP_1) | instid1(VALU_DEP_2)
	v_sub_nc_u32_e32 v27, 0x70, v8
	v_cmp_gt_u32_e32 vcc_lo, 0x71, v8
	v_dual_cndmask_b32 v27, 0, v27 :: v_dual_and_b32 v26, 0x7fffff, v2
	s_delay_alu instid0(VALU_DEP_1) | instskip(SKIP_2) | instid1(VALU_DEP_4)
	v_or_b32_e32 v36, 0x800000, v26
	v_cmp_eq_u32_e32 vcc_lo, 0, v8
	v_add_nc_u32_e32 v8, 0xffffff91, v8
	v_cndmask_b32_e64 v27, v27, 0x6f, vcc_lo
	s_delay_alu instid0(VALU_DEP_2) | instskip(SKIP_1) | instid1(VALU_DEP_3)
	v_cndmask_b32_e64 v8, v8, 0xffffff92, vcc_lo
	v_cndmask_b32_e32 v26, v36, v26, vcc_lo
	v_lshl_add_u32 v36, 0x200000, v27, -1
	v_lshlrev_b32_e64 v39, v27, 0x100000
	s_delay_alu instid0(VALU_DEP_3) | instskip(SKIP_1) | instid1(VALU_DEP_4)
	v_lshrrev_b32_e32 v37, v27, v26
	v_add_nc_u32_e32 v27, v27, v8
	v_and_b32_e32 v26, v36, v26
	s_delay_alu instid0(VALU_DEP_3) | instskip(NEXT) | instid1(VALU_DEP_2)
	v_bfe_u32 v38, v37, 21, 1
	v_cmp_eq_u32_e64 s13, v26, v39
	s_delay_alu instid0(VALU_DEP_2) | instskip(NEXT) | instid1(VALU_DEP_1)
	v_add_nc_u32_e32 v36, -1, v38
	v_cndmask_b32_e64 v26, 0, v36, s13
	v_lshrrev_b32_e32 v36, 23, v37
	s_mov_b32 s13, exec_lo
	s_delay_alu instid0(VALU_DEP_2) | instskip(NEXT) | instid1(VALU_DEP_2)
	v_add_nc_u32_e32 v26, v26, v37
	v_xor_b32_e32 v36, 1, v36
	s_delay_alu instid0(VALU_DEP_2) | instskip(NEXT) | instid1(VALU_DEP_1)
	v_and_b32_e32 v8, 0x1fffff, v26
	v_add_nc_u32_e32 v26, v8, v37
                                        ; implicit-def: $vgpr8
	s_delay_alu instid0(VALU_DEP_3)
	v_cmpx_ne_u32_e64 v27, v36
	s_xor_b32 s13, exec_lo, s13
; %bb.808:                              ;   in Loop: Header=BB6_144 Depth=3
	s_delay_alu instid0(VALU_DEP_2) | instskip(SKIP_2) | instid1(VALU_DEP_2)
	v_cmp_lt_u32_e32 vcc_lo, 0xffffff, v26
	v_sub_nc_u32_e32 v8, v27, v36
	v_cndmask_b32_e64 v27, 0, 1, vcc_lo
	v_add_co_ci_u32_e32 v8, vcc_lo, 0, v8, vcc_lo
	s_delay_alu instid0(VALU_DEP_2)
	v_lshrrev_b32_e32 v26, v27, v26
; %bb.809:                              ;   in Loop: Header=BB6_144 Depth=3
	s_and_not1_saveexec_b32 s13, s13
; %bb.810:                              ;   in Loop: Header=BB6_144 Depth=3
	s_delay_alu instid0(VALU_DEP_1)
	v_bfe_u32 v8, v26, 23, 1
; %bb.811:                              ;   in Loop: Header=BB6_144 Depth=3
	s_or_b32 exec_lo, exec_lo, s13
	v_lshrrev_b32_e32 v26, 21, v26
	s_delay_alu instid0(VALU_DEP_2) | instskip(SKIP_3) | instid1(VALU_DEP_4)
	v_min_i32_e32 v27, 31, v8
	v_cmp_gt_i32_e32 vcc_lo, 32, v8
	v_lshrrev_b32_e32 v2, 24, v2
	v_mov_b32_e32 v51, v128
	v_dual_cndmask_b32 v26, 3, v26 :: v_dual_lshlrev_b32 v27, 2, v27
	s_delay_alu instid0(VALU_DEP_3) | instskip(NEXT) | instid1(VALU_DEP_2)
	v_and_b32_e32 v2, 0x80, v2
	v_and_b32_e32 v27, 0xfc, v27
	s_delay_alu instid0(VALU_DEP_3) | instskip(SKIP_1) | instid1(VALU_DEP_2)
	v_and_b32_e32 v36, 3, v26
	v_or_b32_e32 v8, v8, v26
	v_or3_b32 v2, v27, v2, v36
	s_delay_alu instid0(VALU_DEP_2) | instskip(NEXT) | instid1(VALU_DEP_2)
	v_cmp_ne_u32_e32 vcc_lo, 0, v8
	v_cndmask_b32_e32 v83, 0, v2, vcc_lo
.LBB6_812:                              ;   in Loop: Header=BB6_144 Depth=3
	s_or_b32 exec_lo, exec_lo, s36
.LBB6_813:                              ;   in Loop: Header=BB6_144 Depth=3
	s_delay_alu instid0(SALU_CYCLE_1) | instskip(SKIP_3) | instid1(VALU_DEP_1)
	s_or_b32 exec_lo, exec_lo, s35
	v_lshrrev_b32_e32 v2, 24, v9
	s_mov_b32 s13, 0
	s_mov_b32 s36, exec_lo
                                        ; implicit-def: $sgpr35
	v_cmpx_lt_i16_e32 0x7f, v2
	s_xor_b32 s36, exec_lo, s36
	s_cbranch_execnz .LBB6_1907
; %bb.814:                              ;   in Loop: Header=BB6_144 Depth=3
	s_or_saveexec_b32 s36, s36
	v_mov_b32_e32 v8, s35
	s_xor_b32 exec_lo, exec_lo, s36
	s_cbranch_execnz .LBB6_1910
.LBB6_815:                              ;   in Loop: Header=BB6_144 Depth=3
	s_or_b32 exec_lo, exec_lo, s36
	s_and_saveexec_b32 s35, s13
	s_cbranch_execz .LBB6_817
.LBB6_816:                              ;   in Loop: Header=BB6_144 Depth=3
	v_bfe_u32 v8, v9, 24, 2
	s_delay_alu instid0(VALU_DEP_1) | instskip(NEXT) | instid1(VALU_DEP_1)
	v_clz_i32_u32_e32 v26, v8
	v_min_u32_e32 v26, 32, v26
	s_delay_alu instid0(VALU_DEP_1) | instskip(SKIP_1) | instid1(VALU_DEP_2)
	v_subrev_nc_u32_e32 v27, 29, v26
	v_sub_nc_u32_e32 v26, 30, v26
	v_lshlrev_b32_e32 v2, v27, v2
	v_bfe_u32 v27, v9, 26, 5
	s_delay_alu instid0(VALU_DEP_2) | instskip(NEXT) | instid1(VALU_DEP_2)
	v_and_b32_e32 v2, 3, v2
	v_cmp_eq_u32_e32 vcc_lo, 0, v27
	v_cndmask_b32_e32 v26, v27, v26, vcc_lo
	s_delay_alu instid0(VALU_DEP_3) | instskip(SKIP_1) | instid1(VALU_DEP_3)
	v_cndmask_b32_e32 v2, v8, v2, vcc_lo
	v_and_b32_e32 v8, 0x80000000, v9
	v_lshl_add_u32 v9, v26, 23, 0x37800000
	s_delay_alu instid0(VALU_DEP_3) | instskip(NEXT) | instid1(VALU_DEP_1)
	v_lshlrev_b32_e32 v2, 21, v2
	v_or3_b32 v8, v8, v9, v2
.LBB6_817:                              ;   in Loop: Header=BB6_144 Depth=3
	s_or_b32 exec_lo, exec_lo, s35
	s_delay_alu instid0(VALU_DEP_1) | instskip(SKIP_1) | instid1(VALU_DEP_1)
	v_dual_mul_f32 v2, s34, v8 :: v_dual_mov_b32 v147, 0x8000
	s_mov_b32 s35, exec_lo
	v_and_b32_e32 v8, 0x7f800000, v2
	s_delay_alu instid0(VALU_DEP_1)
	v_cmpx_ne_u32_e32 0x7f800000, v8
	s_cbranch_execz .LBB6_825
; %bb.818:                              ;   in Loop: Header=BB6_144 Depth=3
	v_mov_b32_e32 v147, 0
	s_mov_b32 s36, exec_lo
	v_cmpx_ne_u32_e32 0, v2
	s_cbranch_execz .LBB6_824
; %bb.819:                              ;   in Loop: Header=BB6_144 Depth=3
	v_bfe_u32 v8, v2, 23, 8
	v_and_b32_e32 v9, 0x7fffff, v2
	s_delay_alu instid0(VALU_DEP_2) | instskip(SKIP_1) | instid1(VALU_DEP_3)
	v_sub_nc_u32_e32 v26, 0x70, v8
	v_cmp_gt_u32_e32 vcc_lo, 0x71, v8
	v_or_b32_e32 v27, 0x800000, v9
	s_delay_alu instid0(VALU_DEP_3) | instskip(SKIP_1) | instid1(VALU_DEP_3)
	v_cndmask_b32_e32 v26, 0, v26, vcc_lo
	v_cmp_eq_u32_e32 vcc_lo, 0, v8
	v_dual_cndmask_b32 v9, v27, v9 :: v_dual_add_nc_u32 v8, 0xffffff91, v8
	s_delay_alu instid0(VALU_DEP_3) | instskip(NEXT) | instid1(VALU_DEP_2)
	v_cndmask_b32_e64 v26, v26, 0x6f, vcc_lo
	v_cndmask_b32_e64 v8, v8, 0xffffff92, vcc_lo
	s_delay_alu instid0(VALU_DEP_2) | instskip(SKIP_2) | instid1(VALU_DEP_4)
	v_lshrrev_b32_e32 v36, v26, v9
	v_lshl_add_u32 v27, 0x200000, v26, -1
	v_lshlrev_b32_e64 v38, v26, 0x100000
	v_add_nc_u32_e32 v26, v26, v8
	s_delay_alu instid0(VALU_DEP_4) | instskip(NEXT) | instid1(VALU_DEP_4)
	v_bfe_u32 v37, v36, 21, 1
	v_and_b32_e32 v9, v27, v9
	s_delay_alu instid0(VALU_DEP_2) | instskip(NEXT) | instid1(VALU_DEP_2)
	v_add_nc_u32_e32 v27, -1, v37
	v_cmp_eq_u32_e64 s13, v9, v38
	s_delay_alu instid0(VALU_DEP_1) | instskip(SKIP_2) | instid1(VALU_DEP_2)
	v_cndmask_b32_e64 v9, 0, v27, s13
	v_lshrrev_b32_e32 v27, 23, v36
	s_mov_b32 s13, exec_lo
	v_add_nc_u32_e32 v9, v9, v36
	s_delay_alu instid0(VALU_DEP_2) | instskip(NEXT) | instid1(VALU_DEP_2)
	v_xor_b32_e32 v27, 1, v27
	v_and_b32_e32 v8, 0x1fffff, v9
	s_delay_alu instid0(VALU_DEP_1) | instskip(NEXT) | instid1(VALU_DEP_3)
	v_add_nc_u32_e32 v9, v8, v36
                                        ; implicit-def: $vgpr8
	v_cmpx_ne_u32_e64 v26, v27
	s_xor_b32 s13, exec_lo, s13
; %bb.820:                              ;   in Loop: Header=BB6_144 Depth=3
	s_delay_alu instid0(VALU_DEP_2) | instskip(SKIP_2) | instid1(VALU_DEP_2)
	v_cmp_lt_u32_e32 vcc_lo, 0xffffff, v9
	v_sub_nc_u32_e32 v8, v26, v27
	v_cndmask_b32_e64 v26, 0, 1, vcc_lo
	v_add_co_ci_u32_e32 v8, vcc_lo, 0, v8, vcc_lo
	s_delay_alu instid0(VALU_DEP_2)
	v_lshrrev_b32_e32 v9, v26, v9
; %bb.821:                              ;   in Loop: Header=BB6_144 Depth=3
	s_and_not1_saveexec_b32 s13, s13
; %bb.822:                              ;   in Loop: Header=BB6_144 Depth=3
	s_delay_alu instid0(VALU_DEP_1)
	v_bfe_u32 v8, v9, 23, 1
; %bb.823:                              ;   in Loop: Header=BB6_144 Depth=3
	s_or_b32 exec_lo, exec_lo, s13
	v_lshrrev_b32_e32 v9, 21, v9
	s_delay_alu instid0(VALU_DEP_2) | instskip(SKIP_2) | instid1(VALU_DEP_3)
	v_min_i32_e32 v26, 31, v8
	v_cmp_gt_i32_e32 vcc_lo, 32, v8
	v_lshrrev_b32_e32 v2, 24, v2
	v_dual_mov_b32 v51, v128 :: v_dual_lshlrev_b32 v26, 2, v26
	s_delay_alu instid0(VALU_DEP_2) | instskip(NEXT) | instid1(VALU_DEP_2)
	v_dual_cndmask_b32 v9, 3, v9 :: v_dual_and_b32 v2, 0x80, v2
	v_and_b32_e32 v26, 0xfc, v26
	s_delay_alu instid0(VALU_DEP_2) | instskip(SKIP_1) | instid1(VALU_DEP_2)
	v_and_b32_e32 v27, 3, v9
	v_or_b32_e32 v8, v8, v9
	v_or3_b32 v2, v2, v26, v27
	s_delay_alu instid0(VALU_DEP_2) | instskip(NEXT) | instid1(VALU_DEP_2)
	v_cmp_ne_u32_e32 vcc_lo, 0, v8
	v_lshlrev_b32_e32 v2, 8, v2
	s_delay_alu instid0(VALU_DEP_1)
	v_cndmask_b32_e32 v147, 0, v2, vcc_lo
.LBB6_824:                              ;   in Loop: Header=BB6_144 Depth=3
	s_or_b32 exec_lo, exec_lo, s36
.LBB6_825:                              ;   in Loop: Header=BB6_144 Depth=3
	s_delay_alu instid0(SALU_CYCLE_1) | instskip(SKIP_3) | instid1(VALU_DEP_1)
	s_or_b32 exec_lo, exec_lo, s35
	v_and_b32_e32 v8, 0xff, v10
	s_mov_b32 s13, 0
	s_mov_b32 s36, exec_lo
                                        ; implicit-def: $sgpr35
	v_cmpx_lt_i16_e32 0x7f, v8
	s_xor_b32 s36, exec_lo, s36
	s_cbranch_execnz .LBB6_1911
; %bb.826:                              ;   in Loop: Header=BB6_144 Depth=3
	s_or_saveexec_b32 s36, s36
	v_mov_b32_e32 v2, s35
	s_xor_b32 exec_lo, exec_lo, s36
	s_cbranch_execnz .LBB6_1914
.LBB6_827:                              ;   in Loop: Header=BB6_144 Depth=3
	s_or_b32 exec_lo, exec_lo, s36
	s_and_saveexec_b32 s35, s13
	s_cbranch_execz .LBB6_829
.LBB6_828:                              ;   in Loop: Header=BB6_144 Depth=3
	v_and_b32_e32 v2, 3, v10
	v_bfe_u32 v26, v10, 2, 5
	s_delay_alu instid0(VALU_DEP_2) | instskip(NEXT) | instid1(VALU_DEP_2)
	v_clz_i32_u32_e32 v8, v2
	v_cmp_eq_u32_e32 vcc_lo, 0, v26
	s_delay_alu instid0(VALU_DEP_2) | instskip(NEXT) | instid1(VALU_DEP_1)
	v_min_u32_e32 v8, 32, v8
	v_subrev_nc_u32_e32 v9, 29, v8
	v_sub_nc_u32_e32 v8, 30, v8
	s_delay_alu instid0(VALU_DEP_1) | instskip(NEXT) | instid1(VALU_DEP_1)
	v_dual_cndmask_b32 v8, v26, v8 :: v_dual_lshlrev_b32 v9, v9, v10
	v_and_b32_e32 v9, 3, v9
	v_lshlrev_b32_e32 v27, 24, v10
	s_delay_alu instid0(VALU_DEP_3) | instskip(NEXT) | instid1(VALU_DEP_2)
	v_lshl_add_u32 v8, v8, 23, 0x37800000
	v_dual_cndmask_b32 v2, v2, v9 :: v_dual_and_b32 v9, 0x80000000, v27
	s_delay_alu instid0(VALU_DEP_1) | instskip(NEXT) | instid1(VALU_DEP_1)
	v_lshlrev_b32_e32 v2, 21, v2
	v_or3_b32 v2, v9, v8, v2
.LBB6_829:                              ;   in Loop: Header=BB6_144 Depth=3
	s_or_b32 exec_lo, exec_lo, s35
	s_delay_alu instid0(VALU_DEP_1) | instskip(SKIP_2) | instid1(VALU_DEP_2)
	v_mul_f32_e32 v2, s34, v2
	v_mov_b32_e32 v84, 0x80
	s_mov_b32 s35, exec_lo
	v_and_b32_e32 v8, 0x7f800000, v2
	s_delay_alu instid0(VALU_DEP_1)
	v_cmpx_ne_u32_e32 0x7f800000, v8
	s_cbranch_execz .LBB6_837
; %bb.830:                              ;   in Loop: Header=BB6_144 Depth=3
	v_mov_b32_e32 v84, 0
	s_mov_b32 s36, exec_lo
	v_cmpx_ne_u32_e32 0, v2
	s_cbranch_execz .LBB6_836
; %bb.831:                              ;   in Loop: Header=BB6_144 Depth=3
	v_bfe_u32 v8, v2, 23, 8
	v_and_b32_e32 v9, 0x7fffff, v2
	s_delay_alu instid0(VALU_DEP_2) | instskip(SKIP_1) | instid1(VALU_DEP_3)
	v_sub_nc_u32_e32 v26, 0x70, v8
	v_cmp_gt_u32_e32 vcc_lo, 0x71, v8
	v_or_b32_e32 v27, 0x800000, v9
	s_delay_alu instid0(VALU_DEP_3) | instskip(SKIP_1) | instid1(VALU_DEP_3)
	v_cndmask_b32_e32 v26, 0, v26, vcc_lo
	v_cmp_eq_u32_e32 vcc_lo, 0, v8
	v_dual_cndmask_b32 v9, v27, v9 :: v_dual_add_nc_u32 v8, 0xffffff91, v8
	s_delay_alu instid0(VALU_DEP_3) | instskip(NEXT) | instid1(VALU_DEP_2)
	v_cndmask_b32_e64 v26, v26, 0x6f, vcc_lo
	v_cndmask_b32_e64 v8, v8, 0xffffff92, vcc_lo
	s_delay_alu instid0(VALU_DEP_2) | instskip(SKIP_2) | instid1(VALU_DEP_4)
	v_lshrrev_b32_e32 v36, v26, v9
	v_lshl_add_u32 v27, 0x200000, v26, -1
	v_lshlrev_b32_e64 v38, v26, 0x100000
	v_add_nc_u32_e32 v26, v26, v8
	s_delay_alu instid0(VALU_DEP_4) | instskip(NEXT) | instid1(VALU_DEP_4)
	v_bfe_u32 v37, v36, 21, 1
	v_and_b32_e32 v9, v27, v9
	s_delay_alu instid0(VALU_DEP_2) | instskip(NEXT) | instid1(VALU_DEP_2)
	v_add_nc_u32_e32 v27, -1, v37
	v_cmp_eq_u32_e64 s13, v9, v38
	s_delay_alu instid0(VALU_DEP_1) | instskip(SKIP_2) | instid1(VALU_DEP_2)
	v_cndmask_b32_e64 v9, 0, v27, s13
	v_lshrrev_b32_e32 v27, 23, v36
	s_mov_b32 s13, exec_lo
	v_add_nc_u32_e32 v9, v9, v36
	s_delay_alu instid0(VALU_DEP_2) | instskip(NEXT) | instid1(VALU_DEP_2)
	v_xor_b32_e32 v27, 1, v27
	v_and_b32_e32 v8, 0x1fffff, v9
	s_delay_alu instid0(VALU_DEP_1) | instskip(NEXT) | instid1(VALU_DEP_3)
	v_add_nc_u32_e32 v9, v8, v36
                                        ; implicit-def: $vgpr8
	v_cmpx_ne_u32_e64 v26, v27
	s_xor_b32 s13, exec_lo, s13
; %bb.832:                              ;   in Loop: Header=BB6_144 Depth=3
	s_delay_alu instid0(VALU_DEP_2) | instskip(SKIP_2) | instid1(VALU_DEP_2)
	v_cmp_lt_u32_e32 vcc_lo, 0xffffff, v9
	v_sub_nc_u32_e32 v8, v26, v27
	v_cndmask_b32_e64 v26, 0, 1, vcc_lo
	v_add_co_ci_u32_e32 v8, vcc_lo, 0, v8, vcc_lo
	s_delay_alu instid0(VALU_DEP_2)
	v_lshrrev_b32_e32 v9, v26, v9
; %bb.833:                              ;   in Loop: Header=BB6_144 Depth=3
	s_and_not1_saveexec_b32 s13, s13
; %bb.834:                              ;   in Loop: Header=BB6_144 Depth=3
	s_delay_alu instid0(VALU_DEP_1)
	v_bfe_u32 v8, v9, 23, 1
; %bb.835:                              ;   in Loop: Header=BB6_144 Depth=3
	s_or_b32 exec_lo, exec_lo, s13
	v_lshrrev_b32_e32 v9, 21, v9
	s_delay_alu instid0(VALU_DEP_2) | instskip(SKIP_3) | instid1(VALU_DEP_3)
	v_cmp_gt_i32_e32 vcc_lo, 32, v8
	v_lshrrev_b32_e32 v2, 24, v2
	v_min_i32_e32 v26, 31, v8
	v_mov_b32_e32 v51, v128
	v_dual_cndmask_b32 v9, 3, v9 :: v_dual_and_b32 v2, 0x80, v2
	s_delay_alu instid0(VALU_DEP_3) | instskip(NEXT) | instid1(VALU_DEP_2)
	v_lshlrev_b32_e32 v26, 2, v26
	v_or_b32_e32 v8, v8, v9
	s_delay_alu instid0(VALU_DEP_1) | instskip(SKIP_1) | instid1(VALU_DEP_1)
	v_cmp_ne_u32_e32 vcc_lo, 0, v8
	v_and_b32_e32 v27, 3, v9
	v_or3_b32 v2, v26, v2, v27
	s_delay_alu instid0(VALU_DEP_1)
	v_cndmask_b32_e32 v84, 0, v2, vcc_lo
.LBB6_836:                              ;   in Loop: Header=BB6_144 Depth=3
	s_or_b32 exec_lo, exec_lo, s36
.LBB6_837:                              ;   in Loop: Header=BB6_144 Depth=3
	s_delay_alu instid0(SALU_CYCLE_1) | instskip(SKIP_3) | instid1(VALU_DEP_1)
	s_or_b32 exec_lo, exec_lo, s35
	v_lshrrev_b16 v2, 8, v10
	s_mov_b32 s13, 0
	s_mov_b32 s36, exec_lo
                                        ; implicit-def: $sgpr35
	v_cmpx_lt_i16_e32 0x7f, v2
	s_xor_b32 s36, exec_lo, s36
	s_cbranch_execnz .LBB6_1915
; %bb.838:                              ;   in Loop: Header=BB6_144 Depth=3
	s_or_saveexec_b32 s36, s36
	v_mov_b32_e32 v8, s35
	s_xor_b32 exec_lo, exec_lo, s36
	s_cbranch_execnz .LBB6_1918
.LBB6_839:                              ;   in Loop: Header=BB6_144 Depth=3
	s_or_b32 exec_lo, exec_lo, s36
	s_and_saveexec_b32 s35, s13
	s_cbranch_execz .LBB6_841
.LBB6_840:                              ;   in Loop: Header=BB6_144 Depth=3
	v_and_b32_e32 v8, 0xffff, v2
	v_lshlrev_b32_e32 v2, 24, v2
	s_delay_alu instid0(VALU_DEP_2) | instskip(NEXT) | instid1(VALU_DEP_2)
	v_and_b32_e32 v9, 3, v8
	v_and_b32_e32 v2, 0x80000000, v2
	s_delay_alu instid0(VALU_DEP_2) | instskip(NEXT) | instid1(VALU_DEP_1)
	v_clz_i32_u32_e32 v26, v9
	v_min_u32_e32 v26, 32, v26
	s_delay_alu instid0(VALU_DEP_1) | instskip(SKIP_1) | instid1(VALU_DEP_2)
	v_subrev_nc_u32_e32 v27, 29, v26
	v_sub_nc_u32_e32 v26, 30, v26
	v_lshlrev_b32_e32 v27, v27, v8
	v_bfe_u32 v8, v8, 2, 5
	s_delay_alu instid0(VALU_DEP_2) | instskip(NEXT) | instid1(VALU_DEP_2)
	v_and_b32_e32 v27, 3, v27
	v_cmp_eq_u32_e32 vcc_lo, 0, v8
	s_delay_alu instid0(VALU_DEP_2) | instskip(NEXT) | instid1(VALU_DEP_1)
	v_dual_cndmask_b32 v8, v8, v26 :: v_dual_cndmask_b32 v9, v9, v27
	v_lshl_add_u32 v8, v8, 23, 0x37800000
	s_delay_alu instid0(VALU_DEP_2) | instskip(NEXT) | instid1(VALU_DEP_1)
	v_lshlrev_b32_e32 v9, 21, v9
	v_or3_b32 v8, v2, v8, v9
.LBB6_841:                              ;   in Loop: Header=BB6_144 Depth=3
	s_or_b32 exec_lo, exec_lo, s35
	s_delay_alu instid0(VALU_DEP_1) | instskip(SKIP_2) | instid1(VALU_DEP_2)
	v_mul_f32_e32 v2, s34, v8
	v_mov_b32_e32 v148, 0x80
	s_mov_b32 s35, exec_lo
	v_and_b32_e32 v8, 0x7f800000, v2
	s_delay_alu instid0(VALU_DEP_1)
	v_cmpx_ne_u32_e32 0x7f800000, v8
	s_cbranch_execz .LBB6_849
; %bb.842:                              ;   in Loop: Header=BB6_144 Depth=3
	v_mov_b32_e32 v148, 0
	s_mov_b32 s36, exec_lo
	v_cmpx_ne_u32_e32 0, v2
	s_cbranch_execz .LBB6_848
; %bb.843:                              ;   in Loop: Header=BB6_144 Depth=3
	v_bfe_u32 v8, v2, 23, 8
	v_and_b32_e32 v9, 0x7fffff, v2
	s_delay_alu instid0(VALU_DEP_2) | instskip(SKIP_1) | instid1(VALU_DEP_3)
	v_sub_nc_u32_e32 v26, 0x70, v8
	v_cmp_gt_u32_e32 vcc_lo, 0x71, v8
	v_or_b32_e32 v27, 0x800000, v9
	s_delay_alu instid0(VALU_DEP_3) | instskip(SKIP_1) | instid1(VALU_DEP_3)
	v_cndmask_b32_e32 v26, 0, v26, vcc_lo
	v_cmp_eq_u32_e32 vcc_lo, 0, v8
	v_dual_cndmask_b32 v9, v27, v9 :: v_dual_add_nc_u32 v8, 0xffffff91, v8
	s_delay_alu instid0(VALU_DEP_3) | instskip(NEXT) | instid1(VALU_DEP_2)
	v_cndmask_b32_e64 v26, v26, 0x6f, vcc_lo
	v_cndmask_b32_e64 v8, v8, 0xffffff92, vcc_lo
	s_delay_alu instid0(VALU_DEP_2) | instskip(SKIP_2) | instid1(VALU_DEP_4)
	v_lshrrev_b32_e32 v36, v26, v9
	v_lshl_add_u32 v27, 0x200000, v26, -1
	v_lshlrev_b32_e64 v38, v26, 0x100000
	v_add_nc_u32_e32 v26, v26, v8
	s_delay_alu instid0(VALU_DEP_4) | instskip(NEXT) | instid1(VALU_DEP_4)
	v_bfe_u32 v37, v36, 21, 1
	v_and_b32_e32 v9, v27, v9
	s_delay_alu instid0(VALU_DEP_2) | instskip(NEXT) | instid1(VALU_DEP_2)
	v_add_nc_u32_e32 v27, -1, v37
	v_cmp_eq_u32_e64 s13, v9, v38
	s_delay_alu instid0(VALU_DEP_1) | instskip(SKIP_2) | instid1(VALU_DEP_2)
	v_cndmask_b32_e64 v9, 0, v27, s13
	v_lshrrev_b32_e32 v27, 23, v36
	s_mov_b32 s13, exec_lo
	v_add_nc_u32_e32 v9, v9, v36
	s_delay_alu instid0(VALU_DEP_2) | instskip(NEXT) | instid1(VALU_DEP_2)
	v_xor_b32_e32 v27, 1, v27
	v_and_b32_e32 v8, 0x1fffff, v9
	s_delay_alu instid0(VALU_DEP_1) | instskip(NEXT) | instid1(VALU_DEP_3)
	v_add_nc_u32_e32 v9, v8, v36
                                        ; implicit-def: $vgpr8
	v_cmpx_ne_u32_e64 v26, v27
	s_xor_b32 s13, exec_lo, s13
; %bb.844:                              ;   in Loop: Header=BB6_144 Depth=3
	s_delay_alu instid0(VALU_DEP_2) | instskip(SKIP_2) | instid1(VALU_DEP_2)
	v_cmp_lt_u32_e32 vcc_lo, 0xffffff, v9
	v_sub_nc_u32_e32 v8, v26, v27
	v_cndmask_b32_e64 v26, 0, 1, vcc_lo
	v_add_co_ci_u32_e32 v8, vcc_lo, 0, v8, vcc_lo
	s_delay_alu instid0(VALU_DEP_2)
	v_lshrrev_b32_e32 v9, v26, v9
; %bb.845:                              ;   in Loop: Header=BB6_144 Depth=3
	s_and_not1_saveexec_b32 s13, s13
; %bb.846:                              ;   in Loop: Header=BB6_144 Depth=3
	s_delay_alu instid0(VALU_DEP_1)
	v_bfe_u32 v8, v9, 23, 1
; %bb.847:                              ;   in Loop: Header=BB6_144 Depth=3
	s_or_b32 exec_lo, exec_lo, s13
	v_lshrrev_b32_e32 v9, 21, v9
	s_delay_alu instid0(VALU_DEP_2) | instskip(SKIP_3) | instid1(VALU_DEP_3)
	v_cmp_gt_i32_e32 vcc_lo, 32, v8
	v_lshrrev_b32_e32 v2, 24, v2
	v_min_i32_e32 v26, 31, v8
	v_mov_b32_e32 v51, v128
	v_dual_cndmask_b32 v9, 3, v9 :: v_dual_and_b32 v2, 0x80, v2
	s_delay_alu instid0(VALU_DEP_3) | instskip(NEXT) | instid1(VALU_DEP_2)
	v_lshlrev_b32_e32 v26, 2, v26
	v_or_b32_e32 v8, v8, v9
	s_delay_alu instid0(VALU_DEP_1) | instskip(SKIP_1) | instid1(VALU_DEP_1)
	v_cmp_ne_u32_e32 vcc_lo, 0, v8
	v_and_b32_e32 v27, 3, v9
	v_or3_b32 v2, v26, v2, v27
	s_delay_alu instid0(VALU_DEP_1)
	v_cndmask_b32_e32 v148, 0, v2, vcc_lo
.LBB6_848:                              ;   in Loop: Header=BB6_144 Depth=3
	s_or_b32 exec_lo, exec_lo, s36
.LBB6_849:                              ;   in Loop: Header=BB6_144 Depth=3
	s_delay_alu instid0(SALU_CYCLE_1) | instskip(SKIP_3) | instid1(VALU_DEP_1)
	s_or_b32 exec_lo, exec_lo, s35
	v_lshrrev_b32_e32 v2, 16, v10
	s_mov_b32 s13, 0
	s_mov_b32 s36, exec_lo
                                        ; implicit-def: $sgpr35
	v_and_b32_e32 v9, 0xff, v2
	s_delay_alu instid0(VALU_DEP_1)
	v_cmpx_lt_i16_e32 0x7f, v9
	s_xor_b32 s36, exec_lo, s36
	s_cbranch_execnz .LBB6_1919
; %bb.850:                              ;   in Loop: Header=BB6_144 Depth=3
	s_or_saveexec_b32 s36, s36
	v_mov_b32_e32 v8, s35
	s_xor_b32 exec_lo, exec_lo, s36
	s_cbranch_execnz .LBB6_1922
.LBB6_851:                              ;   in Loop: Header=BB6_144 Depth=3
	s_or_b32 exec_lo, exec_lo, s36
	s_and_saveexec_b32 s35, s13
	s_cbranch_execz .LBB6_853
.LBB6_852:                              ;   in Loop: Header=BB6_144 Depth=3
	v_bfe_u32 v8, v10, 16, 2
	v_lshlrev_b32_e32 v27, 8, v10
	s_delay_alu instid0(VALU_DEP_2) | instskip(NEXT) | instid1(VALU_DEP_1)
	v_clz_i32_u32_e32 v9, v8
	v_min_u32_e32 v9, 32, v9
	s_delay_alu instid0(VALU_DEP_1) | instskip(SKIP_1) | instid1(VALU_DEP_2)
	v_subrev_nc_u32_e32 v26, 29, v9
	v_sub_nc_u32_e32 v9, 30, v9
	v_lshlrev_b32_e32 v2, v26, v2
	v_bfe_u32 v26, v10, 18, 5
	s_delay_alu instid0(VALU_DEP_1) | instskip(NEXT) | instid1(VALU_DEP_3)
	v_cmp_eq_u32_e32 vcc_lo, 0, v26
	v_dual_cndmask_b32 v9, v26, v9 :: v_dual_and_b32 v2, 3, v2
	s_delay_alu instid0(VALU_DEP_1) | instskip(SKIP_1) | instid1(VALU_DEP_3)
	v_cndmask_b32_e32 v2, v8, v2, vcc_lo
	v_and_b32_e32 v8, 0x80000000, v27
	v_lshl_add_u32 v9, v9, 23, 0x37800000
	s_delay_alu instid0(VALU_DEP_3) | instskip(NEXT) | instid1(VALU_DEP_1)
	v_lshlrev_b32_e32 v2, 21, v2
	v_or3_b32 v8, v8, v9, v2
.LBB6_853:                              ;   in Loop: Header=BB6_144 Depth=3
	s_or_b32 exec_lo, exec_lo, s35
	s_delay_alu instid0(VALU_DEP_1) | instskip(SKIP_1) | instid1(VALU_DEP_1)
	v_dual_mul_f32 v2, s34, v8 :: v_dual_mov_b32 v149, 0x80
	s_mov_b32 s35, exec_lo
	v_and_b32_e32 v8, 0x7f800000, v2
	s_delay_alu instid0(VALU_DEP_1)
	v_cmpx_ne_u32_e32 0x7f800000, v8
	s_cbranch_execz .LBB6_861
; %bb.854:                              ;   in Loop: Header=BB6_144 Depth=3
	v_mov_b32_e32 v149, 0
	s_mov_b32 s36, exec_lo
	v_cmpx_ne_u32_e32 0, v2
	s_cbranch_execz .LBB6_860
; %bb.855:                              ;   in Loop: Header=BB6_144 Depth=3
	v_bfe_u32 v8, v2, 23, 8
	v_and_b32_e32 v9, 0x7fffff, v2
	s_delay_alu instid0(VALU_DEP_2) | instskip(SKIP_1) | instid1(VALU_DEP_3)
	v_sub_nc_u32_e32 v26, 0x70, v8
	v_cmp_gt_u32_e32 vcc_lo, 0x71, v8
	v_or_b32_e32 v27, 0x800000, v9
	s_delay_alu instid0(VALU_DEP_3) | instskip(SKIP_1) | instid1(VALU_DEP_3)
	v_cndmask_b32_e32 v26, 0, v26, vcc_lo
	v_cmp_eq_u32_e32 vcc_lo, 0, v8
	v_dual_cndmask_b32 v9, v27, v9 :: v_dual_add_nc_u32 v8, 0xffffff91, v8
	s_delay_alu instid0(VALU_DEP_3) | instskip(NEXT) | instid1(VALU_DEP_2)
	v_cndmask_b32_e64 v26, v26, 0x6f, vcc_lo
	v_cndmask_b32_e64 v8, v8, 0xffffff92, vcc_lo
	s_delay_alu instid0(VALU_DEP_2) | instskip(SKIP_2) | instid1(VALU_DEP_4)
	v_lshrrev_b32_e32 v36, v26, v9
	v_lshl_add_u32 v27, 0x200000, v26, -1
	v_lshlrev_b32_e64 v38, v26, 0x100000
	v_add_nc_u32_e32 v26, v26, v8
	s_delay_alu instid0(VALU_DEP_4) | instskip(NEXT) | instid1(VALU_DEP_4)
	v_bfe_u32 v37, v36, 21, 1
	v_and_b32_e32 v9, v27, v9
	s_delay_alu instid0(VALU_DEP_2) | instskip(NEXT) | instid1(VALU_DEP_2)
	v_add_nc_u32_e32 v27, -1, v37
	v_cmp_eq_u32_e64 s13, v9, v38
	s_delay_alu instid0(VALU_DEP_1) | instskip(SKIP_2) | instid1(VALU_DEP_2)
	v_cndmask_b32_e64 v9, 0, v27, s13
	v_lshrrev_b32_e32 v27, 23, v36
	s_mov_b32 s13, exec_lo
	v_add_nc_u32_e32 v9, v9, v36
	s_delay_alu instid0(VALU_DEP_2) | instskip(NEXT) | instid1(VALU_DEP_2)
	v_xor_b32_e32 v27, 1, v27
	v_and_b32_e32 v8, 0x1fffff, v9
	s_delay_alu instid0(VALU_DEP_1) | instskip(NEXT) | instid1(VALU_DEP_3)
	v_add_nc_u32_e32 v9, v8, v36
                                        ; implicit-def: $vgpr8
	v_cmpx_ne_u32_e64 v26, v27
	s_xor_b32 s13, exec_lo, s13
; %bb.856:                              ;   in Loop: Header=BB6_144 Depth=3
	s_delay_alu instid0(VALU_DEP_2) | instskip(SKIP_2) | instid1(VALU_DEP_2)
	v_cmp_lt_u32_e32 vcc_lo, 0xffffff, v9
	v_sub_nc_u32_e32 v8, v26, v27
	v_cndmask_b32_e64 v26, 0, 1, vcc_lo
	v_add_co_ci_u32_e32 v8, vcc_lo, 0, v8, vcc_lo
	s_delay_alu instid0(VALU_DEP_2)
	v_lshrrev_b32_e32 v9, v26, v9
; %bb.857:                              ;   in Loop: Header=BB6_144 Depth=3
	s_and_not1_saveexec_b32 s13, s13
; %bb.858:                              ;   in Loop: Header=BB6_144 Depth=3
	s_delay_alu instid0(VALU_DEP_1)
	v_bfe_u32 v8, v9, 23, 1
; %bb.859:                              ;   in Loop: Header=BB6_144 Depth=3
	s_or_b32 exec_lo, exec_lo, s13
	v_lshrrev_b32_e32 v9, 21, v9
	s_delay_alu instid0(VALU_DEP_2) | instskip(SKIP_3) | instid1(VALU_DEP_3)
	v_cmp_gt_i32_e32 vcc_lo, 32, v8
	v_lshrrev_b32_e32 v2, 24, v2
	v_min_i32_e32 v26, 31, v8
	v_mov_b32_e32 v51, v128
	v_dual_cndmask_b32 v9, 3, v9 :: v_dual_and_b32 v2, 0x80, v2
	s_delay_alu instid0(VALU_DEP_3) | instskip(NEXT) | instid1(VALU_DEP_2)
	v_lshlrev_b32_e32 v26, 2, v26
	v_and_b32_e32 v27, 3, v9
	v_or_b32_e32 v8, v8, v9
	s_delay_alu instid0(VALU_DEP_2) | instskip(NEXT) | instid1(VALU_DEP_2)
	v_or3_b32 v2, v26, v2, v27
	v_cmp_ne_u32_e32 vcc_lo, 0, v8
	s_delay_alu instid0(VALU_DEP_2)
	v_cndmask_b32_e32 v149, 0, v2, vcc_lo
.LBB6_860:                              ;   in Loop: Header=BB6_144 Depth=3
	s_or_b32 exec_lo, exec_lo, s36
.LBB6_861:                              ;   in Loop: Header=BB6_144 Depth=3
	s_delay_alu instid0(SALU_CYCLE_1) | instskip(SKIP_3) | instid1(VALU_DEP_1)
	s_or_b32 exec_lo, exec_lo, s35
	v_lshrrev_b32_e32 v2, 24, v10
	s_mov_b32 s13, 0
	s_mov_b32 s36, exec_lo
                                        ; implicit-def: $sgpr35
	v_cmpx_lt_i16_e32 0x7f, v2
	s_xor_b32 s36, exec_lo, s36
	s_cbranch_execnz .LBB6_1923
; %bb.862:                              ;   in Loop: Header=BB6_144 Depth=3
	s_or_saveexec_b32 s36, s36
	v_mov_b32_e32 v8, s35
	s_xor_b32 exec_lo, exec_lo, s36
	s_cbranch_execnz .LBB6_1926
.LBB6_863:                              ;   in Loop: Header=BB6_144 Depth=3
	s_or_b32 exec_lo, exec_lo, s36
	s_and_saveexec_b32 s35, s13
	s_cbranch_execz .LBB6_865
.LBB6_864:                              ;   in Loop: Header=BB6_144 Depth=3
	v_bfe_u32 v8, v10, 24, 2
	s_delay_alu instid0(VALU_DEP_1) | instskip(NEXT) | instid1(VALU_DEP_1)
	v_clz_i32_u32_e32 v9, v8
	v_min_u32_e32 v9, 32, v9
	s_delay_alu instid0(VALU_DEP_1) | instskip(SKIP_1) | instid1(VALU_DEP_2)
	v_subrev_nc_u32_e32 v26, 29, v9
	v_sub_nc_u32_e32 v9, 30, v9
	v_lshlrev_b32_e32 v2, v26, v2
	v_bfe_u32 v26, v10, 26, 5
	s_delay_alu instid0(VALU_DEP_1) | instskip(NEXT) | instid1(VALU_DEP_3)
	v_cmp_eq_u32_e32 vcc_lo, 0, v26
	v_dual_cndmask_b32 v9, v26, v9 :: v_dual_and_b32 v2, 3, v2
	s_delay_alu instid0(VALU_DEP_1) | instskip(SKIP_1) | instid1(VALU_DEP_3)
	v_cndmask_b32_e32 v2, v8, v2, vcc_lo
	v_and_b32_e32 v8, 0x80000000, v10
	v_lshl_add_u32 v9, v9, 23, 0x37800000
	s_delay_alu instid0(VALU_DEP_3) | instskip(NEXT) | instid1(VALU_DEP_1)
	v_lshlrev_b32_e32 v2, 21, v2
	v_or3_b32 v8, v8, v9, v2
.LBB6_865:                              ;   in Loop: Header=BB6_144 Depth=3
	s_or_b32 exec_lo, exec_lo, s35
	s_delay_alu instid0(VALU_DEP_1) | instskip(SKIP_1) | instid1(VALU_DEP_1)
	v_dual_mul_f32 v2, s34, v8 :: v_dual_mov_b32 v151, 0x80
	s_mov_b32 s35, exec_lo
	v_and_b32_e32 v8, 0x7f800000, v2
	s_delay_alu instid0(VALU_DEP_1)
	v_cmpx_ne_u32_e32 0x7f800000, v8
	s_cbranch_execz .LBB6_873
; %bb.866:                              ;   in Loop: Header=BB6_144 Depth=3
	v_mov_b32_e32 v151, 0
	s_mov_b32 s36, exec_lo
	v_cmpx_ne_u32_e32 0, v2
	s_cbranch_execz .LBB6_872
; %bb.867:                              ;   in Loop: Header=BB6_144 Depth=3
	v_bfe_u32 v8, v2, 23, 8
	v_and_b32_e32 v9, 0x7fffff, v2
	s_delay_alu instid0(VALU_DEP_2) | instskip(SKIP_1) | instid1(VALU_DEP_3)
	v_sub_nc_u32_e32 v10, 0x70, v8
	v_cmp_gt_u32_e32 vcc_lo, 0x71, v8
	v_or_b32_e32 v26, 0x800000, v9
	s_delay_alu instid0(VALU_DEP_3) | instskip(SKIP_1) | instid1(VALU_DEP_3)
	v_cndmask_b32_e32 v10, 0, v10, vcc_lo
	v_cmp_eq_u32_e32 vcc_lo, 0, v8
	v_dual_cndmask_b32 v9, v26, v9 :: v_dual_add_nc_u32 v8, 0xffffff91, v8
	s_delay_alu instid0(VALU_DEP_3) | instskip(NEXT) | instid1(VALU_DEP_2)
	v_cndmask_b32_e64 v10, v10, 0x6f, vcc_lo
	v_cndmask_b32_e64 v8, v8, 0xffffff92, vcc_lo
	s_delay_alu instid0(VALU_DEP_2) | instskip(SKIP_2) | instid1(VALU_DEP_4)
	v_lshrrev_b32_e32 v27, v10, v9
	v_lshl_add_u32 v26, 0x200000, v10, -1
	v_lshlrev_b32_e64 v37, v10, 0x100000
	v_add_nc_u32_e32 v10, v10, v8
	s_delay_alu instid0(VALU_DEP_4) | instskip(NEXT) | instid1(VALU_DEP_4)
	v_bfe_u32 v36, v27, 21, 1
	v_and_b32_e32 v9, v26, v9
	s_delay_alu instid0(VALU_DEP_2) | instskip(NEXT) | instid1(VALU_DEP_2)
	v_add_nc_u32_e32 v26, -1, v36
	v_cmp_eq_u32_e64 s13, v9, v37
	s_delay_alu instid0(VALU_DEP_1) | instskip(SKIP_2) | instid1(VALU_DEP_2)
	v_cndmask_b32_e64 v9, 0, v26, s13
	v_lshrrev_b32_e32 v26, 23, v27
	s_mov_b32 s13, exec_lo
	v_add_nc_u32_e32 v9, v9, v27
	s_delay_alu instid0(VALU_DEP_2) | instskip(NEXT) | instid1(VALU_DEP_2)
	v_xor_b32_e32 v26, 1, v26
	v_and_b32_e32 v8, 0x1fffff, v9
	s_delay_alu instid0(VALU_DEP_1) | instskip(NEXT) | instid1(VALU_DEP_3)
	v_add_nc_u32_e32 v9, v8, v27
                                        ; implicit-def: $vgpr8
	v_cmpx_ne_u32_e64 v10, v26
	s_xor_b32 s13, exec_lo, s13
; %bb.868:                              ;   in Loop: Header=BB6_144 Depth=3
	s_delay_alu instid0(VALU_DEP_2) | instskip(SKIP_2) | instid1(VALU_DEP_2)
	v_cmp_lt_u32_e32 vcc_lo, 0xffffff, v9
	v_sub_nc_u32_e32 v8, v10, v26
	v_cndmask_b32_e64 v10, 0, 1, vcc_lo
	v_add_co_ci_u32_e32 v8, vcc_lo, 0, v8, vcc_lo
	s_delay_alu instid0(VALU_DEP_2)
	v_lshrrev_b32_e32 v9, v10, v9
; %bb.869:                              ;   in Loop: Header=BB6_144 Depth=3
	s_and_not1_saveexec_b32 s13, s13
; %bb.870:                              ;   in Loop: Header=BB6_144 Depth=3
	s_delay_alu instid0(VALU_DEP_1)
	v_bfe_u32 v8, v9, 23, 1
; %bb.871:                              ;   in Loop: Header=BB6_144 Depth=3
	s_or_b32 exec_lo, exec_lo, s13
	v_lshrrev_b32_e32 v9, 21, v9
	s_delay_alu instid0(VALU_DEP_2) | instskip(SKIP_3) | instid1(VALU_DEP_3)
	v_cmp_gt_i32_e32 vcc_lo, 32, v8
	v_lshrrev_b32_e32 v2, 24, v2
	v_min_i32_e32 v10, 31, v8
	v_mov_b32_e32 v51, v128
	v_dual_cndmask_b32 v9, 3, v9 :: v_dual_and_b32 v2, 0x80, v2
	s_delay_alu instid0(VALU_DEP_3) | instskip(NEXT) | instid1(VALU_DEP_2)
	v_lshlrev_b32_e32 v10, 2, v10
	v_or_b32_e32 v8, v8, v9
	s_delay_alu instid0(VALU_DEP_1) | instskip(SKIP_1) | instid1(VALU_DEP_1)
	v_cmp_ne_u32_e32 vcc_lo, 0, v8
	v_and_b32_e32 v26, 3, v9
	v_or3_b32 v2, v10, v2, v26
	s_delay_alu instid0(VALU_DEP_1)
	v_cndmask_b32_e32 v151, 0, v2, vcc_lo
.LBB6_872:                              ;   in Loop: Header=BB6_144 Depth=3
	s_or_b32 exec_lo, exec_lo, s36
.LBB6_873:                              ;   in Loop: Header=BB6_144 Depth=3
	s_delay_alu instid0(SALU_CYCLE_1) | instskip(SKIP_3) | instid1(VALU_DEP_1)
	s_or_b32 exec_lo, exec_lo, s35
	v_and_b32_e32 v8, 0xff, v11
	s_mov_b32 s13, 0
	s_mov_b32 s36, exec_lo
                                        ; implicit-def: $sgpr35
	v_cmpx_lt_i16_e32 0x7f, v8
	s_xor_b32 s36, exec_lo, s36
	s_cbranch_execnz .LBB6_1927
; %bb.874:                              ;   in Loop: Header=BB6_144 Depth=3
	s_or_saveexec_b32 s36, s36
	v_mov_b32_e32 v2, s35
	s_xor_b32 exec_lo, exec_lo, s36
	s_cbranch_execnz .LBB6_1930
.LBB6_875:                              ;   in Loop: Header=BB6_144 Depth=3
	s_or_b32 exec_lo, exec_lo, s36
	s_and_saveexec_b32 s35, s13
	s_cbranch_execz .LBB6_877
.LBB6_876:                              ;   in Loop: Header=BB6_144 Depth=3
	v_and_b32_e32 v2, 3, v11
	v_bfe_u32 v10, v11, 2, 5
	v_lshlrev_b32_e32 v26, 24, v11
	s_delay_alu instid0(VALU_DEP_3) | instskip(NEXT) | instid1(VALU_DEP_3)
	v_clz_i32_u32_e32 v8, v2
	v_cmp_eq_u32_e32 vcc_lo, 0, v10
	s_delay_alu instid0(VALU_DEP_2) | instskip(NEXT) | instid1(VALU_DEP_1)
	v_min_u32_e32 v8, 32, v8
	v_subrev_nc_u32_e32 v9, 29, v8
	v_sub_nc_u32_e32 v8, 30, v8
	s_delay_alu instid0(VALU_DEP_1) | instskip(NEXT) | instid1(VALU_DEP_1)
	v_dual_cndmask_b32 v8, v10, v8 :: v_dual_lshlrev_b32 v9, v9, v11
	v_and_b32_e32 v9, 3, v9
	s_delay_alu instid0(VALU_DEP_2) | instskip(NEXT) | instid1(VALU_DEP_2)
	v_lshl_add_u32 v8, v8, 23, 0x37800000
	v_dual_cndmask_b32 v2, v2, v9 :: v_dual_and_b32 v9, 0x80000000, v26
	s_delay_alu instid0(VALU_DEP_1) | instskip(NEXT) | instid1(VALU_DEP_1)
	v_lshlrev_b32_e32 v2, 21, v2
	v_or3_b32 v2, v9, v8, v2
.LBB6_877:                              ;   in Loop: Header=BB6_144 Depth=3
	s_or_b32 exec_lo, exec_lo, s35
	s_delay_alu instid0(VALU_DEP_1) | instskip(SKIP_2) | instid1(VALU_DEP_2)
	v_mul_f32_e32 v2, s34, v2
	v_mov_b32_e32 v150, 0x80
	s_mov_b32 s35, exec_lo
	v_and_b32_e32 v8, 0x7f800000, v2
	s_delay_alu instid0(VALU_DEP_1)
	v_cmpx_ne_u32_e32 0x7f800000, v8
	s_cbranch_execz .LBB6_885
; %bb.878:                              ;   in Loop: Header=BB6_144 Depth=3
	v_mov_b32_e32 v150, 0
	s_mov_b32 s36, exec_lo
	v_cmpx_ne_u32_e32 0, v2
	s_cbranch_execz .LBB6_884
; %bb.879:                              ;   in Loop: Header=BB6_144 Depth=3
	v_bfe_u32 v8, v2, 23, 8
	v_and_b32_e32 v9, 0x7fffff, v2
	s_delay_alu instid0(VALU_DEP_2) | instskip(SKIP_1) | instid1(VALU_DEP_3)
	v_sub_nc_u32_e32 v10, 0x70, v8
	v_cmp_gt_u32_e32 vcc_lo, 0x71, v8
	v_or_b32_e32 v26, 0x800000, v9
	s_delay_alu instid0(VALU_DEP_3) | instskip(SKIP_1) | instid1(VALU_DEP_3)
	v_cndmask_b32_e32 v10, 0, v10, vcc_lo
	v_cmp_eq_u32_e32 vcc_lo, 0, v8
	v_dual_cndmask_b32 v9, v26, v9 :: v_dual_add_nc_u32 v8, 0xffffff91, v8
	s_delay_alu instid0(VALU_DEP_3) | instskip(NEXT) | instid1(VALU_DEP_2)
	v_cndmask_b32_e64 v10, v10, 0x6f, vcc_lo
	v_cndmask_b32_e64 v8, v8, 0xffffff92, vcc_lo
	s_delay_alu instid0(VALU_DEP_2) | instskip(SKIP_2) | instid1(VALU_DEP_4)
	v_lshrrev_b32_e32 v27, v10, v9
	v_lshl_add_u32 v26, 0x200000, v10, -1
	v_lshlrev_b32_e64 v37, v10, 0x100000
	v_add_nc_u32_e32 v10, v10, v8
	s_delay_alu instid0(VALU_DEP_4) | instskip(NEXT) | instid1(VALU_DEP_4)
	v_bfe_u32 v36, v27, 21, 1
	v_and_b32_e32 v9, v26, v9
	s_delay_alu instid0(VALU_DEP_2) | instskip(NEXT) | instid1(VALU_DEP_2)
	v_add_nc_u32_e32 v26, -1, v36
	v_cmp_eq_u32_e64 s13, v9, v37
	s_delay_alu instid0(VALU_DEP_1) | instskip(SKIP_2) | instid1(VALU_DEP_2)
	v_cndmask_b32_e64 v9, 0, v26, s13
	v_lshrrev_b32_e32 v26, 23, v27
	s_mov_b32 s13, exec_lo
	v_add_nc_u32_e32 v9, v9, v27
	s_delay_alu instid0(VALU_DEP_2) | instskip(NEXT) | instid1(VALU_DEP_2)
	v_xor_b32_e32 v26, 1, v26
	v_and_b32_e32 v8, 0x1fffff, v9
	s_delay_alu instid0(VALU_DEP_1) | instskip(NEXT) | instid1(VALU_DEP_3)
	v_add_nc_u32_e32 v9, v8, v27
                                        ; implicit-def: $vgpr8
	v_cmpx_ne_u32_e64 v10, v26
	s_xor_b32 s13, exec_lo, s13
; %bb.880:                              ;   in Loop: Header=BB6_144 Depth=3
	s_delay_alu instid0(VALU_DEP_2) | instskip(SKIP_2) | instid1(VALU_DEP_2)
	v_cmp_lt_u32_e32 vcc_lo, 0xffffff, v9
	v_sub_nc_u32_e32 v8, v10, v26
	v_cndmask_b32_e64 v10, 0, 1, vcc_lo
	v_add_co_ci_u32_e32 v8, vcc_lo, 0, v8, vcc_lo
	s_delay_alu instid0(VALU_DEP_2)
	v_lshrrev_b32_e32 v9, v10, v9
; %bb.881:                              ;   in Loop: Header=BB6_144 Depth=3
	s_and_not1_saveexec_b32 s13, s13
; %bb.882:                              ;   in Loop: Header=BB6_144 Depth=3
	s_delay_alu instid0(VALU_DEP_1)
	v_bfe_u32 v8, v9, 23, 1
; %bb.883:                              ;   in Loop: Header=BB6_144 Depth=3
	s_or_b32 exec_lo, exec_lo, s13
	v_lshrrev_b32_e32 v9, 21, v9
	s_delay_alu instid0(VALU_DEP_2) | instskip(SKIP_2) | instid1(VALU_DEP_3)
	v_min_i32_e32 v10, 31, v8
	v_cmp_gt_i32_e32 vcc_lo, 32, v8
	v_lshrrev_b32_e32 v2, 24, v2
	v_dual_mov_b32 v51, v128 :: v_dual_lshlrev_b32 v10, 2, v10
	s_delay_alu instid0(VALU_DEP_2) | instskip(NEXT) | instid1(VALU_DEP_2)
	v_dual_cndmask_b32 v9, 3, v9 :: v_dual_and_b32 v2, 0x80, v2
	v_and_b32_e32 v10, 0xfc, v10
	s_delay_alu instid0(VALU_DEP_2) | instskip(SKIP_1) | instid1(VALU_DEP_2)
	v_and_b32_e32 v26, 3, v9
	v_or_b32_e32 v8, v8, v9
	v_or3_b32 v2, v10, v2, v26
	s_delay_alu instid0(VALU_DEP_2) | instskip(NEXT) | instid1(VALU_DEP_2)
	v_cmp_ne_u32_e32 vcc_lo, 0, v8
	v_cndmask_b32_e32 v150, 0, v2, vcc_lo
.LBB6_884:                              ;   in Loop: Header=BB6_144 Depth=3
	s_or_b32 exec_lo, exec_lo, s36
.LBB6_885:                              ;   in Loop: Header=BB6_144 Depth=3
	s_delay_alu instid0(SALU_CYCLE_1) | instskip(SKIP_3) | instid1(VALU_DEP_1)
	s_or_b32 exec_lo, exec_lo, s35
	v_lshrrev_b16 v2, 8, v11
	s_mov_b32 s13, 0
	s_mov_b32 s36, exec_lo
                                        ; implicit-def: $sgpr35
	v_cmpx_lt_i16_e32 0x7f, v2
	s_xor_b32 s36, exec_lo, s36
	s_cbranch_execnz .LBB6_1931
; %bb.886:                              ;   in Loop: Header=BB6_144 Depth=3
	s_or_saveexec_b32 s36, s36
	v_mov_b32_e32 v8, s35
	s_xor_b32 exec_lo, exec_lo, s36
	s_cbranch_execnz .LBB6_1934
.LBB6_887:                              ;   in Loop: Header=BB6_144 Depth=3
	s_or_b32 exec_lo, exec_lo, s36
	s_and_saveexec_b32 s35, s13
	s_cbranch_execz .LBB6_889
.LBB6_888:                              ;   in Loop: Header=BB6_144 Depth=3
	v_and_b32_e32 v8, 0xffff, v2
	v_lshlrev_b32_e32 v2, 24, v2
	s_delay_alu instid0(VALU_DEP_2) | instskip(NEXT) | instid1(VALU_DEP_2)
	v_and_b32_e32 v9, 3, v8
	v_and_b32_e32 v2, 0x80000000, v2
	s_delay_alu instid0(VALU_DEP_2) | instskip(NEXT) | instid1(VALU_DEP_1)
	v_clz_i32_u32_e32 v10, v9
	v_min_u32_e32 v10, 32, v10
	s_delay_alu instid0(VALU_DEP_1) | instskip(SKIP_1) | instid1(VALU_DEP_2)
	v_subrev_nc_u32_e32 v26, 29, v10
	v_sub_nc_u32_e32 v10, 30, v10
	v_lshlrev_b32_e32 v26, v26, v8
	v_bfe_u32 v8, v8, 2, 5
	s_delay_alu instid0(VALU_DEP_2) | instskip(NEXT) | instid1(VALU_DEP_2)
	v_and_b32_e32 v26, 3, v26
	v_cmp_eq_u32_e32 vcc_lo, 0, v8
	v_cndmask_b32_e32 v8, v8, v10, vcc_lo
	s_delay_alu instid0(VALU_DEP_3) | instskip(NEXT) | instid1(VALU_DEP_2)
	v_cndmask_b32_e32 v9, v9, v26, vcc_lo
	v_lshl_add_u32 v8, v8, 23, 0x37800000
	s_delay_alu instid0(VALU_DEP_2) | instskip(NEXT) | instid1(VALU_DEP_1)
	v_lshlrev_b32_e32 v9, 21, v9
	v_or3_b32 v8, v2, v8, v9
.LBB6_889:                              ;   in Loop: Header=BB6_144 Depth=3
	s_or_b32 exec_lo, exec_lo, s35
	s_delay_alu instid0(VALU_DEP_1) | instskip(SKIP_2) | instid1(VALU_DEP_2)
	v_mul_f32_e32 v2, s34, v8
	v_mov_b32_e32 v160, 0x8000
	s_mov_b32 s35, exec_lo
	v_and_b32_e32 v8, 0x7f800000, v2
	s_delay_alu instid0(VALU_DEP_1)
	v_cmpx_ne_u32_e32 0x7f800000, v8
	s_cbranch_execz .LBB6_897
; %bb.890:                              ;   in Loop: Header=BB6_144 Depth=3
	v_mov_b32_e32 v160, 0
	s_mov_b32 s36, exec_lo
	v_cmpx_ne_u32_e32 0, v2
	s_cbranch_execz .LBB6_896
; %bb.891:                              ;   in Loop: Header=BB6_144 Depth=3
	v_bfe_u32 v8, v2, 23, 8
	v_and_b32_e32 v9, 0x7fffff, v2
	s_delay_alu instid0(VALU_DEP_2) | instskip(SKIP_1) | instid1(VALU_DEP_3)
	v_sub_nc_u32_e32 v10, 0x70, v8
	v_cmp_gt_u32_e32 vcc_lo, 0x71, v8
	v_or_b32_e32 v26, 0x800000, v9
	s_delay_alu instid0(VALU_DEP_3) | instskip(SKIP_1) | instid1(VALU_DEP_3)
	v_cndmask_b32_e32 v10, 0, v10, vcc_lo
	v_cmp_eq_u32_e32 vcc_lo, 0, v8
	v_dual_cndmask_b32 v9, v26, v9 :: v_dual_add_nc_u32 v8, 0xffffff91, v8
	s_delay_alu instid0(VALU_DEP_3) | instskip(NEXT) | instid1(VALU_DEP_2)
	v_cndmask_b32_e64 v10, v10, 0x6f, vcc_lo
	v_cndmask_b32_e64 v8, v8, 0xffffff92, vcc_lo
	s_delay_alu instid0(VALU_DEP_2) | instskip(SKIP_2) | instid1(VALU_DEP_4)
	v_lshrrev_b32_e32 v27, v10, v9
	v_lshl_add_u32 v26, 0x200000, v10, -1
	v_lshlrev_b32_e64 v37, v10, 0x100000
	v_add_nc_u32_e32 v10, v10, v8
	s_delay_alu instid0(VALU_DEP_4) | instskip(NEXT) | instid1(VALU_DEP_4)
	v_bfe_u32 v36, v27, 21, 1
	v_and_b32_e32 v9, v26, v9
	s_delay_alu instid0(VALU_DEP_2) | instskip(NEXT) | instid1(VALU_DEP_2)
	v_add_nc_u32_e32 v26, -1, v36
	v_cmp_eq_u32_e64 s13, v9, v37
	s_delay_alu instid0(VALU_DEP_1) | instskip(SKIP_2) | instid1(VALU_DEP_2)
	v_cndmask_b32_e64 v9, 0, v26, s13
	v_lshrrev_b32_e32 v26, 23, v27
	s_mov_b32 s13, exec_lo
	v_add_nc_u32_e32 v9, v9, v27
	s_delay_alu instid0(VALU_DEP_2) | instskip(NEXT) | instid1(VALU_DEP_2)
	v_xor_b32_e32 v26, 1, v26
	v_and_b32_e32 v8, 0x1fffff, v9
	s_delay_alu instid0(VALU_DEP_1) | instskip(NEXT) | instid1(VALU_DEP_3)
	v_add_nc_u32_e32 v9, v8, v27
                                        ; implicit-def: $vgpr8
	v_cmpx_ne_u32_e64 v10, v26
	s_xor_b32 s13, exec_lo, s13
; %bb.892:                              ;   in Loop: Header=BB6_144 Depth=3
	s_delay_alu instid0(VALU_DEP_2) | instskip(SKIP_2) | instid1(VALU_DEP_2)
	v_cmp_lt_u32_e32 vcc_lo, 0xffffff, v9
	v_sub_nc_u32_e32 v8, v10, v26
	v_cndmask_b32_e64 v10, 0, 1, vcc_lo
	v_add_co_ci_u32_e32 v8, vcc_lo, 0, v8, vcc_lo
	s_delay_alu instid0(VALU_DEP_2)
	v_lshrrev_b32_e32 v9, v10, v9
; %bb.893:                              ;   in Loop: Header=BB6_144 Depth=3
	s_and_not1_saveexec_b32 s13, s13
; %bb.894:                              ;   in Loop: Header=BB6_144 Depth=3
	s_delay_alu instid0(VALU_DEP_1)
	v_bfe_u32 v8, v9, 23, 1
; %bb.895:                              ;   in Loop: Header=BB6_144 Depth=3
	s_or_b32 exec_lo, exec_lo, s13
	v_lshrrev_b32_e32 v9, 21, v9
	s_delay_alu instid0(VALU_DEP_2) | instskip(SKIP_2) | instid1(VALU_DEP_3)
	v_min_i32_e32 v10, 31, v8
	v_cmp_gt_i32_e32 vcc_lo, 32, v8
	v_lshrrev_b32_e32 v2, 24, v2
	v_dual_mov_b32 v51, v128 :: v_dual_lshlrev_b32 v10, 2, v10
	s_delay_alu instid0(VALU_DEP_2) | instskip(NEXT) | instid1(VALU_DEP_2)
	v_dual_cndmask_b32 v9, 3, v9 :: v_dual_and_b32 v2, 0x80, v2
	v_and_b32_e32 v10, 0xfc, v10
	s_delay_alu instid0(VALU_DEP_2) | instskip(SKIP_1) | instid1(VALU_DEP_2)
	v_and_b32_e32 v26, 3, v9
	v_or_b32_e32 v8, v8, v9
	v_or3_b32 v2, v2, v10, v26
	s_delay_alu instid0(VALU_DEP_2) | instskip(NEXT) | instid1(VALU_DEP_2)
	v_cmp_ne_u32_e32 vcc_lo, 0, v8
	v_lshlrev_b32_e32 v2, 8, v2
	s_delay_alu instid0(VALU_DEP_1)
	v_cndmask_b32_e32 v160, 0, v2, vcc_lo
.LBB6_896:                              ;   in Loop: Header=BB6_144 Depth=3
	s_or_b32 exec_lo, exec_lo, s36
.LBB6_897:                              ;   in Loop: Header=BB6_144 Depth=3
	s_delay_alu instid0(SALU_CYCLE_1) | instskip(SKIP_3) | instid1(VALU_DEP_1)
	s_or_b32 exec_lo, exec_lo, s35
	v_lshrrev_b32_e32 v2, 16, v11
	s_mov_b32 s13, 0
	s_mov_b32 s36, exec_lo
                                        ; implicit-def: $sgpr35
	v_and_b32_e32 v9, 0xff, v2
	s_delay_alu instid0(VALU_DEP_1)
	v_cmpx_lt_i16_e32 0x7f, v9
	s_xor_b32 s36, exec_lo, s36
	s_cbranch_execnz .LBB6_1935
; %bb.898:                              ;   in Loop: Header=BB6_144 Depth=3
	s_or_saveexec_b32 s36, s36
	v_mov_b32_e32 v8, s35
	s_xor_b32 exec_lo, exec_lo, s36
	s_cbranch_execnz .LBB6_1938
.LBB6_899:                              ;   in Loop: Header=BB6_144 Depth=3
	s_or_b32 exec_lo, exec_lo, s36
	s_and_saveexec_b32 s35, s13
	s_cbranch_execz .LBB6_901
.LBB6_900:                              ;   in Loop: Header=BB6_144 Depth=3
	v_bfe_u32 v8, v11, 16, 2
	v_lshlrev_b32_e32 v26, 8, v11
	s_delay_alu instid0(VALU_DEP_2) | instskip(NEXT) | instid1(VALU_DEP_1)
	v_clz_i32_u32_e32 v9, v8
	v_min_u32_e32 v9, 32, v9
	s_delay_alu instid0(VALU_DEP_1) | instskip(SKIP_1) | instid1(VALU_DEP_2)
	v_subrev_nc_u32_e32 v10, 29, v9
	v_sub_nc_u32_e32 v9, 30, v9
	v_lshlrev_b32_e32 v2, v10, v2
	v_bfe_u32 v10, v11, 18, 5
	s_delay_alu instid0(VALU_DEP_1) | instskip(NEXT) | instid1(VALU_DEP_3)
	v_cmp_eq_u32_e32 vcc_lo, 0, v10
	v_dual_cndmask_b32 v9, v10, v9 :: v_dual_and_b32 v2, 3, v2
	s_delay_alu instid0(VALU_DEP_1) | instskip(SKIP_1) | instid1(VALU_DEP_3)
	v_cndmask_b32_e32 v2, v8, v2, vcc_lo
	v_and_b32_e32 v8, 0x80000000, v26
	v_lshl_add_u32 v9, v9, 23, 0x37800000
	s_delay_alu instid0(VALU_DEP_3) | instskip(NEXT) | instid1(VALU_DEP_1)
	v_lshlrev_b32_e32 v2, 21, v2
	v_or3_b32 v8, v8, v9, v2
.LBB6_901:                              ;   in Loop: Header=BB6_144 Depth=3
	s_or_b32 exec_lo, exec_lo, s35
	s_delay_alu instid0(VALU_DEP_1) | instskip(SKIP_1) | instid1(VALU_DEP_1)
	v_dual_mul_f32 v2, s34, v8 :: v_dual_mov_b32 v161, 0x80
	s_mov_b32 s35, exec_lo
	v_and_b32_e32 v8, 0x7f800000, v2
	s_delay_alu instid0(VALU_DEP_1)
	v_cmpx_ne_u32_e32 0x7f800000, v8
	s_cbranch_execz .LBB6_909
; %bb.902:                              ;   in Loop: Header=BB6_144 Depth=3
	v_mov_b32_e32 v161, 0
	s_mov_b32 s36, exec_lo
	v_cmpx_ne_u32_e32 0, v2
	s_cbranch_execz .LBB6_908
; %bb.903:                              ;   in Loop: Header=BB6_144 Depth=3
	v_bfe_u32 v8, v2, 23, 8
	v_and_b32_e32 v9, 0x7fffff, v2
	s_delay_alu instid0(VALU_DEP_2) | instskip(SKIP_1) | instid1(VALU_DEP_3)
	v_sub_nc_u32_e32 v10, 0x70, v8
	v_cmp_gt_u32_e32 vcc_lo, 0x71, v8
	v_or_b32_e32 v26, 0x800000, v9
	s_delay_alu instid0(VALU_DEP_3) | instskip(SKIP_1) | instid1(VALU_DEP_3)
	v_cndmask_b32_e32 v10, 0, v10, vcc_lo
	v_cmp_eq_u32_e32 vcc_lo, 0, v8
	v_dual_cndmask_b32 v9, v26, v9 :: v_dual_add_nc_u32 v8, 0xffffff91, v8
	s_delay_alu instid0(VALU_DEP_3) | instskip(NEXT) | instid1(VALU_DEP_2)
	v_cndmask_b32_e64 v10, v10, 0x6f, vcc_lo
	v_cndmask_b32_e64 v8, v8, 0xffffff92, vcc_lo
	s_delay_alu instid0(VALU_DEP_2) | instskip(SKIP_2) | instid1(VALU_DEP_4)
	v_lshrrev_b32_e32 v27, v10, v9
	v_lshl_add_u32 v26, 0x200000, v10, -1
	v_lshlrev_b32_e64 v37, v10, 0x100000
	v_add_nc_u32_e32 v10, v10, v8
	s_delay_alu instid0(VALU_DEP_4) | instskip(NEXT) | instid1(VALU_DEP_4)
	v_bfe_u32 v36, v27, 21, 1
	v_and_b32_e32 v9, v26, v9
	s_delay_alu instid0(VALU_DEP_2) | instskip(NEXT) | instid1(VALU_DEP_2)
	v_add_nc_u32_e32 v26, -1, v36
	v_cmp_eq_u32_e64 s13, v9, v37
	s_delay_alu instid0(VALU_DEP_1) | instskip(SKIP_2) | instid1(VALU_DEP_2)
	v_cndmask_b32_e64 v9, 0, v26, s13
	v_lshrrev_b32_e32 v26, 23, v27
	s_mov_b32 s13, exec_lo
	v_add_nc_u32_e32 v9, v9, v27
	s_delay_alu instid0(VALU_DEP_2) | instskip(NEXT) | instid1(VALU_DEP_2)
	v_xor_b32_e32 v26, 1, v26
	v_and_b32_e32 v8, 0x1fffff, v9
	s_delay_alu instid0(VALU_DEP_1) | instskip(NEXT) | instid1(VALU_DEP_3)
	v_add_nc_u32_e32 v9, v8, v27
                                        ; implicit-def: $vgpr8
	v_cmpx_ne_u32_e64 v10, v26
	s_xor_b32 s13, exec_lo, s13
; %bb.904:                              ;   in Loop: Header=BB6_144 Depth=3
	s_delay_alu instid0(VALU_DEP_2) | instskip(SKIP_2) | instid1(VALU_DEP_2)
	v_cmp_lt_u32_e32 vcc_lo, 0xffffff, v9
	v_sub_nc_u32_e32 v8, v10, v26
	v_cndmask_b32_e64 v10, 0, 1, vcc_lo
	v_add_co_ci_u32_e32 v8, vcc_lo, 0, v8, vcc_lo
	s_delay_alu instid0(VALU_DEP_2)
	v_lshrrev_b32_e32 v9, v10, v9
; %bb.905:                              ;   in Loop: Header=BB6_144 Depth=3
	s_and_not1_saveexec_b32 s13, s13
; %bb.906:                              ;   in Loop: Header=BB6_144 Depth=3
	s_delay_alu instid0(VALU_DEP_1)
	v_bfe_u32 v8, v9, 23, 1
; %bb.907:                              ;   in Loop: Header=BB6_144 Depth=3
	s_or_b32 exec_lo, exec_lo, s13
	v_lshrrev_b32_e32 v9, 21, v9
	s_delay_alu instid0(VALU_DEP_2) | instskip(SKIP_3) | instid1(VALU_DEP_3)
	v_cmp_gt_i32_e32 vcc_lo, 32, v8
	v_min_i32_e32 v10, 31, v8
	v_lshrrev_b32_e32 v2, 24, v2
	v_mov_b32_e32 v51, v128
	v_dual_cndmask_b32 v9, 3, v9 :: v_dual_lshlrev_b32 v10, 2, v10
	s_delay_alu instid0(VALU_DEP_3) | instskip(NEXT) | instid1(VALU_DEP_2)
	v_and_b32_e32 v2, 0x80, v2
	v_or_b32_e32 v8, v8, v9
	s_delay_alu instid0(VALU_DEP_3) | instskip(NEXT) | instid1(VALU_DEP_2)
	v_and_b32_e32 v10, 0xfc, v10
	v_cmp_ne_u32_e32 vcc_lo, 0, v8
	v_and_b32_e32 v26, 3, v9
	s_delay_alu instid0(VALU_DEP_1) | instskip(NEXT) | instid1(VALU_DEP_1)
	v_or3_b32 v2, v10, v2, v26
	v_cndmask_b32_e32 v161, 0, v2, vcc_lo
.LBB6_908:                              ;   in Loop: Header=BB6_144 Depth=3
	s_or_b32 exec_lo, exec_lo, s36
.LBB6_909:                              ;   in Loop: Header=BB6_144 Depth=3
	s_delay_alu instid0(SALU_CYCLE_1) | instskip(SKIP_3) | instid1(VALU_DEP_1)
	s_or_b32 exec_lo, exec_lo, s35
	v_lshrrev_b32_e32 v2, 24, v11
	s_mov_b32 s13, 0
	s_mov_b32 s36, exec_lo
                                        ; implicit-def: $sgpr35
	v_cmpx_lt_i16_e32 0x7f, v2
	s_xor_b32 s36, exec_lo, s36
	s_cbranch_execnz .LBB6_1939
; %bb.910:                              ;   in Loop: Header=BB6_144 Depth=3
	s_or_saveexec_b32 s36, s36
	v_mov_b32_e32 v8, s35
	s_xor_b32 exec_lo, exec_lo, s36
	s_cbranch_execnz .LBB6_1942
.LBB6_911:                              ;   in Loop: Header=BB6_144 Depth=3
	s_or_b32 exec_lo, exec_lo, s36
	s_and_saveexec_b32 s35, s13
	s_cbranch_execz .LBB6_913
.LBB6_912:                              ;   in Loop: Header=BB6_144 Depth=3
	v_bfe_u32 v8, v11, 24, 2
	s_delay_alu instid0(VALU_DEP_1) | instskip(NEXT) | instid1(VALU_DEP_1)
	v_clz_i32_u32_e32 v9, v8
	v_min_u32_e32 v9, 32, v9
	s_delay_alu instid0(VALU_DEP_1) | instskip(SKIP_1) | instid1(VALU_DEP_2)
	v_subrev_nc_u32_e32 v10, 29, v9
	v_sub_nc_u32_e32 v9, 30, v9
	v_lshlrev_b32_e32 v2, v10, v2
	v_bfe_u32 v10, v11, 26, 5
	s_delay_alu instid0(VALU_DEP_1) | instskip(NEXT) | instid1(VALU_DEP_3)
	v_cmp_eq_u32_e32 vcc_lo, 0, v10
	v_dual_cndmask_b32 v9, v10, v9 :: v_dual_and_b32 v2, 3, v2
	s_delay_alu instid0(VALU_DEP_1) | instskip(SKIP_1) | instid1(VALU_DEP_3)
	v_cndmask_b32_e32 v2, v8, v2, vcc_lo
	v_and_b32_e32 v8, 0x80000000, v11
	v_lshl_add_u32 v9, v9, 23, 0x37800000
	s_delay_alu instid0(VALU_DEP_3) | instskip(NEXT) | instid1(VALU_DEP_1)
	v_lshlrev_b32_e32 v2, 21, v2
	v_or3_b32 v8, v8, v9, v2
.LBB6_913:                              ;   in Loop: Header=BB6_144 Depth=3
	s_or_b32 exec_lo, exec_lo, s35
	s_delay_alu instid0(VALU_DEP_1) | instskip(SKIP_1) | instid1(VALU_DEP_1)
	v_dual_mul_f32 v2, s34, v8 :: v_dual_mov_b32 v163, 0x8000
	s_mov_b32 s35, exec_lo
	v_and_b32_e32 v8, 0x7f800000, v2
	s_delay_alu instid0(VALU_DEP_1)
	v_cmpx_ne_u32_e32 0x7f800000, v8
	s_cbranch_execz .LBB6_921
; %bb.914:                              ;   in Loop: Header=BB6_144 Depth=3
	v_mov_b32_e32 v163, 0
	s_mov_b32 s36, exec_lo
	v_cmpx_ne_u32_e32 0, v2
	s_cbranch_execz .LBB6_920
; %bb.915:                              ;   in Loop: Header=BB6_144 Depth=3
	v_bfe_u32 v8, v2, 23, 8
	v_and_b32_e32 v9, 0x7fffff, v2
	s_delay_alu instid0(VALU_DEP_2) | instskip(SKIP_1) | instid1(VALU_DEP_3)
	v_sub_nc_u32_e32 v10, 0x70, v8
	v_cmp_gt_u32_e32 vcc_lo, 0x71, v8
	v_or_b32_e32 v11, 0x800000, v9
	s_delay_alu instid0(VALU_DEP_3) | instskip(SKIP_1) | instid1(VALU_DEP_3)
	v_cndmask_b32_e32 v10, 0, v10, vcc_lo
	v_cmp_eq_u32_e32 vcc_lo, 0, v8
	v_dual_cndmask_b32 v9, v11, v9 :: v_dual_add_nc_u32 v8, 0xffffff91, v8
	s_delay_alu instid0(VALU_DEP_3) | instskip(NEXT) | instid1(VALU_DEP_2)
	v_cndmask_b32_e64 v10, v10, 0x6f, vcc_lo
	v_cndmask_b32_e64 v8, v8, 0xffffff92, vcc_lo
	s_delay_alu instid0(VALU_DEP_2) | instskip(SKIP_2) | instid1(VALU_DEP_4)
	v_lshrrev_b32_e32 v26, v10, v9
	v_lshl_add_u32 v11, 0x200000, v10, -1
	v_lshlrev_b32_e64 v36, v10, 0x100000
	v_add_nc_u32_e32 v10, v10, v8
	s_delay_alu instid0(VALU_DEP_4) | instskip(NEXT) | instid1(VALU_DEP_4)
	v_bfe_u32 v27, v26, 21, 1
	v_and_b32_e32 v9, v11, v9
	s_delay_alu instid0(VALU_DEP_2) | instskip(NEXT) | instid1(VALU_DEP_2)
	v_add_nc_u32_e32 v11, -1, v27
	v_cmp_eq_u32_e64 s13, v9, v36
	s_delay_alu instid0(VALU_DEP_1) | instskip(SKIP_2) | instid1(VALU_DEP_2)
	v_cndmask_b32_e64 v9, 0, v11, s13
	v_lshrrev_b32_e32 v11, 23, v26
	s_mov_b32 s13, exec_lo
	v_add_nc_u32_e32 v9, v9, v26
	s_delay_alu instid0(VALU_DEP_2) | instskip(NEXT) | instid1(VALU_DEP_2)
	v_xor_b32_e32 v11, 1, v11
	v_and_b32_e32 v8, 0x1fffff, v9
	s_delay_alu instid0(VALU_DEP_1) | instskip(NEXT) | instid1(VALU_DEP_3)
	v_add_nc_u32_e32 v9, v8, v26
                                        ; implicit-def: $vgpr8
	v_cmpx_ne_u32_e64 v10, v11
	s_xor_b32 s13, exec_lo, s13
; %bb.916:                              ;   in Loop: Header=BB6_144 Depth=3
	s_delay_alu instid0(VALU_DEP_2) | instskip(SKIP_2) | instid1(VALU_DEP_2)
	v_cmp_lt_u32_e32 vcc_lo, 0xffffff, v9
	v_sub_nc_u32_e32 v8, v10, v11
	v_cndmask_b32_e64 v10, 0, 1, vcc_lo
	v_add_co_ci_u32_e32 v8, vcc_lo, 0, v8, vcc_lo
	s_delay_alu instid0(VALU_DEP_2)
	v_lshrrev_b32_e32 v9, v10, v9
; %bb.917:                              ;   in Loop: Header=BB6_144 Depth=3
	s_and_not1_saveexec_b32 s13, s13
; %bb.918:                              ;   in Loop: Header=BB6_144 Depth=3
	s_delay_alu instid0(VALU_DEP_1)
	v_bfe_u32 v8, v9, 23, 1
; %bb.919:                              ;   in Loop: Header=BB6_144 Depth=3
	s_or_b32 exec_lo, exec_lo, s13
	v_lshrrev_b32_e32 v9, 21, v9
	s_delay_alu instid0(VALU_DEP_2) | instskip(SKIP_2) | instid1(VALU_DEP_3)
	v_min_i32_e32 v10, 31, v8
	v_cmp_gt_i32_e32 vcc_lo, 32, v8
	v_lshrrev_b32_e32 v2, 24, v2
	v_dual_mov_b32 v51, v128 :: v_dual_lshlrev_b32 v10, 2, v10
	s_delay_alu instid0(VALU_DEP_2) | instskip(NEXT) | instid1(VALU_DEP_2)
	v_dual_cndmask_b32 v9, 3, v9 :: v_dual_and_b32 v2, 0x80, v2
	v_and_b32_e32 v10, 0xfc, v10
	s_delay_alu instid0(VALU_DEP_2) | instskip(SKIP_1) | instid1(VALU_DEP_2)
	v_and_b32_e32 v11, 3, v9
	v_or_b32_e32 v8, v8, v9
	v_or3_b32 v2, v2, v10, v11
	s_delay_alu instid0(VALU_DEP_2) | instskip(NEXT) | instid1(VALU_DEP_2)
	v_cmp_ne_u32_e32 vcc_lo, 0, v8
	v_lshlrev_b32_e32 v2, 8, v2
	s_delay_alu instid0(VALU_DEP_1)
	v_cndmask_b32_e32 v163, 0, v2, vcc_lo
.LBB6_920:                              ;   in Loop: Header=BB6_144 Depth=3
	s_or_b32 exec_lo, exec_lo, s36
.LBB6_921:                              ;   in Loop: Header=BB6_144 Depth=3
	s_delay_alu instid0(SALU_CYCLE_1)
	s_or_b32 exec_lo, exec_lo, s35
	global_load_b128 v[8:11], v[20:21], off offset:2048 slc dlc
	s_mov_b32 s13, 0
	s_mov_b32 s36, exec_lo
                                        ; implicit-def: $sgpr35
	s_waitcnt vmcnt(0)
	v_and_b32_e32 v26, 0xff, v8
	s_delay_alu instid0(VALU_DEP_1)
	v_cmpx_lt_i16_e32 0x7f, v26
	s_xor_b32 s36, exec_lo, s36
	s_cbranch_execnz .LBB6_1943
; %bb.922:                              ;   in Loop: Header=BB6_144 Depth=3
	s_or_saveexec_b32 s36, s36
	v_mov_b32_e32 v2, s35
	s_xor_b32 exec_lo, exec_lo, s36
	s_cbranch_execnz .LBB6_1946
.LBB6_923:                              ;   in Loop: Header=BB6_144 Depth=3
	s_or_b32 exec_lo, exec_lo, s36
	s_and_saveexec_b32 s35, s13
	s_cbranch_execz .LBB6_925
.LBB6_924:                              ;   in Loop: Header=BB6_144 Depth=3
	v_and_b32_e32 v2, 3, v8
	v_bfe_u32 v36, v8, 2, 5
	s_delay_alu instid0(VALU_DEP_2) | instskip(NEXT) | instid1(VALU_DEP_2)
	v_clz_i32_u32_e32 v26, v2
	v_cmp_eq_u32_e32 vcc_lo, 0, v36
	s_delay_alu instid0(VALU_DEP_2) | instskip(NEXT) | instid1(VALU_DEP_1)
	v_min_u32_e32 v26, 32, v26
	v_subrev_nc_u32_e32 v27, 29, v26
	v_sub_nc_u32_e32 v26, 30, v26
	s_delay_alu instid0(VALU_DEP_1) | instskip(NEXT) | instid1(VALU_DEP_1)
	v_dual_cndmask_b32 v26, v36, v26 :: v_dual_lshlrev_b32 v27, v27, v8
	v_and_b32_e32 v27, 3, v27
	v_lshlrev_b32_e32 v37, 24, v8
	s_delay_alu instid0(VALU_DEP_3) | instskip(NEXT) | instid1(VALU_DEP_2)
	v_lshl_add_u32 v26, v26, 23, 0x37800000
	v_dual_cndmask_b32 v2, v2, v27 :: v_dual_and_b32 v27, 0x80000000, v37
	s_delay_alu instid0(VALU_DEP_1) | instskip(NEXT) | instid1(VALU_DEP_1)
	v_lshlrev_b32_e32 v2, 21, v2
	v_or3_b32 v2, v27, v26, v2
.LBB6_925:                              ;   in Loop: Header=BB6_144 Depth=3
	s_or_b32 exec_lo, exec_lo, s35
	s_delay_alu instid0(VALU_DEP_1) | instskip(SKIP_2) | instid1(VALU_DEP_2)
	v_mul_f32_e32 v2, s34, v2
	v_mov_b32_e32 v162, 0x80
	s_mov_b32 s35, exec_lo
	v_and_b32_e32 v26, 0x7f800000, v2
	s_delay_alu instid0(VALU_DEP_1)
	v_cmpx_ne_u32_e32 0x7f800000, v26
	s_cbranch_execz .LBB6_933
; %bb.926:                              ;   in Loop: Header=BB6_144 Depth=3
	v_mov_b32_e32 v162, 0
	s_mov_b32 s36, exec_lo
	v_cmpx_ne_u32_e32 0, v2
	s_cbranch_execz .LBB6_932
; %bb.927:                              ;   in Loop: Header=BB6_144 Depth=3
	v_bfe_u32 v26, v2, 23, 8
	s_delay_alu instid0(VALU_DEP_1) | instskip(SKIP_1) | instid1(VALU_DEP_2)
	v_sub_nc_u32_e32 v36, 0x70, v26
	v_cmp_gt_u32_e32 vcc_lo, 0x71, v26
	v_dual_cndmask_b32 v36, 0, v36 :: v_dual_and_b32 v27, 0x7fffff, v2
	s_delay_alu instid0(VALU_DEP_1) | instskip(SKIP_2) | instid1(VALU_DEP_4)
	v_or_b32_e32 v37, 0x800000, v27
	v_cmp_eq_u32_e32 vcc_lo, 0, v26
	v_add_nc_u32_e32 v26, 0xffffff91, v26
	v_cndmask_b32_e64 v36, v36, 0x6f, vcc_lo
	s_delay_alu instid0(VALU_DEP_4) | instskip(NEXT) | instid1(VALU_DEP_3)
	v_cndmask_b32_e32 v27, v37, v27, vcc_lo
	v_cndmask_b32_e64 v26, v26, 0xffffff92, vcc_lo
	s_delay_alu instid0(VALU_DEP_3) | instskip(NEXT) | instid1(VALU_DEP_3)
	v_lshl_add_u32 v37, 0x200000, v36, -1
	v_lshrrev_b32_e32 v38, v36, v27
	v_lshlrev_b32_e64 v48, v36, 0x100000
	s_delay_alu instid0(VALU_DEP_4) | instskip(NEXT) | instid1(VALU_DEP_4)
	v_add_nc_u32_e32 v36, v36, v26
	v_and_b32_e32 v27, v37, v27
	s_delay_alu instid0(VALU_DEP_4) | instskip(NEXT) | instid1(VALU_DEP_2)
	v_bfe_u32 v39, v38, 21, 1
	v_cmp_eq_u32_e64 s13, v27, v48
	s_delay_alu instid0(VALU_DEP_2) | instskip(NEXT) | instid1(VALU_DEP_1)
	v_add_nc_u32_e32 v37, -1, v39
	v_cndmask_b32_e64 v27, 0, v37, s13
	v_lshrrev_b32_e32 v37, 23, v38
	s_mov_b32 s13, exec_lo
	s_delay_alu instid0(VALU_DEP_2) | instskip(NEXT) | instid1(VALU_DEP_2)
	v_add_nc_u32_e32 v27, v27, v38
	v_xor_b32_e32 v37, 1, v37
	s_delay_alu instid0(VALU_DEP_2) | instskip(NEXT) | instid1(VALU_DEP_1)
	v_and_b32_e32 v26, 0x1fffff, v27
	v_add_nc_u32_e32 v27, v26, v38
                                        ; implicit-def: $vgpr26
	s_delay_alu instid0(VALU_DEP_3)
	v_cmpx_ne_u32_e64 v36, v37
	s_xor_b32 s13, exec_lo, s13
; %bb.928:                              ;   in Loop: Header=BB6_144 Depth=3
	s_delay_alu instid0(VALU_DEP_2) | instskip(SKIP_2) | instid1(VALU_DEP_2)
	v_cmp_lt_u32_e32 vcc_lo, 0xffffff, v27
	v_sub_nc_u32_e32 v26, v36, v37
	v_cndmask_b32_e64 v36, 0, 1, vcc_lo
	v_add_co_ci_u32_e32 v26, vcc_lo, 0, v26, vcc_lo
	s_delay_alu instid0(VALU_DEP_2)
	v_lshrrev_b32_e32 v27, v36, v27
; %bb.929:                              ;   in Loop: Header=BB6_144 Depth=3
	s_and_not1_saveexec_b32 s13, s13
; %bb.930:                              ;   in Loop: Header=BB6_144 Depth=3
	s_delay_alu instid0(VALU_DEP_1)
	v_bfe_u32 v26, v27, 23, 1
; %bb.931:                              ;   in Loop: Header=BB6_144 Depth=3
	s_or_b32 exec_lo, exec_lo, s13
	v_lshrrev_b32_e32 v27, 21, v27
	s_delay_alu instid0(VALU_DEP_2) | instskip(SKIP_3) | instid1(VALU_DEP_3)
	v_cmp_gt_i32_e32 vcc_lo, 32, v26
	v_lshrrev_b32_e32 v2, 24, v2
	v_min_i32_e32 v36, 31, v26
	v_mov_b32_e32 v51, v128
	v_dual_cndmask_b32 v27, 3, v27 :: v_dual_and_b32 v2, 0x80, v2
	s_delay_alu instid0(VALU_DEP_3) | instskip(NEXT) | instid1(VALU_DEP_2)
	v_lshlrev_b32_e32 v36, 2, v36
	v_or_b32_e32 v26, v26, v27
	s_delay_alu instid0(VALU_DEP_1) | instskip(SKIP_1) | instid1(VALU_DEP_1)
	v_cmp_ne_u32_e32 vcc_lo, 0, v26
	v_and_b32_e32 v37, 3, v27
	v_or3_b32 v2, v36, v2, v37
	s_delay_alu instid0(VALU_DEP_1)
	v_cndmask_b32_e32 v162, 0, v2, vcc_lo
.LBB6_932:                              ;   in Loop: Header=BB6_144 Depth=3
	s_or_b32 exec_lo, exec_lo, s36
.LBB6_933:                              ;   in Loop: Header=BB6_144 Depth=3
	s_delay_alu instid0(SALU_CYCLE_1) | instskip(SKIP_3) | instid1(VALU_DEP_1)
	s_or_b32 exec_lo, exec_lo, s35
	v_lshrrev_b16 v2, 8, v8
	s_mov_b32 s13, 0
	s_mov_b32 s36, exec_lo
                                        ; implicit-def: $sgpr35
	v_cmpx_lt_i16_e32 0x7f, v2
	s_xor_b32 s36, exec_lo, s36
	s_cbranch_execnz .LBB6_1947
; %bb.934:                              ;   in Loop: Header=BB6_144 Depth=3
	s_or_saveexec_b32 s36, s36
	v_mov_b32_e32 v26, s35
	s_xor_b32 exec_lo, exec_lo, s36
	s_cbranch_execnz .LBB6_1950
.LBB6_935:                              ;   in Loop: Header=BB6_144 Depth=3
	s_or_b32 exec_lo, exec_lo, s36
	s_and_saveexec_b32 s35, s13
	s_cbranch_execz .LBB6_937
.LBB6_936:                              ;   in Loop: Header=BB6_144 Depth=3
	v_and_b32_e32 v26, 0xffff, v2
	v_lshlrev_b32_e32 v2, 24, v2
	s_delay_alu instid0(VALU_DEP_2) | instskip(NEXT) | instid1(VALU_DEP_2)
	v_and_b32_e32 v27, 3, v26
	v_and_b32_e32 v2, 0x80000000, v2
	s_delay_alu instid0(VALU_DEP_2) | instskip(NEXT) | instid1(VALU_DEP_1)
	v_clz_i32_u32_e32 v36, v27
	v_min_u32_e32 v36, 32, v36
	s_delay_alu instid0(VALU_DEP_1) | instskip(SKIP_1) | instid1(VALU_DEP_2)
	v_subrev_nc_u32_e32 v37, 29, v36
	v_sub_nc_u32_e32 v36, 30, v36
	v_lshlrev_b32_e32 v37, v37, v26
	v_bfe_u32 v26, v26, 2, 5
	s_delay_alu instid0(VALU_DEP_2) | instskip(NEXT) | instid1(VALU_DEP_2)
	v_and_b32_e32 v37, 3, v37
	v_cmp_eq_u32_e32 vcc_lo, 0, v26
	s_delay_alu instid0(VALU_DEP_2) | instskip(NEXT) | instid1(VALU_DEP_1)
	v_dual_cndmask_b32 v26, v26, v36 :: v_dual_cndmask_b32 v27, v27, v37
	v_lshl_add_u32 v26, v26, 23, 0x37800000
	s_delay_alu instid0(VALU_DEP_2) | instskip(NEXT) | instid1(VALU_DEP_1)
	v_lshlrev_b32_e32 v27, 21, v27
	v_or3_b32 v26, v2, v26, v27
.LBB6_937:                              ;   in Loop: Header=BB6_144 Depth=3
	s_or_b32 exec_lo, exec_lo, s35
	s_delay_alu instid0(VALU_DEP_1) | instskip(SKIP_2) | instid1(VALU_DEP_2)
	v_mul_f32_e32 v2, s34, v26
	v_mov_b32_e32 v164, 0x80
	s_mov_b32 s35, exec_lo
	v_and_b32_e32 v26, 0x7f800000, v2
	s_delay_alu instid0(VALU_DEP_1)
	v_cmpx_ne_u32_e32 0x7f800000, v26
	s_cbranch_execz .LBB6_945
; %bb.938:                              ;   in Loop: Header=BB6_144 Depth=3
	v_mov_b32_e32 v164, 0
	s_mov_b32 s36, exec_lo
	v_cmpx_ne_u32_e32 0, v2
	s_cbranch_execz .LBB6_944
; %bb.939:                              ;   in Loop: Header=BB6_144 Depth=3
	v_bfe_u32 v26, v2, 23, 8
	s_delay_alu instid0(VALU_DEP_1) | instskip(SKIP_1) | instid1(VALU_DEP_2)
	v_sub_nc_u32_e32 v36, 0x70, v26
	v_cmp_gt_u32_e32 vcc_lo, 0x71, v26
	v_dual_cndmask_b32 v36, 0, v36 :: v_dual_and_b32 v27, 0x7fffff, v2
	s_delay_alu instid0(VALU_DEP_1) | instskip(SKIP_2) | instid1(VALU_DEP_4)
	v_or_b32_e32 v37, 0x800000, v27
	v_cmp_eq_u32_e32 vcc_lo, 0, v26
	v_add_nc_u32_e32 v26, 0xffffff91, v26
	v_cndmask_b32_e64 v36, v36, 0x6f, vcc_lo
	s_delay_alu instid0(VALU_DEP_4) | instskip(NEXT) | instid1(VALU_DEP_3)
	v_cndmask_b32_e32 v27, v37, v27, vcc_lo
	v_cndmask_b32_e64 v26, v26, 0xffffff92, vcc_lo
	s_delay_alu instid0(VALU_DEP_3) | instskip(NEXT) | instid1(VALU_DEP_3)
	v_lshl_add_u32 v37, 0x200000, v36, -1
	v_lshrrev_b32_e32 v38, v36, v27
	v_lshlrev_b32_e64 v48, v36, 0x100000
	s_delay_alu instid0(VALU_DEP_4) | instskip(NEXT) | instid1(VALU_DEP_4)
	v_add_nc_u32_e32 v36, v36, v26
	v_and_b32_e32 v27, v37, v27
	s_delay_alu instid0(VALU_DEP_4) | instskip(NEXT) | instid1(VALU_DEP_2)
	v_bfe_u32 v39, v38, 21, 1
	v_cmp_eq_u32_e64 s13, v27, v48
	s_delay_alu instid0(VALU_DEP_2) | instskip(NEXT) | instid1(VALU_DEP_1)
	v_add_nc_u32_e32 v37, -1, v39
	v_cndmask_b32_e64 v27, 0, v37, s13
	v_lshrrev_b32_e32 v37, 23, v38
	s_mov_b32 s13, exec_lo
	s_delay_alu instid0(VALU_DEP_2) | instskip(NEXT) | instid1(VALU_DEP_2)
	v_add_nc_u32_e32 v27, v27, v38
	v_xor_b32_e32 v37, 1, v37
	s_delay_alu instid0(VALU_DEP_2) | instskip(NEXT) | instid1(VALU_DEP_1)
	v_and_b32_e32 v26, 0x1fffff, v27
	v_add_nc_u32_e32 v27, v26, v38
                                        ; implicit-def: $vgpr26
	s_delay_alu instid0(VALU_DEP_3)
	v_cmpx_ne_u32_e64 v36, v37
	s_xor_b32 s13, exec_lo, s13
; %bb.940:                              ;   in Loop: Header=BB6_144 Depth=3
	s_delay_alu instid0(VALU_DEP_2) | instskip(SKIP_2) | instid1(VALU_DEP_2)
	v_cmp_lt_u32_e32 vcc_lo, 0xffffff, v27
	v_sub_nc_u32_e32 v26, v36, v37
	v_cndmask_b32_e64 v36, 0, 1, vcc_lo
	v_add_co_ci_u32_e32 v26, vcc_lo, 0, v26, vcc_lo
	s_delay_alu instid0(VALU_DEP_2)
	v_lshrrev_b32_e32 v27, v36, v27
; %bb.941:                              ;   in Loop: Header=BB6_144 Depth=3
	s_and_not1_saveexec_b32 s13, s13
; %bb.942:                              ;   in Loop: Header=BB6_144 Depth=3
	s_delay_alu instid0(VALU_DEP_1)
	v_bfe_u32 v26, v27, 23, 1
; %bb.943:                              ;   in Loop: Header=BB6_144 Depth=3
	s_or_b32 exec_lo, exec_lo, s13
	v_lshrrev_b32_e32 v27, 21, v27
	s_delay_alu instid0(VALU_DEP_2) | instskip(SKIP_3) | instid1(VALU_DEP_3)
	v_cmp_gt_i32_e32 vcc_lo, 32, v26
	v_lshrrev_b32_e32 v2, 24, v2
	v_min_i32_e32 v36, 31, v26
	v_mov_b32_e32 v51, v128
	v_dual_cndmask_b32 v27, 3, v27 :: v_dual_and_b32 v2, 0x80, v2
	s_delay_alu instid0(VALU_DEP_3) | instskip(NEXT) | instid1(VALU_DEP_2)
	v_lshlrev_b32_e32 v36, 2, v36
	v_or_b32_e32 v26, v26, v27
	s_delay_alu instid0(VALU_DEP_1) | instskip(SKIP_1) | instid1(VALU_DEP_1)
	v_cmp_ne_u32_e32 vcc_lo, 0, v26
	v_and_b32_e32 v37, 3, v27
	v_or3_b32 v2, v36, v2, v37
	s_delay_alu instid0(VALU_DEP_1)
	v_cndmask_b32_e32 v164, 0, v2, vcc_lo
.LBB6_944:                              ;   in Loop: Header=BB6_144 Depth=3
	s_or_b32 exec_lo, exec_lo, s36
.LBB6_945:                              ;   in Loop: Header=BB6_144 Depth=3
	s_delay_alu instid0(SALU_CYCLE_1) | instskip(SKIP_3) | instid1(VALU_DEP_1)
	s_or_b32 exec_lo, exec_lo, s35
	v_lshrrev_b32_e32 v2, 16, v8
	s_mov_b32 s13, 0
	s_mov_b32 s36, exec_lo
                                        ; implicit-def: $sgpr35
	v_and_b32_e32 v27, 0xff, v2
	s_delay_alu instid0(VALU_DEP_1)
	v_cmpx_lt_i16_e32 0x7f, v27
	s_xor_b32 s36, exec_lo, s36
	s_cbranch_execnz .LBB6_1951
; %bb.946:                              ;   in Loop: Header=BB6_144 Depth=3
	s_or_saveexec_b32 s36, s36
	v_mov_b32_e32 v26, s35
	s_xor_b32 exec_lo, exec_lo, s36
	s_cbranch_execnz .LBB6_1954
.LBB6_947:                              ;   in Loop: Header=BB6_144 Depth=3
	s_or_b32 exec_lo, exec_lo, s36
	s_and_saveexec_b32 s35, s13
	s_cbranch_execz .LBB6_949
.LBB6_948:                              ;   in Loop: Header=BB6_144 Depth=3
	v_bfe_u32 v26, v8, 16, 2
	s_delay_alu instid0(VALU_DEP_1) | instskip(NEXT) | instid1(VALU_DEP_1)
	v_clz_i32_u32_e32 v27, v26
	v_min_u32_e32 v27, 32, v27
	s_delay_alu instid0(VALU_DEP_1) | instskip(SKIP_1) | instid1(VALU_DEP_2)
	v_subrev_nc_u32_e32 v36, 29, v27
	v_sub_nc_u32_e32 v27, 30, v27
	v_lshlrev_b32_e32 v2, v36, v2
	v_bfe_u32 v36, v8, 18, 5
	s_delay_alu instid0(VALU_DEP_1) | instskip(NEXT) | instid1(VALU_DEP_3)
	v_cmp_eq_u32_e32 vcc_lo, 0, v36
	v_dual_cndmask_b32 v27, v36, v27 :: v_dual_and_b32 v2, 3, v2
	s_delay_alu instid0(VALU_DEP_1) | instskip(NEXT) | instid1(VALU_DEP_2)
	v_dual_cndmask_b32 v2, v26, v2 :: v_dual_lshlrev_b32 v37, 8, v8
	v_lshl_add_u32 v27, v27, 23, 0x37800000
	s_delay_alu instid0(VALU_DEP_2) | instskip(NEXT) | instid1(VALU_DEP_3)
	v_and_b32_e32 v26, 0x80000000, v37
	v_lshlrev_b32_e32 v2, 21, v2
	s_delay_alu instid0(VALU_DEP_1)
	v_or3_b32 v26, v26, v27, v2
.LBB6_949:                              ;   in Loop: Header=BB6_144 Depth=3
	s_or_b32 exec_lo, exec_lo, s35
	s_delay_alu instid0(VALU_DEP_1) | instskip(SKIP_1) | instid1(VALU_DEP_1)
	v_dual_mul_f32 v2, s34, v26 :: v_dual_mov_b32 v165, 0x80
	s_mov_b32 s35, exec_lo
	v_and_b32_e32 v26, 0x7f800000, v2
	s_delay_alu instid0(VALU_DEP_1)
	v_cmpx_ne_u32_e32 0x7f800000, v26
	s_cbranch_execz .LBB6_957
; %bb.950:                              ;   in Loop: Header=BB6_144 Depth=3
	v_mov_b32_e32 v165, 0
	s_mov_b32 s36, exec_lo
	v_cmpx_ne_u32_e32 0, v2
	s_cbranch_execz .LBB6_956
; %bb.951:                              ;   in Loop: Header=BB6_144 Depth=3
	v_bfe_u32 v26, v2, 23, 8
	s_delay_alu instid0(VALU_DEP_1) | instskip(SKIP_1) | instid1(VALU_DEP_2)
	v_sub_nc_u32_e32 v36, 0x70, v26
	v_cmp_gt_u32_e32 vcc_lo, 0x71, v26
	v_dual_cndmask_b32 v36, 0, v36 :: v_dual_and_b32 v27, 0x7fffff, v2
	s_delay_alu instid0(VALU_DEP_1) | instskip(SKIP_2) | instid1(VALU_DEP_4)
	v_or_b32_e32 v37, 0x800000, v27
	v_cmp_eq_u32_e32 vcc_lo, 0, v26
	v_add_nc_u32_e32 v26, 0xffffff91, v26
	v_cndmask_b32_e64 v36, v36, 0x6f, vcc_lo
	s_delay_alu instid0(VALU_DEP_4) | instskip(NEXT) | instid1(VALU_DEP_3)
	v_cndmask_b32_e32 v27, v37, v27, vcc_lo
	v_cndmask_b32_e64 v26, v26, 0xffffff92, vcc_lo
	s_delay_alu instid0(VALU_DEP_3) | instskip(NEXT) | instid1(VALU_DEP_3)
	v_lshl_add_u32 v37, 0x200000, v36, -1
	v_lshrrev_b32_e32 v38, v36, v27
	v_lshlrev_b32_e64 v48, v36, 0x100000
	s_delay_alu instid0(VALU_DEP_4) | instskip(NEXT) | instid1(VALU_DEP_4)
	v_add_nc_u32_e32 v36, v36, v26
	v_and_b32_e32 v27, v37, v27
	s_delay_alu instid0(VALU_DEP_4) | instskip(NEXT) | instid1(VALU_DEP_2)
	v_bfe_u32 v39, v38, 21, 1
	v_cmp_eq_u32_e64 s13, v27, v48
	s_delay_alu instid0(VALU_DEP_2) | instskip(NEXT) | instid1(VALU_DEP_1)
	v_add_nc_u32_e32 v37, -1, v39
	v_cndmask_b32_e64 v27, 0, v37, s13
	v_lshrrev_b32_e32 v37, 23, v38
	s_mov_b32 s13, exec_lo
	s_delay_alu instid0(VALU_DEP_2) | instskip(NEXT) | instid1(VALU_DEP_2)
	v_add_nc_u32_e32 v27, v27, v38
	v_xor_b32_e32 v37, 1, v37
	s_delay_alu instid0(VALU_DEP_2) | instskip(NEXT) | instid1(VALU_DEP_1)
	v_and_b32_e32 v26, 0x1fffff, v27
	v_add_nc_u32_e32 v27, v26, v38
                                        ; implicit-def: $vgpr26
	s_delay_alu instid0(VALU_DEP_3)
	v_cmpx_ne_u32_e64 v36, v37
	s_xor_b32 s13, exec_lo, s13
; %bb.952:                              ;   in Loop: Header=BB6_144 Depth=3
	s_delay_alu instid0(VALU_DEP_2) | instskip(SKIP_2) | instid1(VALU_DEP_2)
	v_cmp_lt_u32_e32 vcc_lo, 0xffffff, v27
	v_sub_nc_u32_e32 v26, v36, v37
	v_cndmask_b32_e64 v36, 0, 1, vcc_lo
	v_add_co_ci_u32_e32 v26, vcc_lo, 0, v26, vcc_lo
	s_delay_alu instid0(VALU_DEP_2)
	v_lshrrev_b32_e32 v27, v36, v27
; %bb.953:                              ;   in Loop: Header=BB6_144 Depth=3
	s_and_not1_saveexec_b32 s13, s13
; %bb.954:                              ;   in Loop: Header=BB6_144 Depth=3
	s_delay_alu instid0(VALU_DEP_1)
	v_bfe_u32 v26, v27, 23, 1
; %bb.955:                              ;   in Loop: Header=BB6_144 Depth=3
	s_or_b32 exec_lo, exec_lo, s13
	v_lshrrev_b32_e32 v27, 21, v27
	s_delay_alu instid0(VALU_DEP_2) | instskip(SKIP_3) | instid1(VALU_DEP_3)
	v_cmp_gt_i32_e32 vcc_lo, 32, v26
	v_lshrrev_b32_e32 v2, 24, v2
	v_min_i32_e32 v36, 31, v26
	v_mov_b32_e32 v51, v128
	v_dual_cndmask_b32 v27, 3, v27 :: v_dual_and_b32 v2, 0x80, v2
	s_delay_alu instid0(VALU_DEP_1) | instskip(SKIP_1) | instid1(VALU_DEP_2)
	v_or_b32_e32 v26, v26, v27
	v_and_b32_e32 v37, 3, v27
	v_cmp_ne_u32_e32 vcc_lo, 0, v26
	v_lshlrev_b32_e32 v36, 2, v36
	s_delay_alu instid0(VALU_DEP_1) | instskip(NEXT) | instid1(VALU_DEP_1)
	v_or3_b32 v2, v36, v2, v37
	v_cndmask_b32_e32 v165, 0, v2, vcc_lo
.LBB6_956:                              ;   in Loop: Header=BB6_144 Depth=3
	s_or_b32 exec_lo, exec_lo, s36
.LBB6_957:                              ;   in Loop: Header=BB6_144 Depth=3
	s_delay_alu instid0(SALU_CYCLE_1) | instskip(SKIP_3) | instid1(VALU_DEP_1)
	s_or_b32 exec_lo, exec_lo, s35
	v_lshrrev_b32_e32 v2, 24, v8
	s_mov_b32 s13, 0
	s_mov_b32 s36, exec_lo
                                        ; implicit-def: $sgpr35
	v_cmpx_lt_i16_e32 0x7f, v2
	s_xor_b32 s36, exec_lo, s36
	s_cbranch_execnz .LBB6_1955
; %bb.958:                              ;   in Loop: Header=BB6_144 Depth=3
	s_or_saveexec_b32 s36, s36
	v_mov_b32_e32 v26, s35
	s_xor_b32 exec_lo, exec_lo, s36
	s_cbranch_execnz .LBB6_1958
.LBB6_959:                              ;   in Loop: Header=BB6_144 Depth=3
	s_or_b32 exec_lo, exec_lo, s36
	s_and_saveexec_b32 s35, s13
	s_cbranch_execz .LBB6_961
.LBB6_960:                              ;   in Loop: Header=BB6_144 Depth=3
	v_bfe_u32 v26, v8, 24, 2
	s_delay_alu instid0(VALU_DEP_1) | instskip(NEXT) | instid1(VALU_DEP_1)
	v_clz_i32_u32_e32 v27, v26
	v_min_u32_e32 v27, 32, v27
	s_delay_alu instid0(VALU_DEP_1) | instskip(SKIP_1) | instid1(VALU_DEP_2)
	v_subrev_nc_u32_e32 v36, 29, v27
	v_sub_nc_u32_e32 v27, 30, v27
	v_lshlrev_b32_e32 v2, v36, v2
	v_bfe_u32 v36, v8, 26, 5
	v_and_b32_e32 v8, 0x80000000, v8
	s_delay_alu instid0(VALU_DEP_2) | instskip(NEXT) | instid1(VALU_DEP_4)
	v_cmp_eq_u32_e32 vcc_lo, 0, v36
	v_dual_cndmask_b32 v27, v36, v27 :: v_dual_and_b32 v2, 3, v2
	s_delay_alu instid0(VALU_DEP_1) | instskip(NEXT) | instid1(VALU_DEP_2)
	v_cndmask_b32_e32 v2, v26, v2, vcc_lo
	v_lshl_add_u32 v26, v27, 23, 0x37800000
	s_delay_alu instid0(VALU_DEP_2) | instskip(NEXT) | instid1(VALU_DEP_1)
	v_lshlrev_b32_e32 v2, 21, v2
	v_or3_b32 v26, v8, v26, v2
.LBB6_961:                              ;   in Loop: Header=BB6_144 Depth=3
	s_or_b32 exec_lo, exec_lo, s35
	s_delay_alu instid0(VALU_DEP_1) | instskip(SKIP_1) | instid1(VALU_DEP_1)
	v_dual_mul_f32 v2, s34, v26 :: v_dual_mov_b32 v167, 0x80
	s_mov_b32 s35, exec_lo
	v_and_b32_e32 v8, 0x7f800000, v2
	s_delay_alu instid0(VALU_DEP_1)
	v_cmpx_ne_u32_e32 0x7f800000, v8
	s_cbranch_execz .LBB6_969
; %bb.962:                              ;   in Loop: Header=BB6_144 Depth=3
	v_mov_b32_e32 v167, 0
	s_mov_b32 s36, exec_lo
	v_cmpx_ne_u32_e32 0, v2
	s_cbranch_execz .LBB6_968
; %bb.963:                              ;   in Loop: Header=BB6_144 Depth=3
	v_bfe_u32 v8, v2, 23, 8
	s_delay_alu instid0(VALU_DEP_1) | instskip(SKIP_1) | instid1(VALU_DEP_2)
	v_sub_nc_u32_e32 v27, 0x70, v8
	v_cmp_gt_u32_e32 vcc_lo, 0x71, v8
	v_dual_cndmask_b32 v27, 0, v27 :: v_dual_and_b32 v26, 0x7fffff, v2
	s_delay_alu instid0(VALU_DEP_1) | instskip(SKIP_2) | instid1(VALU_DEP_4)
	v_or_b32_e32 v36, 0x800000, v26
	v_cmp_eq_u32_e32 vcc_lo, 0, v8
	v_add_nc_u32_e32 v8, 0xffffff91, v8
	v_cndmask_b32_e64 v27, v27, 0x6f, vcc_lo
	s_delay_alu instid0(VALU_DEP_2) | instskip(SKIP_1) | instid1(VALU_DEP_3)
	v_cndmask_b32_e64 v8, v8, 0xffffff92, vcc_lo
	v_cndmask_b32_e32 v26, v36, v26, vcc_lo
	v_lshl_add_u32 v36, 0x200000, v27, -1
	v_lshlrev_b32_e64 v39, v27, 0x100000
	s_delay_alu instid0(VALU_DEP_3) | instskip(SKIP_1) | instid1(VALU_DEP_4)
	v_lshrrev_b32_e32 v37, v27, v26
	v_add_nc_u32_e32 v27, v27, v8
	v_and_b32_e32 v26, v36, v26
	s_delay_alu instid0(VALU_DEP_3) | instskip(NEXT) | instid1(VALU_DEP_2)
	v_bfe_u32 v38, v37, 21, 1
	v_cmp_eq_u32_e64 s13, v26, v39
	s_delay_alu instid0(VALU_DEP_2) | instskip(NEXT) | instid1(VALU_DEP_1)
	v_add_nc_u32_e32 v36, -1, v38
	v_cndmask_b32_e64 v26, 0, v36, s13
	v_lshrrev_b32_e32 v36, 23, v37
	s_mov_b32 s13, exec_lo
	s_delay_alu instid0(VALU_DEP_2) | instskip(NEXT) | instid1(VALU_DEP_2)
	v_add_nc_u32_e32 v26, v26, v37
	v_xor_b32_e32 v36, 1, v36
	s_delay_alu instid0(VALU_DEP_2) | instskip(NEXT) | instid1(VALU_DEP_1)
	v_and_b32_e32 v8, 0x1fffff, v26
	v_add_nc_u32_e32 v26, v8, v37
                                        ; implicit-def: $vgpr8
	s_delay_alu instid0(VALU_DEP_3)
	v_cmpx_ne_u32_e64 v27, v36
	s_xor_b32 s13, exec_lo, s13
; %bb.964:                              ;   in Loop: Header=BB6_144 Depth=3
	s_delay_alu instid0(VALU_DEP_2) | instskip(SKIP_2) | instid1(VALU_DEP_2)
	v_cmp_lt_u32_e32 vcc_lo, 0xffffff, v26
	v_sub_nc_u32_e32 v8, v27, v36
	v_cndmask_b32_e64 v27, 0, 1, vcc_lo
	v_add_co_ci_u32_e32 v8, vcc_lo, 0, v8, vcc_lo
	s_delay_alu instid0(VALU_DEP_2)
	v_lshrrev_b32_e32 v26, v27, v26
; %bb.965:                              ;   in Loop: Header=BB6_144 Depth=3
	s_and_not1_saveexec_b32 s13, s13
; %bb.966:                              ;   in Loop: Header=BB6_144 Depth=3
	s_delay_alu instid0(VALU_DEP_1)
	v_bfe_u32 v8, v26, 23, 1
; %bb.967:                              ;   in Loop: Header=BB6_144 Depth=3
	s_or_b32 exec_lo, exec_lo, s13
	v_lshrrev_b32_e32 v26, 21, v26
	s_delay_alu instid0(VALU_DEP_2) | instskip(SKIP_2) | instid1(VALU_DEP_4)
	v_cmp_gt_i32_e32 vcc_lo, 32, v8
	v_lshrrev_b32_e32 v2, 24, v2
	v_min_i32_e32 v27, 31, v8
	v_dual_mov_b32 v51, v128 :: v_dual_cndmask_b32 v26, 3, v26
	s_delay_alu instid0(VALU_DEP_3) | instskip(NEXT) | instid1(VALU_DEP_3)
	v_and_b32_e32 v2, 0x80, v2
	v_lshlrev_b32_e32 v27, 2, v27
	s_delay_alu instid0(VALU_DEP_3) | instskip(SKIP_1) | instid1(VALU_DEP_2)
	v_and_b32_e32 v36, 3, v26
	v_or_b32_e32 v8, v8, v26
	v_or3_b32 v2, v27, v2, v36
	s_delay_alu instid0(VALU_DEP_2) | instskip(NEXT) | instid1(VALU_DEP_2)
	v_cmp_ne_u32_e32 vcc_lo, 0, v8
	v_cndmask_b32_e32 v167, 0, v2, vcc_lo
.LBB6_968:                              ;   in Loop: Header=BB6_144 Depth=3
	s_or_b32 exec_lo, exec_lo, s36
.LBB6_969:                              ;   in Loop: Header=BB6_144 Depth=3
	s_delay_alu instid0(SALU_CYCLE_1) | instskip(SKIP_3) | instid1(VALU_DEP_1)
	s_or_b32 exec_lo, exec_lo, s35
	v_and_b32_e32 v8, 0xff, v9
	s_mov_b32 s13, 0
	s_mov_b32 s36, exec_lo
                                        ; implicit-def: $sgpr35
	v_cmpx_lt_i16_e32 0x7f, v8
	s_xor_b32 s36, exec_lo, s36
	s_cbranch_execnz .LBB6_1959
; %bb.970:                              ;   in Loop: Header=BB6_144 Depth=3
	s_or_saveexec_b32 s36, s36
	v_mov_b32_e32 v2, s35
	s_xor_b32 exec_lo, exec_lo, s36
	s_cbranch_execnz .LBB6_1962
.LBB6_971:                              ;   in Loop: Header=BB6_144 Depth=3
	s_or_b32 exec_lo, exec_lo, s36
	s_and_saveexec_b32 s35, s13
	s_cbranch_execz .LBB6_973
.LBB6_972:                              ;   in Loop: Header=BB6_144 Depth=3
	v_and_b32_e32 v2, 3, v9
	v_bfe_u32 v27, v9, 2, 5
	v_lshlrev_b32_e32 v36, 24, v9
	s_delay_alu instid0(VALU_DEP_3) | instskip(NEXT) | instid1(VALU_DEP_3)
	v_clz_i32_u32_e32 v8, v2
	v_cmp_eq_u32_e32 vcc_lo, 0, v27
	s_delay_alu instid0(VALU_DEP_2) | instskip(NEXT) | instid1(VALU_DEP_1)
	v_min_u32_e32 v8, 32, v8
	v_subrev_nc_u32_e32 v26, 29, v8
	v_sub_nc_u32_e32 v8, 30, v8
	s_delay_alu instid0(VALU_DEP_2) | instskip(NEXT) | instid1(VALU_DEP_2)
	v_lshlrev_b32_e32 v26, v26, v9
	v_cndmask_b32_e32 v8, v27, v8, vcc_lo
	s_delay_alu instid0(VALU_DEP_2) | instskip(NEXT) | instid1(VALU_DEP_2)
	v_and_b32_e32 v26, 3, v26
	v_lshl_add_u32 v8, v8, 23, 0x37800000
	s_delay_alu instid0(VALU_DEP_2) | instskip(SKIP_1) | instid1(VALU_DEP_2)
	v_cndmask_b32_e32 v2, v2, v26, vcc_lo
	v_and_b32_e32 v26, 0x80000000, v36
	v_lshlrev_b32_e32 v2, 21, v2
	s_delay_alu instid0(VALU_DEP_1)
	v_or3_b32 v2, v26, v8, v2
.LBB6_973:                              ;   in Loop: Header=BB6_144 Depth=3
	s_or_b32 exec_lo, exec_lo, s35
	s_delay_alu instid0(VALU_DEP_1) | instskip(NEXT) | instid1(VALU_DEP_1)
	v_mul_f32_e32 v2, s34, v2
	v_and_b32_e32 v8, 0x7f800000, v2
	s_delay_alu instid0(VALU_DEP_1)
	v_cmp_ne_u32_e32 vcc_lo, 0x7f800000, v8
	v_mov_b32_e32 v8, 0x80
	scratch_store_b32 off, v8, s33 offset:392 ; 4-byte Folded Spill
	s_and_saveexec_b32 s35, vcc_lo
	s_cbranch_execz .LBB6_981
; %bb.974:                              ;   in Loop: Header=BB6_144 Depth=3
	v_mov_b32_e32 v8, 0
	s_mov_b32 s36, exec_lo
	scratch_store_b32 off, v8, s33 offset:392 ; 4-byte Folded Spill
	v_cmpx_ne_u32_e32 0, v2
	s_cbranch_execz .LBB6_980
; %bb.975:                              ;   in Loop: Header=BB6_144 Depth=3
	v_bfe_u32 v8, v2, 23, 8
	s_delay_alu instid0(VALU_DEP_1) | instskip(SKIP_1) | instid1(VALU_DEP_2)
	v_sub_nc_u32_e32 v27, 0x70, v8
	v_cmp_gt_u32_e32 vcc_lo, 0x71, v8
	v_dual_cndmask_b32 v27, 0, v27 :: v_dual_and_b32 v26, 0x7fffff, v2
	s_delay_alu instid0(VALU_DEP_1) | instskip(SKIP_2) | instid1(VALU_DEP_4)
	v_or_b32_e32 v36, 0x800000, v26
	v_cmp_eq_u32_e32 vcc_lo, 0, v8
	v_add_nc_u32_e32 v8, 0xffffff91, v8
	v_cndmask_b32_e64 v27, v27, 0x6f, vcc_lo
	s_delay_alu instid0(VALU_DEP_2) | instskip(SKIP_1) | instid1(VALU_DEP_3)
	v_cndmask_b32_e64 v8, v8, 0xffffff92, vcc_lo
	v_cndmask_b32_e32 v26, v36, v26, vcc_lo
	v_lshl_add_u32 v36, 0x200000, v27, -1
	v_lshlrev_b32_e64 v39, v27, 0x100000
	s_delay_alu instid0(VALU_DEP_3) | instskip(SKIP_1) | instid1(VALU_DEP_4)
	v_lshrrev_b32_e32 v37, v27, v26
	v_add_nc_u32_e32 v27, v27, v8
	v_and_b32_e32 v26, v36, v26
	s_delay_alu instid0(VALU_DEP_3) | instskip(NEXT) | instid1(VALU_DEP_2)
	v_bfe_u32 v38, v37, 21, 1
	v_cmp_eq_u32_e64 s13, v26, v39
	s_delay_alu instid0(VALU_DEP_2) | instskip(NEXT) | instid1(VALU_DEP_1)
	v_add_nc_u32_e32 v36, -1, v38
	v_cndmask_b32_e64 v26, 0, v36, s13
	v_lshrrev_b32_e32 v36, 23, v37
	s_mov_b32 s13, exec_lo
	s_delay_alu instid0(VALU_DEP_2) | instskip(NEXT) | instid1(VALU_DEP_2)
	v_add_nc_u32_e32 v26, v26, v37
	v_xor_b32_e32 v36, 1, v36
	s_delay_alu instid0(VALU_DEP_2) | instskip(NEXT) | instid1(VALU_DEP_1)
	v_and_b32_e32 v8, 0x1fffff, v26
	v_add_nc_u32_e32 v26, v8, v37
                                        ; implicit-def: $vgpr8
	s_delay_alu instid0(VALU_DEP_3)
	v_cmpx_ne_u32_e64 v27, v36
	s_xor_b32 s13, exec_lo, s13
; %bb.976:                              ;   in Loop: Header=BB6_144 Depth=3
	s_delay_alu instid0(VALU_DEP_2) | instskip(SKIP_2) | instid1(VALU_DEP_2)
	v_cmp_lt_u32_e32 vcc_lo, 0xffffff, v26
	v_sub_nc_u32_e32 v8, v27, v36
	v_cndmask_b32_e64 v27, 0, 1, vcc_lo
	v_add_co_ci_u32_e32 v8, vcc_lo, 0, v8, vcc_lo
	s_delay_alu instid0(VALU_DEP_2)
	v_lshrrev_b32_e32 v26, v27, v26
; %bb.977:                              ;   in Loop: Header=BB6_144 Depth=3
	s_and_not1_saveexec_b32 s13, s13
; %bb.978:                              ;   in Loop: Header=BB6_144 Depth=3
	s_delay_alu instid0(VALU_DEP_1)
	v_bfe_u32 v8, v26, 23, 1
; %bb.979:                              ;   in Loop: Header=BB6_144 Depth=3
	s_or_b32 exec_lo, exec_lo, s13
	v_lshrrev_b32_e32 v26, 21, v26
	s_delay_alu instid0(VALU_DEP_2) | instskip(SKIP_2) | instid1(VALU_DEP_4)
	v_cmp_gt_i32_e32 vcc_lo, 32, v8
	v_min_i32_e32 v27, 31, v8
	v_lshrrev_b32_e32 v2, 24, v2
	v_dual_mov_b32 v51, v128 :: v_dual_cndmask_b32 v26, 3, v26
	s_delay_alu instid0(VALU_DEP_3) | instskip(NEXT) | instid1(VALU_DEP_3)
	v_lshlrev_b32_e32 v27, 2, v27
	v_and_b32_e32 v2, 0x80, v2
	s_delay_alu instid0(VALU_DEP_3) | instskip(SKIP_1) | instid1(VALU_DEP_2)
	v_or_b32_e32 v8, v8, v26
	v_and_b32_e32 v36, 3, v26
	v_cmp_ne_u32_e32 vcc_lo, 0, v8
	v_and_b32_e32 v27, 0xfc, v27
	s_delay_alu instid0(VALU_DEP_1) | instskip(NEXT) | instid1(VALU_DEP_1)
	v_or3_b32 v2, v27, v2, v36
	v_cndmask_b32_e32 v2, 0, v2, vcc_lo
	scratch_store_b32 off, v2, s33 offset:392 ; 4-byte Folded Spill
.LBB6_980:                              ;   in Loop: Header=BB6_144 Depth=3
	s_or_b32 exec_lo, exec_lo, s36
.LBB6_981:                              ;   in Loop: Header=BB6_144 Depth=3
	s_delay_alu instid0(SALU_CYCLE_1) | instskip(SKIP_3) | instid1(VALU_DEP_1)
	s_or_b32 exec_lo, exec_lo, s35
	v_lshrrev_b16 v2, 8, v9
	s_mov_b32 s13, 0
	s_mov_b32 s36, exec_lo
                                        ; implicit-def: $sgpr35
	v_cmpx_lt_i16_e32 0x7f, v2
	s_xor_b32 s36, exec_lo, s36
	s_cbranch_execnz .LBB6_1963
; %bb.982:                              ;   in Loop: Header=BB6_144 Depth=3
	s_or_saveexec_b32 s36, s36
	v_mov_b32_e32 v8, s35
	s_xor_b32 exec_lo, exec_lo, s36
	s_cbranch_execnz .LBB6_1966
.LBB6_983:                              ;   in Loop: Header=BB6_144 Depth=3
	s_or_b32 exec_lo, exec_lo, s36
	s_and_saveexec_b32 s35, s13
	s_cbranch_execz .LBB6_985
.LBB6_984:                              ;   in Loop: Header=BB6_144 Depth=3
	v_and_b32_e32 v8, 0xffff, v2
	v_lshlrev_b32_e32 v2, 24, v2
	s_delay_alu instid0(VALU_DEP_2) | instskip(NEXT) | instid1(VALU_DEP_2)
	v_and_b32_e32 v26, 3, v8
	v_and_b32_e32 v2, 0x80000000, v2
	s_delay_alu instid0(VALU_DEP_2) | instskip(NEXT) | instid1(VALU_DEP_1)
	v_clz_i32_u32_e32 v27, v26
	v_min_u32_e32 v27, 32, v27
	s_delay_alu instid0(VALU_DEP_1) | instskip(SKIP_1) | instid1(VALU_DEP_2)
	v_subrev_nc_u32_e32 v36, 29, v27
	v_sub_nc_u32_e32 v27, 30, v27
	v_lshlrev_b32_e32 v36, v36, v8
	v_bfe_u32 v8, v8, 2, 5
	s_delay_alu instid0(VALU_DEP_2) | instskip(NEXT) | instid1(VALU_DEP_2)
	v_and_b32_e32 v36, 3, v36
	v_cmp_eq_u32_e32 vcc_lo, 0, v8
	v_cndmask_b32_e32 v8, v8, v27, vcc_lo
	s_delay_alu instid0(VALU_DEP_3) | instskip(NEXT) | instid1(VALU_DEP_2)
	v_cndmask_b32_e32 v26, v26, v36, vcc_lo
	v_lshl_add_u32 v8, v8, 23, 0x37800000
	s_delay_alu instid0(VALU_DEP_2) | instskip(NEXT) | instid1(VALU_DEP_1)
	v_lshlrev_b32_e32 v26, 21, v26
	v_or3_b32 v8, v2, v8, v26
.LBB6_985:                              ;   in Loop: Header=BB6_144 Depth=3
	s_or_b32 exec_lo, exec_lo, s35
	s_delay_alu instid0(VALU_DEP_1) | instskip(NEXT) | instid1(VALU_DEP_1)
	v_mul_f32_e32 v2, s34, v8
	v_and_b32_e32 v8, 0x7f800000, v2
	s_delay_alu instid0(VALU_DEP_1)
	v_cmp_ne_u32_e32 vcc_lo, 0x7f800000, v8
	v_mov_b32_e32 v8, 0x8000
	s_and_saveexec_b32 s35, vcc_lo
	s_cbranch_execz .LBB6_993
; %bb.986:                              ;   in Loop: Header=BB6_144 Depth=3
	v_mov_b32_e32 v8, 0
	s_mov_b32 s36, exec_lo
	v_cmpx_ne_u32_e32 0, v2
	s_cbranch_execz .LBB6_992
; %bb.987:                              ;   in Loop: Header=BB6_144 Depth=3
	v_bfe_u32 v8, v2, 23, 8
	s_delay_alu instid0(VALU_DEP_1) | instskip(SKIP_1) | instid1(VALU_DEP_2)
	v_sub_nc_u32_e32 v27, 0x70, v8
	v_cmp_gt_u32_e32 vcc_lo, 0x71, v8
	v_dual_cndmask_b32 v27, 0, v27 :: v_dual_and_b32 v26, 0x7fffff, v2
	s_delay_alu instid0(VALU_DEP_1) | instskip(SKIP_2) | instid1(VALU_DEP_4)
	v_or_b32_e32 v36, 0x800000, v26
	v_cmp_eq_u32_e32 vcc_lo, 0, v8
	v_add_nc_u32_e32 v8, 0xffffff91, v8
	v_cndmask_b32_e64 v27, v27, 0x6f, vcc_lo
	s_delay_alu instid0(VALU_DEP_2) | instskip(SKIP_1) | instid1(VALU_DEP_3)
	v_cndmask_b32_e64 v8, v8, 0xffffff92, vcc_lo
	v_cndmask_b32_e32 v26, v36, v26, vcc_lo
	v_lshl_add_u32 v36, 0x200000, v27, -1
	v_lshlrev_b32_e64 v39, v27, 0x100000
	s_delay_alu instid0(VALU_DEP_3) | instskip(SKIP_1) | instid1(VALU_DEP_4)
	v_lshrrev_b32_e32 v37, v27, v26
	v_add_nc_u32_e32 v27, v27, v8
	v_and_b32_e32 v26, v36, v26
	s_delay_alu instid0(VALU_DEP_3) | instskip(NEXT) | instid1(VALU_DEP_2)
	v_bfe_u32 v38, v37, 21, 1
	v_cmp_eq_u32_e64 s13, v26, v39
	s_delay_alu instid0(VALU_DEP_2) | instskip(NEXT) | instid1(VALU_DEP_1)
	v_add_nc_u32_e32 v36, -1, v38
	v_cndmask_b32_e64 v26, 0, v36, s13
	v_lshrrev_b32_e32 v36, 23, v37
	s_mov_b32 s13, exec_lo
	s_delay_alu instid0(VALU_DEP_2) | instskip(NEXT) | instid1(VALU_DEP_2)
	v_add_nc_u32_e32 v26, v26, v37
	v_xor_b32_e32 v36, 1, v36
	s_delay_alu instid0(VALU_DEP_2) | instskip(NEXT) | instid1(VALU_DEP_1)
	v_and_b32_e32 v8, 0x1fffff, v26
	v_add_nc_u32_e32 v26, v8, v37
                                        ; implicit-def: $vgpr8
	s_delay_alu instid0(VALU_DEP_3)
	v_cmpx_ne_u32_e64 v27, v36
	s_xor_b32 s13, exec_lo, s13
; %bb.988:                              ;   in Loop: Header=BB6_144 Depth=3
	s_delay_alu instid0(VALU_DEP_2) | instskip(SKIP_2) | instid1(VALU_DEP_2)
	v_cmp_lt_u32_e32 vcc_lo, 0xffffff, v26
	v_sub_nc_u32_e32 v8, v27, v36
	v_cndmask_b32_e64 v27, 0, 1, vcc_lo
	v_add_co_ci_u32_e32 v8, vcc_lo, 0, v8, vcc_lo
	s_delay_alu instid0(VALU_DEP_2)
	v_lshrrev_b32_e32 v26, v27, v26
; %bb.989:                              ;   in Loop: Header=BB6_144 Depth=3
	s_and_not1_saveexec_b32 s13, s13
; %bb.990:                              ;   in Loop: Header=BB6_144 Depth=3
	s_delay_alu instid0(VALU_DEP_1)
	v_bfe_u32 v8, v26, 23, 1
; %bb.991:                              ;   in Loop: Header=BB6_144 Depth=3
	s_or_b32 exec_lo, exec_lo, s13
	v_lshrrev_b32_e32 v26, 21, v26
	s_delay_alu instid0(VALU_DEP_2) | instskip(SKIP_2) | instid1(VALU_DEP_4)
	v_cmp_gt_i32_e32 vcc_lo, 32, v8
	v_min_i32_e32 v27, 31, v8
	v_lshrrev_b32_e32 v2, 24, v2
	v_dual_mov_b32 v51, v128 :: v_dual_cndmask_b32 v26, 3, v26
	s_delay_alu instid0(VALU_DEP_3) | instskip(NEXT) | instid1(VALU_DEP_3)
	v_lshlrev_b32_e32 v27, 2, v27
	v_and_b32_e32 v2, 0x80, v2
	s_delay_alu instid0(VALU_DEP_3) | instskip(SKIP_1) | instid1(VALU_DEP_2)
	v_or_b32_e32 v8, v8, v26
	v_and_b32_e32 v36, 3, v26
	v_cmp_ne_u32_e32 vcc_lo, 0, v8
	v_and_b32_e32 v27, 0xfc, v27
	s_delay_alu instid0(VALU_DEP_1) | instskip(NEXT) | instid1(VALU_DEP_1)
	v_or3_b32 v2, v2, v27, v36
	v_lshlrev_b32_e32 v2, 8, v2
	s_delay_alu instid0(VALU_DEP_1)
	v_cndmask_b32_e32 v8, 0, v2, vcc_lo
.LBB6_992:                              ;   in Loop: Header=BB6_144 Depth=3
	s_or_b32 exec_lo, exec_lo, s36
.LBB6_993:                              ;   in Loop: Header=BB6_144 Depth=3
	s_delay_alu instid0(SALU_CYCLE_1)
	s_or_b32 exec_lo, exec_lo, s35
	v_lshrrev_b32_e32 v2, 16, v9
	s_mov_b32 s13, 0
	s_mov_b32 s36, exec_lo
	scratch_store_b32 off, v8, s33 offset:472 ; 4-byte Folded Spill
                                        ; implicit-def: $sgpr35
	v_and_b32_e32 v26, 0xff, v2
	s_delay_alu instid0(VALU_DEP_1)
	v_cmpx_lt_i16_e32 0x7f, v26
	s_xor_b32 s36, exec_lo, s36
	s_cbranch_execnz .LBB6_1967
; %bb.994:                              ;   in Loop: Header=BB6_144 Depth=3
	s_or_saveexec_b32 s36, s36
	v_mov_b32_e32 v8, s35
	s_xor_b32 exec_lo, exec_lo, s36
	s_cbranch_execnz .LBB6_1970
.LBB6_995:                              ;   in Loop: Header=BB6_144 Depth=3
	s_or_b32 exec_lo, exec_lo, s36
	s_and_saveexec_b32 s35, s13
	s_cbranch_execz .LBB6_997
.LBB6_996:                              ;   in Loop: Header=BB6_144 Depth=3
	v_bfe_u32 v8, v9, 16, 2
	v_lshlrev_b32_e32 v36, 8, v9
	s_delay_alu instid0(VALU_DEP_2) | instskip(NEXT) | instid1(VALU_DEP_1)
	v_clz_i32_u32_e32 v26, v8
	v_min_u32_e32 v26, 32, v26
	s_delay_alu instid0(VALU_DEP_1) | instskip(SKIP_1) | instid1(VALU_DEP_2)
	v_subrev_nc_u32_e32 v27, 29, v26
	v_sub_nc_u32_e32 v26, 30, v26
	v_lshlrev_b32_e32 v2, v27, v2
	v_bfe_u32 v27, v9, 18, 5
	s_delay_alu instid0(VALU_DEP_2) | instskip(NEXT) | instid1(VALU_DEP_2)
	v_and_b32_e32 v2, 3, v2
	v_cmp_eq_u32_e32 vcc_lo, 0, v27
	v_cndmask_b32_e32 v26, v27, v26, vcc_lo
	s_delay_alu instid0(VALU_DEP_3) | instskip(SKIP_1) | instid1(VALU_DEP_3)
	v_cndmask_b32_e32 v2, v8, v2, vcc_lo
	v_and_b32_e32 v8, 0x80000000, v36
	v_lshl_add_u32 v26, v26, 23, 0x37800000
	s_delay_alu instid0(VALU_DEP_3) | instskip(NEXT) | instid1(VALU_DEP_1)
	v_lshlrev_b32_e32 v2, 21, v2
	v_or3_b32 v8, v8, v26, v2
.LBB6_997:                              ;   in Loop: Header=BB6_144 Depth=3
	s_or_b32 exec_lo, exec_lo, s35
	s_delay_alu instid0(VALU_DEP_1) | instskip(NEXT) | instid1(VALU_DEP_1)
	v_mul_f32_e32 v2, s34, v8
	v_and_b32_e32 v8, 0x7f800000, v2
	s_delay_alu instid0(VALU_DEP_1)
	v_cmp_ne_u32_e32 vcc_lo, 0x7f800000, v8
	v_mov_b32_e32 v8, 0x80
	scratch_store_b32 off, v8, s33 offset:396 ; 4-byte Folded Spill
	s_and_saveexec_b32 s35, vcc_lo
	s_cbranch_execz .LBB6_1005
; %bb.998:                              ;   in Loop: Header=BB6_144 Depth=3
	v_mov_b32_e32 v8, 0
	s_mov_b32 s36, exec_lo
	scratch_store_b32 off, v8, s33 offset:396 ; 4-byte Folded Spill
	v_cmpx_ne_u32_e32 0, v2
	s_cbranch_execz .LBB6_1004
; %bb.999:                              ;   in Loop: Header=BB6_144 Depth=3
	v_bfe_u32 v8, v2, 23, 8
	s_delay_alu instid0(VALU_DEP_1) | instskip(SKIP_1) | instid1(VALU_DEP_2)
	v_sub_nc_u32_e32 v27, 0x70, v8
	v_cmp_gt_u32_e32 vcc_lo, 0x71, v8
	v_dual_cndmask_b32 v27, 0, v27 :: v_dual_and_b32 v26, 0x7fffff, v2
	s_delay_alu instid0(VALU_DEP_1) | instskip(SKIP_2) | instid1(VALU_DEP_4)
	v_or_b32_e32 v36, 0x800000, v26
	v_cmp_eq_u32_e32 vcc_lo, 0, v8
	v_add_nc_u32_e32 v8, 0xffffff91, v8
	v_cndmask_b32_e64 v27, v27, 0x6f, vcc_lo
	s_delay_alu instid0(VALU_DEP_2) | instskip(SKIP_1) | instid1(VALU_DEP_3)
	v_cndmask_b32_e64 v8, v8, 0xffffff92, vcc_lo
	v_cndmask_b32_e32 v26, v36, v26, vcc_lo
	v_lshl_add_u32 v36, 0x200000, v27, -1
	v_lshlrev_b32_e64 v39, v27, 0x100000
	s_delay_alu instid0(VALU_DEP_3) | instskip(SKIP_1) | instid1(VALU_DEP_4)
	v_lshrrev_b32_e32 v37, v27, v26
	v_add_nc_u32_e32 v27, v27, v8
	v_and_b32_e32 v26, v36, v26
	s_delay_alu instid0(VALU_DEP_3) | instskip(NEXT) | instid1(VALU_DEP_2)
	v_bfe_u32 v38, v37, 21, 1
	v_cmp_eq_u32_e64 s13, v26, v39
	s_delay_alu instid0(VALU_DEP_2) | instskip(NEXT) | instid1(VALU_DEP_1)
	v_add_nc_u32_e32 v36, -1, v38
	v_cndmask_b32_e64 v26, 0, v36, s13
	v_lshrrev_b32_e32 v36, 23, v37
	s_mov_b32 s13, exec_lo
	s_delay_alu instid0(VALU_DEP_2) | instskip(NEXT) | instid1(VALU_DEP_2)
	v_add_nc_u32_e32 v26, v26, v37
	v_xor_b32_e32 v36, 1, v36
	s_delay_alu instid0(VALU_DEP_2) | instskip(NEXT) | instid1(VALU_DEP_1)
	v_and_b32_e32 v8, 0x1fffff, v26
	v_add_nc_u32_e32 v26, v8, v37
                                        ; implicit-def: $vgpr8
	s_delay_alu instid0(VALU_DEP_3)
	v_cmpx_ne_u32_e64 v27, v36
	s_xor_b32 s13, exec_lo, s13
; %bb.1000:                             ;   in Loop: Header=BB6_144 Depth=3
	s_delay_alu instid0(VALU_DEP_2) | instskip(SKIP_2) | instid1(VALU_DEP_2)
	v_cmp_lt_u32_e32 vcc_lo, 0xffffff, v26
	v_sub_nc_u32_e32 v8, v27, v36
	v_cndmask_b32_e64 v27, 0, 1, vcc_lo
	v_add_co_ci_u32_e32 v8, vcc_lo, 0, v8, vcc_lo
	s_delay_alu instid0(VALU_DEP_2)
	v_lshrrev_b32_e32 v26, v27, v26
; %bb.1001:                             ;   in Loop: Header=BB6_144 Depth=3
	s_and_not1_saveexec_b32 s13, s13
; %bb.1002:                             ;   in Loop: Header=BB6_144 Depth=3
	s_delay_alu instid0(VALU_DEP_1)
	v_bfe_u32 v8, v26, 23, 1
; %bb.1003:                             ;   in Loop: Header=BB6_144 Depth=3
	s_or_b32 exec_lo, exec_lo, s13
	v_lshrrev_b32_e32 v26, 21, v26
	s_delay_alu instid0(VALU_DEP_2) | instskip(SKIP_2) | instid1(VALU_DEP_4)
	v_cmp_gt_i32_e32 vcc_lo, 32, v8
	v_min_i32_e32 v27, 31, v8
	v_lshrrev_b32_e32 v2, 24, v2
	v_dual_mov_b32 v51, v128 :: v_dual_cndmask_b32 v26, 3, v26
	s_delay_alu instid0(VALU_DEP_3) | instskip(NEXT) | instid1(VALU_DEP_3)
	v_lshlrev_b32_e32 v27, 2, v27
	v_and_b32_e32 v2, 0x80, v2
	s_delay_alu instid0(VALU_DEP_3) | instskip(SKIP_1) | instid1(VALU_DEP_2)
	v_or_b32_e32 v8, v8, v26
	v_and_b32_e32 v36, 3, v26
	v_cmp_ne_u32_e32 vcc_lo, 0, v8
	v_and_b32_e32 v27, 0xfc, v27
	s_delay_alu instid0(VALU_DEP_1) | instskip(NEXT) | instid1(VALU_DEP_1)
	v_or3_b32 v2, v27, v2, v36
	v_cndmask_b32_e32 v2, 0, v2, vcc_lo
	scratch_store_b32 off, v2, s33 offset:396 ; 4-byte Folded Spill
.LBB6_1004:                             ;   in Loop: Header=BB6_144 Depth=3
	s_or_b32 exec_lo, exec_lo, s36
.LBB6_1005:                             ;   in Loop: Header=BB6_144 Depth=3
	s_delay_alu instid0(SALU_CYCLE_1) | instskip(SKIP_3) | instid1(VALU_DEP_1)
	s_or_b32 exec_lo, exec_lo, s35
	v_lshrrev_b32_e32 v2, 24, v9
	s_mov_b32 s13, 0
	s_mov_b32 s36, exec_lo
                                        ; implicit-def: $sgpr35
	v_cmpx_lt_i16_e32 0x7f, v2
	s_xor_b32 s36, exec_lo, s36
	s_cbranch_execnz .LBB6_1971
; %bb.1006:                             ;   in Loop: Header=BB6_144 Depth=3
	s_or_saveexec_b32 s36, s36
	v_mov_b32_e32 v8, s35
	s_xor_b32 exec_lo, exec_lo, s36
	s_cbranch_execnz .LBB6_1974
.LBB6_1007:                             ;   in Loop: Header=BB6_144 Depth=3
	s_or_b32 exec_lo, exec_lo, s36
	s_and_saveexec_b32 s35, s13
	s_cbranch_execz .LBB6_1009
.LBB6_1008:                             ;   in Loop: Header=BB6_144 Depth=3
	v_bfe_u32 v8, v9, 24, 2
	s_delay_alu instid0(VALU_DEP_1) | instskip(NEXT) | instid1(VALU_DEP_1)
	v_clz_i32_u32_e32 v26, v8
	v_min_u32_e32 v26, 32, v26
	s_delay_alu instid0(VALU_DEP_1) | instskip(SKIP_1) | instid1(VALU_DEP_2)
	v_subrev_nc_u32_e32 v27, 29, v26
	v_sub_nc_u32_e32 v26, 30, v26
	v_lshlrev_b32_e32 v2, v27, v2
	v_bfe_u32 v27, v9, 26, 5
	s_delay_alu instid0(VALU_DEP_2) | instskip(NEXT) | instid1(VALU_DEP_2)
	v_and_b32_e32 v2, 3, v2
	v_cmp_eq_u32_e32 vcc_lo, 0, v27
	v_cndmask_b32_e32 v26, v27, v26, vcc_lo
	s_delay_alu instid0(VALU_DEP_3) | instskip(SKIP_1) | instid1(VALU_DEP_3)
	v_cndmask_b32_e32 v2, v8, v2, vcc_lo
	v_and_b32_e32 v8, 0x80000000, v9
	v_lshl_add_u32 v9, v26, 23, 0x37800000
	s_delay_alu instid0(VALU_DEP_3) | instskip(NEXT) | instid1(VALU_DEP_1)
	v_lshlrev_b32_e32 v2, 21, v2
	v_or3_b32 v8, v8, v9, v2
.LBB6_1009:                             ;   in Loop: Header=BB6_144 Depth=3
	s_or_b32 exec_lo, exec_lo, s35
	s_delay_alu instid0(VALU_DEP_1) | instskip(NEXT) | instid1(VALU_DEP_1)
	v_mul_f32_e32 v2, s34, v8
	v_and_b32_e32 v8, 0x7f800000, v2
	s_delay_alu instid0(VALU_DEP_1)
	v_cmp_ne_u32_e32 vcc_lo, 0x7f800000, v8
	v_mov_b32_e32 v8, 0x8000
	s_and_saveexec_b32 s35, vcc_lo
	s_cbranch_execz .LBB6_1017
; %bb.1010:                             ;   in Loop: Header=BB6_144 Depth=3
	v_mov_b32_e32 v8, 0
	s_mov_b32 s36, exec_lo
	v_cmpx_ne_u32_e32 0, v2
	s_cbranch_execz .LBB6_1016
; %bb.1011:                             ;   in Loop: Header=BB6_144 Depth=3
	v_bfe_u32 v8, v2, 23, 8
	v_and_b32_e32 v9, 0x7fffff, v2
	s_delay_alu instid0(VALU_DEP_2) | instskip(SKIP_1) | instid1(VALU_DEP_3)
	v_sub_nc_u32_e32 v26, 0x70, v8
	v_cmp_gt_u32_e32 vcc_lo, 0x71, v8
	v_or_b32_e32 v27, 0x800000, v9
	s_delay_alu instid0(VALU_DEP_3) | instskip(SKIP_1) | instid1(VALU_DEP_3)
	v_cndmask_b32_e32 v26, 0, v26, vcc_lo
	v_cmp_eq_u32_e32 vcc_lo, 0, v8
	v_dual_cndmask_b32 v9, v27, v9 :: v_dual_add_nc_u32 v8, 0xffffff91, v8
	s_delay_alu instid0(VALU_DEP_3) | instskip(NEXT) | instid1(VALU_DEP_2)
	v_cndmask_b32_e64 v26, v26, 0x6f, vcc_lo
	v_cndmask_b32_e64 v8, v8, 0xffffff92, vcc_lo
	s_delay_alu instid0(VALU_DEP_2) | instskip(SKIP_2) | instid1(VALU_DEP_4)
	v_lshrrev_b32_e32 v36, v26, v9
	v_lshl_add_u32 v27, 0x200000, v26, -1
	v_lshlrev_b32_e64 v38, v26, 0x100000
	v_add_nc_u32_e32 v26, v26, v8
	s_delay_alu instid0(VALU_DEP_4) | instskip(NEXT) | instid1(VALU_DEP_4)
	v_bfe_u32 v37, v36, 21, 1
	v_and_b32_e32 v9, v27, v9
	s_delay_alu instid0(VALU_DEP_2) | instskip(NEXT) | instid1(VALU_DEP_2)
	v_add_nc_u32_e32 v27, -1, v37
	v_cmp_eq_u32_e64 s13, v9, v38
	s_delay_alu instid0(VALU_DEP_1) | instskip(SKIP_2) | instid1(VALU_DEP_2)
	v_cndmask_b32_e64 v9, 0, v27, s13
	v_lshrrev_b32_e32 v27, 23, v36
	s_mov_b32 s13, exec_lo
	v_add_nc_u32_e32 v9, v9, v36
	s_delay_alu instid0(VALU_DEP_2) | instskip(NEXT) | instid1(VALU_DEP_2)
	v_xor_b32_e32 v27, 1, v27
	v_and_b32_e32 v8, 0x1fffff, v9
	s_delay_alu instid0(VALU_DEP_1) | instskip(NEXT) | instid1(VALU_DEP_3)
	v_add_nc_u32_e32 v9, v8, v36
                                        ; implicit-def: $vgpr8
	v_cmpx_ne_u32_e64 v26, v27
	s_xor_b32 s13, exec_lo, s13
; %bb.1012:                             ;   in Loop: Header=BB6_144 Depth=3
	s_delay_alu instid0(VALU_DEP_2) | instskip(SKIP_2) | instid1(VALU_DEP_2)
	v_cmp_lt_u32_e32 vcc_lo, 0xffffff, v9
	v_sub_nc_u32_e32 v8, v26, v27
	v_cndmask_b32_e64 v26, 0, 1, vcc_lo
	v_add_co_ci_u32_e32 v8, vcc_lo, 0, v8, vcc_lo
	s_delay_alu instid0(VALU_DEP_2)
	v_lshrrev_b32_e32 v9, v26, v9
; %bb.1013:                             ;   in Loop: Header=BB6_144 Depth=3
	s_and_not1_saveexec_b32 s13, s13
; %bb.1014:                             ;   in Loop: Header=BB6_144 Depth=3
	s_delay_alu instid0(VALU_DEP_1)
	v_bfe_u32 v8, v9, 23, 1
; %bb.1015:                             ;   in Loop: Header=BB6_144 Depth=3
	s_or_b32 exec_lo, exec_lo, s13
	v_lshrrev_b32_e32 v9, 21, v9
	s_delay_alu instid0(VALU_DEP_2) | instskip(SKIP_3) | instid1(VALU_DEP_3)
	v_cmp_gt_i32_e32 vcc_lo, 32, v8
	v_min_i32_e32 v26, 31, v8
	v_lshrrev_b32_e32 v2, 24, v2
	v_mov_b32_e32 v51, v128
	v_dual_cndmask_b32 v9, 3, v9 :: v_dual_lshlrev_b32 v26, 2, v26
	s_delay_alu instid0(VALU_DEP_3) | instskip(NEXT) | instid1(VALU_DEP_2)
	v_and_b32_e32 v2, 0x80, v2
	v_or_b32_e32 v8, v8, v9
	s_delay_alu instid0(VALU_DEP_3) | instskip(NEXT) | instid1(VALU_DEP_2)
	v_and_b32_e32 v26, 0xfc, v26
	v_cmp_ne_u32_e32 vcc_lo, 0, v8
	v_and_b32_e32 v27, 3, v9
	s_delay_alu instid0(VALU_DEP_1) | instskip(NEXT) | instid1(VALU_DEP_1)
	v_or3_b32 v2, v2, v26, v27
	v_lshlrev_b32_e32 v2, 8, v2
	s_delay_alu instid0(VALU_DEP_1)
	v_cndmask_b32_e32 v8, 0, v2, vcc_lo
.LBB6_1016:                             ;   in Loop: Header=BB6_144 Depth=3
	s_or_b32 exec_lo, exec_lo, s36
.LBB6_1017:                             ;   in Loop: Header=BB6_144 Depth=3
	s_delay_alu instid0(SALU_CYCLE_1) | instskip(SKIP_4) | instid1(VALU_DEP_1)
	s_or_b32 exec_lo, exec_lo, s35
	scratch_store_b32 off, v8, s33 offset:476 ; 4-byte Folded Spill
	v_and_b32_e32 v8, 0xff, v10
	s_mov_b32 s13, 0
	s_mov_b32 s36, exec_lo
                                        ; implicit-def: $sgpr35
	v_cmpx_lt_i16_e32 0x7f, v8
	s_xor_b32 s36, exec_lo, s36
	s_cbranch_execnz .LBB6_1975
; %bb.1018:                             ;   in Loop: Header=BB6_144 Depth=3
	s_or_saveexec_b32 s36, s36
	v_mov_b32_e32 v2, s35
	s_xor_b32 exec_lo, exec_lo, s36
	s_cbranch_execnz .LBB6_1978
.LBB6_1019:                             ;   in Loop: Header=BB6_144 Depth=3
	s_or_b32 exec_lo, exec_lo, s36
	s_and_saveexec_b32 s35, s13
	s_cbranch_execz .LBB6_1021
.LBB6_1020:                             ;   in Loop: Header=BB6_144 Depth=3
	v_and_b32_e32 v2, 3, v10
	v_bfe_u32 v26, v10, 2, 5
	s_delay_alu instid0(VALU_DEP_2) | instskip(NEXT) | instid1(VALU_DEP_2)
	v_clz_i32_u32_e32 v8, v2
	v_cmp_eq_u32_e32 vcc_lo, 0, v26
	s_delay_alu instid0(VALU_DEP_2) | instskip(NEXT) | instid1(VALU_DEP_1)
	v_min_u32_e32 v8, 32, v8
	v_subrev_nc_u32_e32 v9, 29, v8
	v_sub_nc_u32_e32 v8, 30, v8
	s_delay_alu instid0(VALU_DEP_1) | instskip(NEXT) | instid1(VALU_DEP_1)
	v_dual_cndmask_b32 v8, v26, v8 :: v_dual_lshlrev_b32 v9, v9, v10
	v_and_b32_e32 v9, 3, v9
	v_lshlrev_b32_e32 v27, 24, v10
	s_delay_alu instid0(VALU_DEP_3) | instskip(NEXT) | instid1(VALU_DEP_2)
	v_lshl_add_u32 v8, v8, 23, 0x37800000
	v_dual_cndmask_b32 v2, v2, v9 :: v_dual_and_b32 v9, 0x80000000, v27
	s_delay_alu instid0(VALU_DEP_1) | instskip(NEXT) | instid1(VALU_DEP_1)
	v_lshlrev_b32_e32 v2, 21, v2
	v_or3_b32 v2, v9, v8, v2
.LBB6_1021:                             ;   in Loop: Header=BB6_144 Depth=3
	s_or_b32 exec_lo, exec_lo, s35
	s_delay_alu instid0(VALU_DEP_1) | instskip(NEXT) | instid1(VALU_DEP_1)
	v_mul_f32_e32 v2, s34, v2
	v_and_b32_e32 v8, 0x7f800000, v2
	s_delay_alu instid0(VALU_DEP_1)
	v_cmp_ne_u32_e32 vcc_lo, 0x7f800000, v8
	v_mov_b32_e32 v8, 0x80
	scratch_store_b32 off, v8, s33 offset:400 ; 4-byte Folded Spill
	s_and_saveexec_b32 s35, vcc_lo
	s_cbranch_execz .LBB6_1029
; %bb.1022:                             ;   in Loop: Header=BB6_144 Depth=3
	v_mov_b32_e32 v8, 0
	s_mov_b32 s36, exec_lo
	scratch_store_b32 off, v8, s33 offset:400 ; 4-byte Folded Spill
	v_cmpx_ne_u32_e32 0, v2
	s_cbranch_execz .LBB6_1028
; %bb.1023:                             ;   in Loop: Header=BB6_144 Depth=3
	v_bfe_u32 v8, v2, 23, 8
	v_and_b32_e32 v9, 0x7fffff, v2
	s_delay_alu instid0(VALU_DEP_2) | instskip(SKIP_1) | instid1(VALU_DEP_3)
	v_sub_nc_u32_e32 v26, 0x70, v8
	v_cmp_gt_u32_e32 vcc_lo, 0x71, v8
	v_or_b32_e32 v27, 0x800000, v9
	s_delay_alu instid0(VALU_DEP_3) | instskip(SKIP_1) | instid1(VALU_DEP_3)
	v_cndmask_b32_e32 v26, 0, v26, vcc_lo
	v_cmp_eq_u32_e32 vcc_lo, 0, v8
	v_dual_cndmask_b32 v9, v27, v9 :: v_dual_add_nc_u32 v8, 0xffffff91, v8
	s_delay_alu instid0(VALU_DEP_3) | instskip(NEXT) | instid1(VALU_DEP_2)
	v_cndmask_b32_e64 v26, v26, 0x6f, vcc_lo
	v_cndmask_b32_e64 v8, v8, 0xffffff92, vcc_lo
	s_delay_alu instid0(VALU_DEP_2) | instskip(SKIP_2) | instid1(VALU_DEP_4)
	v_lshrrev_b32_e32 v36, v26, v9
	v_lshl_add_u32 v27, 0x200000, v26, -1
	v_lshlrev_b32_e64 v38, v26, 0x100000
	v_add_nc_u32_e32 v26, v26, v8
	s_delay_alu instid0(VALU_DEP_4) | instskip(NEXT) | instid1(VALU_DEP_4)
	v_bfe_u32 v37, v36, 21, 1
	v_and_b32_e32 v9, v27, v9
	s_delay_alu instid0(VALU_DEP_2) | instskip(NEXT) | instid1(VALU_DEP_2)
	v_add_nc_u32_e32 v27, -1, v37
	v_cmp_eq_u32_e64 s13, v9, v38
	s_delay_alu instid0(VALU_DEP_1) | instskip(SKIP_2) | instid1(VALU_DEP_2)
	v_cndmask_b32_e64 v9, 0, v27, s13
	v_lshrrev_b32_e32 v27, 23, v36
	s_mov_b32 s13, exec_lo
	v_add_nc_u32_e32 v9, v9, v36
	s_delay_alu instid0(VALU_DEP_2) | instskip(NEXT) | instid1(VALU_DEP_2)
	v_xor_b32_e32 v27, 1, v27
	v_and_b32_e32 v8, 0x1fffff, v9
	s_delay_alu instid0(VALU_DEP_1) | instskip(NEXT) | instid1(VALU_DEP_3)
	v_add_nc_u32_e32 v9, v8, v36
                                        ; implicit-def: $vgpr8
	v_cmpx_ne_u32_e64 v26, v27
	s_xor_b32 s13, exec_lo, s13
; %bb.1024:                             ;   in Loop: Header=BB6_144 Depth=3
	s_delay_alu instid0(VALU_DEP_2) | instskip(SKIP_2) | instid1(VALU_DEP_2)
	v_cmp_lt_u32_e32 vcc_lo, 0xffffff, v9
	v_sub_nc_u32_e32 v8, v26, v27
	v_cndmask_b32_e64 v26, 0, 1, vcc_lo
	v_add_co_ci_u32_e32 v8, vcc_lo, 0, v8, vcc_lo
	s_delay_alu instid0(VALU_DEP_2)
	v_lshrrev_b32_e32 v9, v26, v9
; %bb.1025:                             ;   in Loop: Header=BB6_144 Depth=3
	s_and_not1_saveexec_b32 s13, s13
; %bb.1026:                             ;   in Loop: Header=BB6_144 Depth=3
	s_delay_alu instid0(VALU_DEP_1)
	v_bfe_u32 v8, v9, 23, 1
; %bb.1027:                             ;   in Loop: Header=BB6_144 Depth=3
	s_or_b32 exec_lo, exec_lo, s13
	v_lshrrev_b32_e32 v9, 21, v9
	s_delay_alu instid0(VALU_DEP_2) | instskip(SKIP_3) | instid1(VALU_DEP_3)
	v_cmp_gt_i32_e32 vcc_lo, 32, v8
	v_lshrrev_b32_e32 v2, 24, v2
	v_min_i32_e32 v26, 31, v8
	v_mov_b32_e32 v51, v128
	v_dual_cndmask_b32 v9, 3, v9 :: v_dual_and_b32 v2, 0x80, v2
	s_delay_alu instid0(VALU_DEP_3) | instskip(NEXT) | instid1(VALU_DEP_2)
	v_lshlrev_b32_e32 v26, 2, v26
	v_or_b32_e32 v8, v8, v9
	s_delay_alu instid0(VALU_DEP_1) | instskip(SKIP_1) | instid1(VALU_DEP_1)
	v_cmp_ne_u32_e32 vcc_lo, 0, v8
	v_and_b32_e32 v27, 3, v9
	v_or3_b32 v2, v26, v2, v27
	s_delay_alu instid0(VALU_DEP_1)
	v_cndmask_b32_e32 v2, 0, v2, vcc_lo
	scratch_store_b32 off, v2, s33 offset:400 ; 4-byte Folded Spill
.LBB6_1028:                             ;   in Loop: Header=BB6_144 Depth=3
	s_or_b32 exec_lo, exec_lo, s36
.LBB6_1029:                             ;   in Loop: Header=BB6_144 Depth=3
	s_delay_alu instid0(SALU_CYCLE_1) | instskip(SKIP_3) | instid1(VALU_DEP_1)
	s_or_b32 exec_lo, exec_lo, s35
	v_lshrrev_b16 v2, 8, v10
	s_mov_b32 s13, 0
	s_mov_b32 s36, exec_lo
                                        ; implicit-def: $sgpr35
	v_cmpx_lt_i16_e32 0x7f, v2
	s_xor_b32 s36, exec_lo, s36
	s_cbranch_execnz .LBB6_1979
; %bb.1030:                             ;   in Loop: Header=BB6_144 Depth=3
	s_or_saveexec_b32 s36, s36
	v_mov_b32_e32 v8, s35
	s_xor_b32 exec_lo, exec_lo, s36
	s_cbranch_execnz .LBB6_1982
.LBB6_1031:                             ;   in Loop: Header=BB6_144 Depth=3
	s_or_b32 exec_lo, exec_lo, s36
	s_and_saveexec_b32 s35, s13
	s_cbranch_execz .LBB6_1033
.LBB6_1032:                             ;   in Loop: Header=BB6_144 Depth=3
	v_and_b32_e32 v8, 0xffff, v2
	v_lshlrev_b32_e32 v2, 24, v2
	s_delay_alu instid0(VALU_DEP_2) | instskip(NEXT) | instid1(VALU_DEP_2)
	v_and_b32_e32 v9, 3, v8
	v_and_b32_e32 v2, 0x80000000, v2
	s_delay_alu instid0(VALU_DEP_2) | instskip(NEXT) | instid1(VALU_DEP_1)
	v_clz_i32_u32_e32 v26, v9
	v_min_u32_e32 v26, 32, v26
	s_delay_alu instid0(VALU_DEP_1) | instskip(SKIP_1) | instid1(VALU_DEP_2)
	v_subrev_nc_u32_e32 v27, 29, v26
	v_sub_nc_u32_e32 v26, 30, v26
	v_lshlrev_b32_e32 v27, v27, v8
	v_bfe_u32 v8, v8, 2, 5
	s_delay_alu instid0(VALU_DEP_2) | instskip(NEXT) | instid1(VALU_DEP_2)
	v_and_b32_e32 v27, 3, v27
	v_cmp_eq_u32_e32 vcc_lo, 0, v8
	s_delay_alu instid0(VALU_DEP_2) | instskip(NEXT) | instid1(VALU_DEP_1)
	v_dual_cndmask_b32 v8, v8, v26 :: v_dual_cndmask_b32 v9, v9, v27
	v_lshl_add_u32 v8, v8, 23, 0x37800000
	s_delay_alu instid0(VALU_DEP_2) | instskip(NEXT) | instid1(VALU_DEP_1)
	v_lshlrev_b32_e32 v9, 21, v9
	v_or3_b32 v8, v2, v8, v9
.LBB6_1033:                             ;   in Loop: Header=BB6_144 Depth=3
	s_or_b32 exec_lo, exec_lo, s35
	s_delay_alu instid0(VALU_DEP_1) | instskip(NEXT) | instid1(VALU_DEP_1)
	v_mul_f32_e32 v2, s34, v8
	v_and_b32_e32 v8, 0x7f800000, v2
	s_delay_alu instid0(VALU_DEP_1)
	v_cmp_ne_u32_e32 vcc_lo, 0x7f800000, v8
	v_mov_b32_e32 v8, 0x80
	s_and_saveexec_b32 s35, vcc_lo
	s_cbranch_execz .LBB6_1041
; %bb.1034:                             ;   in Loop: Header=BB6_144 Depth=3
	v_mov_b32_e32 v8, 0
	s_mov_b32 s36, exec_lo
	v_cmpx_ne_u32_e32 0, v2
	s_cbranch_execz .LBB6_1040
; %bb.1035:                             ;   in Loop: Header=BB6_144 Depth=3
	v_bfe_u32 v8, v2, 23, 8
	v_and_b32_e32 v9, 0x7fffff, v2
	s_delay_alu instid0(VALU_DEP_2) | instskip(SKIP_1) | instid1(VALU_DEP_3)
	v_sub_nc_u32_e32 v26, 0x70, v8
	v_cmp_gt_u32_e32 vcc_lo, 0x71, v8
	v_or_b32_e32 v27, 0x800000, v9
	s_delay_alu instid0(VALU_DEP_3) | instskip(SKIP_1) | instid1(VALU_DEP_3)
	v_cndmask_b32_e32 v26, 0, v26, vcc_lo
	v_cmp_eq_u32_e32 vcc_lo, 0, v8
	v_dual_cndmask_b32 v9, v27, v9 :: v_dual_add_nc_u32 v8, 0xffffff91, v8
	s_delay_alu instid0(VALU_DEP_3) | instskip(NEXT) | instid1(VALU_DEP_2)
	v_cndmask_b32_e64 v26, v26, 0x6f, vcc_lo
	v_cndmask_b32_e64 v8, v8, 0xffffff92, vcc_lo
	s_delay_alu instid0(VALU_DEP_2) | instskip(SKIP_2) | instid1(VALU_DEP_4)
	v_lshrrev_b32_e32 v36, v26, v9
	v_lshl_add_u32 v27, 0x200000, v26, -1
	v_lshlrev_b32_e64 v38, v26, 0x100000
	v_add_nc_u32_e32 v26, v26, v8
	s_delay_alu instid0(VALU_DEP_4) | instskip(NEXT) | instid1(VALU_DEP_4)
	v_bfe_u32 v37, v36, 21, 1
	v_and_b32_e32 v9, v27, v9
	s_delay_alu instid0(VALU_DEP_2) | instskip(NEXT) | instid1(VALU_DEP_2)
	v_add_nc_u32_e32 v27, -1, v37
	v_cmp_eq_u32_e64 s13, v9, v38
	s_delay_alu instid0(VALU_DEP_1) | instskip(SKIP_2) | instid1(VALU_DEP_2)
	v_cndmask_b32_e64 v9, 0, v27, s13
	v_lshrrev_b32_e32 v27, 23, v36
	s_mov_b32 s13, exec_lo
	v_add_nc_u32_e32 v9, v9, v36
	s_delay_alu instid0(VALU_DEP_2) | instskip(NEXT) | instid1(VALU_DEP_2)
	v_xor_b32_e32 v27, 1, v27
	v_and_b32_e32 v8, 0x1fffff, v9
	s_delay_alu instid0(VALU_DEP_1) | instskip(NEXT) | instid1(VALU_DEP_3)
	v_add_nc_u32_e32 v9, v8, v36
                                        ; implicit-def: $vgpr8
	v_cmpx_ne_u32_e64 v26, v27
	s_xor_b32 s13, exec_lo, s13
; %bb.1036:                             ;   in Loop: Header=BB6_144 Depth=3
	s_delay_alu instid0(VALU_DEP_2) | instskip(SKIP_2) | instid1(VALU_DEP_2)
	v_cmp_lt_u32_e32 vcc_lo, 0xffffff, v9
	v_sub_nc_u32_e32 v8, v26, v27
	v_cndmask_b32_e64 v26, 0, 1, vcc_lo
	v_add_co_ci_u32_e32 v8, vcc_lo, 0, v8, vcc_lo
	s_delay_alu instid0(VALU_DEP_2)
	v_lshrrev_b32_e32 v9, v26, v9
; %bb.1037:                             ;   in Loop: Header=BB6_144 Depth=3
	s_and_not1_saveexec_b32 s13, s13
; %bb.1038:                             ;   in Loop: Header=BB6_144 Depth=3
	s_delay_alu instid0(VALU_DEP_1)
	v_bfe_u32 v8, v9, 23, 1
; %bb.1039:                             ;   in Loop: Header=BB6_144 Depth=3
	s_or_b32 exec_lo, exec_lo, s13
	v_lshrrev_b32_e32 v9, 21, v9
	s_delay_alu instid0(VALU_DEP_2) | instskip(SKIP_3) | instid1(VALU_DEP_3)
	v_cmp_gt_i32_e32 vcc_lo, 32, v8
	v_lshrrev_b32_e32 v2, 24, v2
	v_min_i32_e32 v26, 31, v8
	v_mov_b32_e32 v51, v128
	v_dual_cndmask_b32 v9, 3, v9 :: v_dual_and_b32 v2, 0x80, v2
	s_delay_alu instid0(VALU_DEP_3) | instskip(NEXT) | instid1(VALU_DEP_2)
	v_lshlrev_b32_e32 v26, 2, v26
	v_or_b32_e32 v8, v8, v9
	s_delay_alu instid0(VALU_DEP_1) | instskip(SKIP_1) | instid1(VALU_DEP_1)
	v_cmp_ne_u32_e32 vcc_lo, 0, v8
	v_and_b32_e32 v27, 3, v9
	v_or3_b32 v2, v26, v2, v27
	s_delay_alu instid0(VALU_DEP_1)
	v_cndmask_b32_e32 v8, 0, v2, vcc_lo
.LBB6_1040:                             ;   in Loop: Header=BB6_144 Depth=3
	s_or_b32 exec_lo, exec_lo, s36
.LBB6_1041:                             ;   in Loop: Header=BB6_144 Depth=3
	s_delay_alu instid0(SALU_CYCLE_1)
	s_or_b32 exec_lo, exec_lo, s35
	v_lshrrev_b32_e32 v2, 16, v10
	s_mov_b32 s13, 0
	s_mov_b32 s36, exec_lo
	scratch_store_b32 off, v8, s33 offset:480 ; 4-byte Folded Spill
                                        ; implicit-def: $sgpr35
	v_and_b32_e32 v9, 0xff, v2
	s_delay_alu instid0(VALU_DEP_1)
	v_cmpx_lt_i16_e32 0x7f, v9
	s_xor_b32 s36, exec_lo, s36
	s_cbranch_execnz .LBB6_1983
; %bb.1042:                             ;   in Loop: Header=BB6_144 Depth=3
	s_or_saveexec_b32 s36, s36
	v_mov_b32_e32 v8, s35
	s_xor_b32 exec_lo, exec_lo, s36
	s_cbranch_execnz .LBB6_1986
.LBB6_1043:                             ;   in Loop: Header=BB6_144 Depth=3
	s_or_b32 exec_lo, exec_lo, s36
	s_and_saveexec_b32 s35, s13
	s_cbranch_execz .LBB6_1045
.LBB6_1044:                             ;   in Loop: Header=BB6_144 Depth=3
	v_bfe_u32 v8, v10, 16, 2
	v_lshlrev_b32_e32 v27, 8, v10
	s_delay_alu instid0(VALU_DEP_2) | instskip(NEXT) | instid1(VALU_DEP_1)
	v_clz_i32_u32_e32 v9, v8
	v_min_u32_e32 v9, 32, v9
	s_delay_alu instid0(VALU_DEP_1) | instskip(SKIP_1) | instid1(VALU_DEP_2)
	v_subrev_nc_u32_e32 v26, 29, v9
	v_sub_nc_u32_e32 v9, 30, v9
	v_lshlrev_b32_e32 v2, v26, v2
	v_bfe_u32 v26, v10, 18, 5
	s_delay_alu instid0(VALU_DEP_1) | instskip(NEXT) | instid1(VALU_DEP_3)
	v_cmp_eq_u32_e32 vcc_lo, 0, v26
	v_dual_cndmask_b32 v9, v26, v9 :: v_dual_and_b32 v2, 3, v2
	s_delay_alu instid0(VALU_DEP_1) | instskip(SKIP_1) | instid1(VALU_DEP_3)
	v_cndmask_b32_e32 v2, v8, v2, vcc_lo
	v_and_b32_e32 v8, 0x80000000, v27
	v_lshl_add_u32 v9, v9, 23, 0x37800000
	s_delay_alu instid0(VALU_DEP_3) | instskip(NEXT) | instid1(VALU_DEP_1)
	v_lshlrev_b32_e32 v2, 21, v2
	v_or3_b32 v8, v8, v9, v2
.LBB6_1045:                             ;   in Loop: Header=BB6_144 Depth=3
	s_or_b32 exec_lo, exec_lo, s35
	s_delay_alu instid0(VALU_DEP_1) | instskip(NEXT) | instid1(VALU_DEP_1)
	v_mul_f32_e32 v2, s34, v8
	v_and_b32_e32 v8, 0x7f800000, v2
	s_delay_alu instid0(VALU_DEP_1)
	v_cmp_ne_u32_e32 vcc_lo, 0x7f800000, v8
	v_mov_b32_e32 v8, 0x80
	scratch_store_b32 off, v8, s33 offset:404 ; 4-byte Folded Spill
	s_and_saveexec_b32 s35, vcc_lo
	s_cbranch_execz .LBB6_1053
; %bb.1046:                             ;   in Loop: Header=BB6_144 Depth=3
	v_mov_b32_e32 v8, 0
	s_mov_b32 s36, exec_lo
	scratch_store_b32 off, v8, s33 offset:404 ; 4-byte Folded Spill
	v_cmpx_ne_u32_e32 0, v2
	s_cbranch_execz .LBB6_1052
; %bb.1047:                             ;   in Loop: Header=BB6_144 Depth=3
	v_bfe_u32 v8, v2, 23, 8
	v_and_b32_e32 v9, 0x7fffff, v2
	s_delay_alu instid0(VALU_DEP_2) | instskip(SKIP_1) | instid1(VALU_DEP_3)
	v_sub_nc_u32_e32 v26, 0x70, v8
	v_cmp_gt_u32_e32 vcc_lo, 0x71, v8
	v_or_b32_e32 v27, 0x800000, v9
	s_delay_alu instid0(VALU_DEP_3) | instskip(SKIP_1) | instid1(VALU_DEP_3)
	v_cndmask_b32_e32 v26, 0, v26, vcc_lo
	v_cmp_eq_u32_e32 vcc_lo, 0, v8
	v_dual_cndmask_b32 v9, v27, v9 :: v_dual_add_nc_u32 v8, 0xffffff91, v8
	s_delay_alu instid0(VALU_DEP_3) | instskip(NEXT) | instid1(VALU_DEP_2)
	v_cndmask_b32_e64 v26, v26, 0x6f, vcc_lo
	v_cndmask_b32_e64 v8, v8, 0xffffff92, vcc_lo
	s_delay_alu instid0(VALU_DEP_2) | instskip(SKIP_2) | instid1(VALU_DEP_4)
	v_lshrrev_b32_e32 v36, v26, v9
	v_lshl_add_u32 v27, 0x200000, v26, -1
	v_lshlrev_b32_e64 v38, v26, 0x100000
	v_add_nc_u32_e32 v26, v26, v8
	s_delay_alu instid0(VALU_DEP_4) | instskip(NEXT) | instid1(VALU_DEP_4)
	v_bfe_u32 v37, v36, 21, 1
	v_and_b32_e32 v9, v27, v9
	s_delay_alu instid0(VALU_DEP_2) | instskip(NEXT) | instid1(VALU_DEP_2)
	v_add_nc_u32_e32 v27, -1, v37
	v_cmp_eq_u32_e64 s13, v9, v38
	s_delay_alu instid0(VALU_DEP_1) | instskip(SKIP_2) | instid1(VALU_DEP_2)
	v_cndmask_b32_e64 v9, 0, v27, s13
	v_lshrrev_b32_e32 v27, 23, v36
	s_mov_b32 s13, exec_lo
	v_add_nc_u32_e32 v9, v9, v36
	s_delay_alu instid0(VALU_DEP_2) | instskip(NEXT) | instid1(VALU_DEP_2)
	v_xor_b32_e32 v27, 1, v27
	v_and_b32_e32 v8, 0x1fffff, v9
	s_delay_alu instid0(VALU_DEP_1) | instskip(NEXT) | instid1(VALU_DEP_3)
	v_add_nc_u32_e32 v9, v8, v36
                                        ; implicit-def: $vgpr8
	v_cmpx_ne_u32_e64 v26, v27
	s_xor_b32 s13, exec_lo, s13
; %bb.1048:                             ;   in Loop: Header=BB6_144 Depth=3
	s_delay_alu instid0(VALU_DEP_2) | instskip(SKIP_2) | instid1(VALU_DEP_2)
	v_cmp_lt_u32_e32 vcc_lo, 0xffffff, v9
	v_sub_nc_u32_e32 v8, v26, v27
	v_cndmask_b32_e64 v26, 0, 1, vcc_lo
	v_add_co_ci_u32_e32 v8, vcc_lo, 0, v8, vcc_lo
	s_delay_alu instid0(VALU_DEP_2)
	v_lshrrev_b32_e32 v9, v26, v9
; %bb.1049:                             ;   in Loop: Header=BB6_144 Depth=3
	s_and_not1_saveexec_b32 s13, s13
; %bb.1050:                             ;   in Loop: Header=BB6_144 Depth=3
	s_delay_alu instid0(VALU_DEP_1)
	v_bfe_u32 v8, v9, 23, 1
; %bb.1051:                             ;   in Loop: Header=BB6_144 Depth=3
	s_or_b32 exec_lo, exec_lo, s13
	v_lshrrev_b32_e32 v9, 21, v9
	s_delay_alu instid0(VALU_DEP_2) | instskip(SKIP_3) | instid1(VALU_DEP_3)
	v_cmp_gt_i32_e32 vcc_lo, 32, v8
	v_lshrrev_b32_e32 v2, 24, v2
	v_min_i32_e32 v26, 31, v8
	v_mov_b32_e32 v51, v128
	v_dual_cndmask_b32 v9, 3, v9 :: v_dual_and_b32 v2, 0x80, v2
	s_delay_alu instid0(VALU_DEP_3) | instskip(NEXT) | instid1(VALU_DEP_2)
	v_lshlrev_b32_e32 v26, 2, v26
	v_or_b32_e32 v8, v8, v9
	s_delay_alu instid0(VALU_DEP_1) | instskip(SKIP_1) | instid1(VALU_DEP_1)
	v_cmp_ne_u32_e32 vcc_lo, 0, v8
	v_and_b32_e32 v27, 3, v9
	v_or3_b32 v2, v26, v2, v27
	s_delay_alu instid0(VALU_DEP_1)
	v_cndmask_b32_e32 v2, 0, v2, vcc_lo
	scratch_store_b32 off, v2, s33 offset:404 ; 4-byte Folded Spill
.LBB6_1052:                             ;   in Loop: Header=BB6_144 Depth=3
	s_or_b32 exec_lo, exec_lo, s36
.LBB6_1053:                             ;   in Loop: Header=BB6_144 Depth=3
	s_delay_alu instid0(SALU_CYCLE_1) | instskip(SKIP_3) | instid1(VALU_DEP_1)
	s_or_b32 exec_lo, exec_lo, s35
	v_lshrrev_b32_e32 v2, 24, v10
	s_mov_b32 s13, 0
	s_mov_b32 s36, exec_lo
                                        ; implicit-def: $sgpr35
	v_cmpx_lt_i16_e32 0x7f, v2
	s_xor_b32 s36, exec_lo, s36
	s_cbranch_execnz .LBB6_1987
; %bb.1054:                             ;   in Loop: Header=BB6_144 Depth=3
	s_or_saveexec_b32 s36, s36
	v_mov_b32_e32 v8, s35
	s_xor_b32 exec_lo, exec_lo, s36
	s_cbranch_execnz .LBB6_1990
.LBB6_1055:                             ;   in Loop: Header=BB6_144 Depth=3
	s_or_b32 exec_lo, exec_lo, s36
	s_and_saveexec_b32 s35, s13
	s_cbranch_execz .LBB6_1057
.LBB6_1056:                             ;   in Loop: Header=BB6_144 Depth=3
	v_bfe_u32 v8, v10, 24, 2
	s_delay_alu instid0(VALU_DEP_1) | instskip(NEXT) | instid1(VALU_DEP_1)
	v_clz_i32_u32_e32 v9, v8
	v_min_u32_e32 v9, 32, v9
	s_delay_alu instid0(VALU_DEP_1) | instskip(SKIP_1) | instid1(VALU_DEP_2)
	v_subrev_nc_u32_e32 v26, 29, v9
	v_sub_nc_u32_e32 v9, 30, v9
	v_lshlrev_b32_e32 v2, v26, v2
	v_bfe_u32 v26, v10, 26, 5
	s_delay_alu instid0(VALU_DEP_1) | instskip(NEXT) | instid1(VALU_DEP_3)
	v_cmp_eq_u32_e32 vcc_lo, 0, v26
	v_dual_cndmask_b32 v9, v26, v9 :: v_dual_and_b32 v2, 3, v2
	s_delay_alu instid0(VALU_DEP_1) | instskip(SKIP_1) | instid1(VALU_DEP_3)
	v_cndmask_b32_e32 v2, v8, v2, vcc_lo
	v_and_b32_e32 v8, 0x80000000, v10
	v_lshl_add_u32 v9, v9, 23, 0x37800000
	s_delay_alu instid0(VALU_DEP_3) | instskip(NEXT) | instid1(VALU_DEP_1)
	v_lshlrev_b32_e32 v2, 21, v2
	v_or3_b32 v8, v8, v9, v2
.LBB6_1057:                             ;   in Loop: Header=BB6_144 Depth=3
	s_or_b32 exec_lo, exec_lo, s35
	s_delay_alu instid0(VALU_DEP_1) | instskip(NEXT) | instid1(VALU_DEP_1)
	v_mul_f32_e32 v2, s34, v8
	v_and_b32_e32 v8, 0x7f800000, v2
	s_delay_alu instid0(VALU_DEP_1)
	v_cmp_ne_u32_e32 vcc_lo, 0x7f800000, v8
	v_mov_b32_e32 v8, 0x80
	s_and_saveexec_b32 s35, vcc_lo
	s_cbranch_execz .LBB6_1065
; %bb.1058:                             ;   in Loop: Header=BB6_144 Depth=3
	v_mov_b32_e32 v8, 0
	s_mov_b32 s36, exec_lo
	v_cmpx_ne_u32_e32 0, v2
	s_cbranch_execz .LBB6_1064
; %bb.1059:                             ;   in Loop: Header=BB6_144 Depth=3
	v_bfe_u32 v8, v2, 23, 8
	v_and_b32_e32 v9, 0x7fffff, v2
	s_delay_alu instid0(VALU_DEP_2) | instskip(SKIP_1) | instid1(VALU_DEP_3)
	v_sub_nc_u32_e32 v10, 0x70, v8
	v_cmp_gt_u32_e32 vcc_lo, 0x71, v8
	v_or_b32_e32 v26, 0x800000, v9
	s_delay_alu instid0(VALU_DEP_3) | instskip(SKIP_1) | instid1(VALU_DEP_3)
	v_cndmask_b32_e32 v10, 0, v10, vcc_lo
	v_cmp_eq_u32_e32 vcc_lo, 0, v8
	v_dual_cndmask_b32 v9, v26, v9 :: v_dual_add_nc_u32 v8, 0xffffff91, v8
	s_delay_alu instid0(VALU_DEP_3) | instskip(NEXT) | instid1(VALU_DEP_2)
	v_cndmask_b32_e64 v10, v10, 0x6f, vcc_lo
	v_cndmask_b32_e64 v8, v8, 0xffffff92, vcc_lo
	s_delay_alu instid0(VALU_DEP_2) | instskip(SKIP_2) | instid1(VALU_DEP_4)
	v_lshrrev_b32_e32 v27, v10, v9
	v_lshl_add_u32 v26, 0x200000, v10, -1
	v_lshlrev_b32_e64 v37, v10, 0x100000
	v_add_nc_u32_e32 v10, v10, v8
	s_delay_alu instid0(VALU_DEP_4) | instskip(NEXT) | instid1(VALU_DEP_4)
	v_bfe_u32 v36, v27, 21, 1
	v_and_b32_e32 v9, v26, v9
	s_delay_alu instid0(VALU_DEP_2) | instskip(NEXT) | instid1(VALU_DEP_2)
	v_add_nc_u32_e32 v26, -1, v36
	v_cmp_eq_u32_e64 s13, v9, v37
	s_delay_alu instid0(VALU_DEP_1) | instskip(SKIP_2) | instid1(VALU_DEP_2)
	v_cndmask_b32_e64 v9, 0, v26, s13
	v_lshrrev_b32_e32 v26, 23, v27
	s_mov_b32 s13, exec_lo
	v_add_nc_u32_e32 v9, v9, v27
	s_delay_alu instid0(VALU_DEP_2) | instskip(NEXT) | instid1(VALU_DEP_2)
	v_xor_b32_e32 v26, 1, v26
	v_and_b32_e32 v8, 0x1fffff, v9
	s_delay_alu instid0(VALU_DEP_1) | instskip(NEXT) | instid1(VALU_DEP_3)
	v_add_nc_u32_e32 v9, v8, v27
                                        ; implicit-def: $vgpr8
	v_cmpx_ne_u32_e64 v10, v26
	s_xor_b32 s13, exec_lo, s13
; %bb.1060:                             ;   in Loop: Header=BB6_144 Depth=3
	s_delay_alu instid0(VALU_DEP_2) | instskip(SKIP_2) | instid1(VALU_DEP_2)
	v_cmp_lt_u32_e32 vcc_lo, 0xffffff, v9
	v_sub_nc_u32_e32 v8, v10, v26
	v_cndmask_b32_e64 v10, 0, 1, vcc_lo
	v_add_co_ci_u32_e32 v8, vcc_lo, 0, v8, vcc_lo
	s_delay_alu instid0(VALU_DEP_2)
	v_lshrrev_b32_e32 v9, v10, v9
; %bb.1061:                             ;   in Loop: Header=BB6_144 Depth=3
	s_and_not1_saveexec_b32 s13, s13
; %bb.1062:                             ;   in Loop: Header=BB6_144 Depth=3
	s_delay_alu instid0(VALU_DEP_1)
	v_bfe_u32 v8, v9, 23, 1
; %bb.1063:                             ;   in Loop: Header=BB6_144 Depth=3
	s_or_b32 exec_lo, exec_lo, s13
	v_lshrrev_b32_e32 v9, 21, v9
	s_delay_alu instid0(VALU_DEP_2) | instskip(SKIP_3) | instid1(VALU_DEP_3)
	v_cmp_gt_i32_e32 vcc_lo, 32, v8
	v_lshrrev_b32_e32 v2, 24, v2
	v_min_i32_e32 v10, 31, v8
	v_mov_b32_e32 v51, v128
	v_dual_cndmask_b32 v9, 3, v9 :: v_dual_and_b32 v2, 0x80, v2
	s_delay_alu instid0(VALU_DEP_3) | instskip(NEXT) | instid1(VALU_DEP_2)
	v_lshlrev_b32_e32 v10, 2, v10
	v_and_b32_e32 v26, 3, v9
	v_or_b32_e32 v8, v8, v9
	s_delay_alu instid0(VALU_DEP_2) | instskip(NEXT) | instid1(VALU_DEP_2)
	v_or3_b32 v2, v10, v2, v26
	v_cmp_ne_u32_e32 vcc_lo, 0, v8
	s_delay_alu instid0(VALU_DEP_2)
	v_cndmask_b32_e32 v8, 0, v2, vcc_lo
.LBB6_1064:                             ;   in Loop: Header=BB6_144 Depth=3
	s_or_b32 exec_lo, exec_lo, s36
.LBB6_1065:                             ;   in Loop: Header=BB6_144 Depth=3
	s_delay_alu instid0(SALU_CYCLE_1) | instskip(SKIP_4) | instid1(VALU_DEP_1)
	s_or_b32 exec_lo, exec_lo, s35
	scratch_store_b32 off, v8, s33 offset:484 ; 4-byte Folded Spill
	v_and_b32_e32 v8, 0xff, v11
	s_mov_b32 s13, 0
	s_mov_b32 s36, exec_lo
                                        ; implicit-def: $sgpr35
	v_cmpx_lt_i16_e32 0x7f, v8
	s_xor_b32 s36, exec_lo, s36
	s_cbranch_execnz .LBB6_1991
; %bb.1066:                             ;   in Loop: Header=BB6_144 Depth=3
	s_or_saveexec_b32 s36, s36
	v_mov_b32_e32 v2, s35
	s_xor_b32 exec_lo, exec_lo, s36
	s_cbranch_execnz .LBB6_1994
.LBB6_1067:                             ;   in Loop: Header=BB6_144 Depth=3
	s_or_b32 exec_lo, exec_lo, s36
	s_and_saveexec_b32 s35, s13
	s_cbranch_execz .LBB6_1069
.LBB6_1068:                             ;   in Loop: Header=BB6_144 Depth=3
	v_and_b32_e32 v2, 3, v11
	v_bfe_u32 v10, v11, 2, 5
	v_lshlrev_b32_e32 v26, 24, v11
	s_delay_alu instid0(VALU_DEP_3) | instskip(NEXT) | instid1(VALU_DEP_3)
	v_clz_i32_u32_e32 v8, v2
	v_cmp_eq_u32_e32 vcc_lo, 0, v10
	s_delay_alu instid0(VALU_DEP_2) | instskip(NEXT) | instid1(VALU_DEP_1)
	v_min_u32_e32 v8, 32, v8
	v_subrev_nc_u32_e32 v9, 29, v8
	v_sub_nc_u32_e32 v8, 30, v8
	s_delay_alu instid0(VALU_DEP_1) | instskip(NEXT) | instid1(VALU_DEP_1)
	v_dual_cndmask_b32 v8, v10, v8 :: v_dual_lshlrev_b32 v9, v9, v11
	v_and_b32_e32 v9, 3, v9
	s_delay_alu instid0(VALU_DEP_2) | instskip(NEXT) | instid1(VALU_DEP_2)
	v_lshl_add_u32 v8, v8, 23, 0x37800000
	v_dual_cndmask_b32 v2, v2, v9 :: v_dual_and_b32 v9, 0x80000000, v26
	s_delay_alu instid0(VALU_DEP_1) | instskip(NEXT) | instid1(VALU_DEP_1)
	v_lshlrev_b32_e32 v2, 21, v2
	v_or3_b32 v2, v9, v8, v2
.LBB6_1069:                             ;   in Loop: Header=BB6_144 Depth=3
	s_or_b32 exec_lo, exec_lo, s35
	s_delay_alu instid0(VALU_DEP_1) | instskip(NEXT) | instid1(VALU_DEP_1)
	v_mul_f32_e32 v2, s34, v2
	v_and_b32_e32 v8, 0x7f800000, v2
	s_delay_alu instid0(VALU_DEP_1)
	v_cmp_ne_u32_e32 vcc_lo, 0x7f800000, v8
	v_mov_b32_e32 v8, 0x80
	scratch_store_b32 off, v8, s33 offset:408 ; 4-byte Folded Spill
	s_and_saveexec_b32 s35, vcc_lo
	s_cbranch_execz .LBB6_1077
; %bb.1070:                             ;   in Loop: Header=BB6_144 Depth=3
	v_mov_b32_e32 v8, 0
	s_mov_b32 s36, exec_lo
	scratch_store_b32 off, v8, s33 offset:408 ; 4-byte Folded Spill
	v_cmpx_ne_u32_e32 0, v2
	s_cbranch_execz .LBB6_1076
; %bb.1071:                             ;   in Loop: Header=BB6_144 Depth=3
	v_bfe_u32 v8, v2, 23, 8
	v_and_b32_e32 v9, 0x7fffff, v2
	s_delay_alu instid0(VALU_DEP_2) | instskip(SKIP_1) | instid1(VALU_DEP_3)
	v_sub_nc_u32_e32 v10, 0x70, v8
	v_cmp_gt_u32_e32 vcc_lo, 0x71, v8
	v_or_b32_e32 v26, 0x800000, v9
	s_delay_alu instid0(VALU_DEP_3) | instskip(SKIP_1) | instid1(VALU_DEP_3)
	v_cndmask_b32_e32 v10, 0, v10, vcc_lo
	v_cmp_eq_u32_e32 vcc_lo, 0, v8
	v_dual_cndmask_b32 v9, v26, v9 :: v_dual_add_nc_u32 v8, 0xffffff91, v8
	s_delay_alu instid0(VALU_DEP_3) | instskip(NEXT) | instid1(VALU_DEP_2)
	v_cndmask_b32_e64 v10, v10, 0x6f, vcc_lo
	v_cndmask_b32_e64 v8, v8, 0xffffff92, vcc_lo
	s_delay_alu instid0(VALU_DEP_2) | instskip(SKIP_2) | instid1(VALU_DEP_4)
	v_lshrrev_b32_e32 v27, v10, v9
	v_lshl_add_u32 v26, 0x200000, v10, -1
	v_lshlrev_b32_e64 v37, v10, 0x100000
	v_add_nc_u32_e32 v10, v10, v8
	s_delay_alu instid0(VALU_DEP_4) | instskip(NEXT) | instid1(VALU_DEP_4)
	v_bfe_u32 v36, v27, 21, 1
	v_and_b32_e32 v9, v26, v9
	s_delay_alu instid0(VALU_DEP_2) | instskip(NEXT) | instid1(VALU_DEP_2)
	v_add_nc_u32_e32 v26, -1, v36
	v_cmp_eq_u32_e64 s13, v9, v37
	s_delay_alu instid0(VALU_DEP_1) | instskip(SKIP_2) | instid1(VALU_DEP_2)
	v_cndmask_b32_e64 v9, 0, v26, s13
	v_lshrrev_b32_e32 v26, 23, v27
	s_mov_b32 s13, exec_lo
	v_add_nc_u32_e32 v9, v9, v27
	s_delay_alu instid0(VALU_DEP_2) | instskip(NEXT) | instid1(VALU_DEP_2)
	v_xor_b32_e32 v26, 1, v26
	v_and_b32_e32 v8, 0x1fffff, v9
	s_delay_alu instid0(VALU_DEP_1) | instskip(NEXT) | instid1(VALU_DEP_3)
	v_add_nc_u32_e32 v9, v8, v27
                                        ; implicit-def: $vgpr8
	v_cmpx_ne_u32_e64 v10, v26
	s_xor_b32 s13, exec_lo, s13
; %bb.1072:                             ;   in Loop: Header=BB6_144 Depth=3
	s_delay_alu instid0(VALU_DEP_2) | instskip(SKIP_2) | instid1(VALU_DEP_2)
	v_cmp_lt_u32_e32 vcc_lo, 0xffffff, v9
	v_sub_nc_u32_e32 v8, v10, v26
	v_cndmask_b32_e64 v10, 0, 1, vcc_lo
	v_add_co_ci_u32_e32 v8, vcc_lo, 0, v8, vcc_lo
	s_delay_alu instid0(VALU_DEP_2)
	v_lshrrev_b32_e32 v9, v10, v9
; %bb.1073:                             ;   in Loop: Header=BB6_144 Depth=3
	s_and_not1_saveexec_b32 s13, s13
; %bb.1074:                             ;   in Loop: Header=BB6_144 Depth=3
	s_delay_alu instid0(VALU_DEP_1)
	v_bfe_u32 v8, v9, 23, 1
; %bb.1075:                             ;   in Loop: Header=BB6_144 Depth=3
	s_or_b32 exec_lo, exec_lo, s13
	v_lshrrev_b32_e32 v9, 21, v9
	s_delay_alu instid0(VALU_DEP_2) | instskip(SKIP_2) | instid1(VALU_DEP_3)
	v_min_i32_e32 v10, 31, v8
	v_cmp_gt_i32_e32 vcc_lo, 32, v8
	v_lshrrev_b32_e32 v2, 24, v2
	v_dual_mov_b32 v51, v128 :: v_dual_lshlrev_b32 v10, 2, v10
	s_delay_alu instid0(VALU_DEP_2) | instskip(NEXT) | instid1(VALU_DEP_2)
	v_dual_cndmask_b32 v9, 3, v9 :: v_dual_and_b32 v2, 0x80, v2
	v_and_b32_e32 v10, 0xfc, v10
	s_delay_alu instid0(VALU_DEP_2) | instskip(SKIP_1) | instid1(VALU_DEP_2)
	v_and_b32_e32 v26, 3, v9
	v_or_b32_e32 v8, v8, v9
	v_or3_b32 v2, v10, v2, v26
	s_delay_alu instid0(VALU_DEP_2) | instskip(NEXT) | instid1(VALU_DEP_2)
	v_cmp_ne_u32_e32 vcc_lo, 0, v8
	v_cndmask_b32_e32 v2, 0, v2, vcc_lo
	scratch_store_b32 off, v2, s33 offset:408 ; 4-byte Folded Spill
.LBB6_1076:                             ;   in Loop: Header=BB6_144 Depth=3
	s_or_b32 exec_lo, exec_lo, s36
.LBB6_1077:                             ;   in Loop: Header=BB6_144 Depth=3
	s_delay_alu instid0(SALU_CYCLE_1) | instskip(SKIP_3) | instid1(VALU_DEP_1)
	s_or_b32 exec_lo, exec_lo, s35
	v_lshrrev_b16 v2, 8, v11
	s_mov_b32 s13, 0
	s_mov_b32 s36, exec_lo
                                        ; implicit-def: $sgpr35
	v_cmpx_lt_i16_e32 0x7f, v2
	s_xor_b32 s36, exec_lo, s36
	s_cbranch_execnz .LBB6_1995
; %bb.1078:                             ;   in Loop: Header=BB6_144 Depth=3
	s_or_saveexec_b32 s36, s36
	v_mov_b32_e32 v8, s35
	s_xor_b32 exec_lo, exec_lo, s36
	s_cbranch_execnz .LBB6_1998
.LBB6_1079:                             ;   in Loop: Header=BB6_144 Depth=3
	s_or_b32 exec_lo, exec_lo, s36
	s_and_saveexec_b32 s35, s13
	s_cbranch_execz .LBB6_1081
.LBB6_1080:                             ;   in Loop: Header=BB6_144 Depth=3
	v_and_b32_e32 v8, 0xffff, v2
	v_lshlrev_b32_e32 v2, 24, v2
	s_delay_alu instid0(VALU_DEP_2) | instskip(NEXT) | instid1(VALU_DEP_2)
	v_and_b32_e32 v9, 3, v8
	v_and_b32_e32 v2, 0x80000000, v2
	s_delay_alu instid0(VALU_DEP_2) | instskip(NEXT) | instid1(VALU_DEP_1)
	v_clz_i32_u32_e32 v10, v9
	v_min_u32_e32 v10, 32, v10
	s_delay_alu instid0(VALU_DEP_1) | instskip(SKIP_1) | instid1(VALU_DEP_2)
	v_subrev_nc_u32_e32 v26, 29, v10
	v_sub_nc_u32_e32 v10, 30, v10
	v_lshlrev_b32_e32 v26, v26, v8
	v_bfe_u32 v8, v8, 2, 5
	s_delay_alu instid0(VALU_DEP_2) | instskip(NEXT) | instid1(VALU_DEP_2)
	v_and_b32_e32 v26, 3, v26
	v_cmp_eq_u32_e32 vcc_lo, 0, v8
	v_cndmask_b32_e32 v8, v8, v10, vcc_lo
	s_delay_alu instid0(VALU_DEP_3) | instskip(NEXT) | instid1(VALU_DEP_2)
	v_cndmask_b32_e32 v9, v9, v26, vcc_lo
	v_lshl_add_u32 v8, v8, 23, 0x37800000
	s_delay_alu instid0(VALU_DEP_2) | instskip(NEXT) | instid1(VALU_DEP_1)
	v_lshlrev_b32_e32 v9, 21, v9
	v_or3_b32 v8, v2, v8, v9
.LBB6_1081:                             ;   in Loop: Header=BB6_144 Depth=3
	s_or_b32 exec_lo, exec_lo, s35
	s_delay_alu instid0(VALU_DEP_1) | instskip(NEXT) | instid1(VALU_DEP_1)
	v_mul_f32_e32 v2, s34, v8
	v_and_b32_e32 v8, 0x7f800000, v2
	s_delay_alu instid0(VALU_DEP_1)
	v_cmp_ne_u32_e32 vcc_lo, 0x7f800000, v8
	v_mov_b32_e32 v8, 0x8000
	s_and_saveexec_b32 s35, vcc_lo
	s_cbranch_execz .LBB6_1089
; %bb.1082:                             ;   in Loop: Header=BB6_144 Depth=3
	v_mov_b32_e32 v8, 0
	s_mov_b32 s36, exec_lo
	v_cmpx_ne_u32_e32 0, v2
	s_cbranch_execz .LBB6_1088
; %bb.1083:                             ;   in Loop: Header=BB6_144 Depth=3
	v_bfe_u32 v8, v2, 23, 8
	v_and_b32_e32 v9, 0x7fffff, v2
	s_delay_alu instid0(VALU_DEP_2) | instskip(SKIP_1) | instid1(VALU_DEP_3)
	v_sub_nc_u32_e32 v10, 0x70, v8
	v_cmp_gt_u32_e32 vcc_lo, 0x71, v8
	v_or_b32_e32 v26, 0x800000, v9
	s_delay_alu instid0(VALU_DEP_3) | instskip(SKIP_1) | instid1(VALU_DEP_3)
	v_cndmask_b32_e32 v10, 0, v10, vcc_lo
	v_cmp_eq_u32_e32 vcc_lo, 0, v8
	v_dual_cndmask_b32 v9, v26, v9 :: v_dual_add_nc_u32 v8, 0xffffff91, v8
	s_delay_alu instid0(VALU_DEP_3) | instskip(NEXT) | instid1(VALU_DEP_2)
	v_cndmask_b32_e64 v10, v10, 0x6f, vcc_lo
	v_cndmask_b32_e64 v8, v8, 0xffffff92, vcc_lo
	s_delay_alu instid0(VALU_DEP_2) | instskip(SKIP_2) | instid1(VALU_DEP_4)
	v_lshrrev_b32_e32 v27, v10, v9
	v_lshl_add_u32 v26, 0x200000, v10, -1
	v_lshlrev_b32_e64 v37, v10, 0x100000
	v_add_nc_u32_e32 v10, v10, v8
	s_delay_alu instid0(VALU_DEP_4) | instskip(NEXT) | instid1(VALU_DEP_4)
	v_bfe_u32 v36, v27, 21, 1
	v_and_b32_e32 v9, v26, v9
	s_delay_alu instid0(VALU_DEP_2) | instskip(NEXT) | instid1(VALU_DEP_2)
	v_add_nc_u32_e32 v26, -1, v36
	v_cmp_eq_u32_e64 s13, v9, v37
	s_delay_alu instid0(VALU_DEP_1) | instskip(SKIP_2) | instid1(VALU_DEP_2)
	v_cndmask_b32_e64 v9, 0, v26, s13
	v_lshrrev_b32_e32 v26, 23, v27
	s_mov_b32 s13, exec_lo
	v_add_nc_u32_e32 v9, v9, v27
	s_delay_alu instid0(VALU_DEP_2) | instskip(NEXT) | instid1(VALU_DEP_2)
	v_xor_b32_e32 v26, 1, v26
	v_and_b32_e32 v8, 0x1fffff, v9
	s_delay_alu instid0(VALU_DEP_1) | instskip(NEXT) | instid1(VALU_DEP_3)
	v_add_nc_u32_e32 v9, v8, v27
                                        ; implicit-def: $vgpr8
	v_cmpx_ne_u32_e64 v10, v26
	s_xor_b32 s13, exec_lo, s13
; %bb.1084:                             ;   in Loop: Header=BB6_144 Depth=3
	s_delay_alu instid0(VALU_DEP_2) | instskip(SKIP_2) | instid1(VALU_DEP_2)
	v_cmp_lt_u32_e32 vcc_lo, 0xffffff, v9
	v_sub_nc_u32_e32 v8, v10, v26
	v_cndmask_b32_e64 v10, 0, 1, vcc_lo
	v_add_co_ci_u32_e32 v8, vcc_lo, 0, v8, vcc_lo
	s_delay_alu instid0(VALU_DEP_2)
	v_lshrrev_b32_e32 v9, v10, v9
; %bb.1085:                             ;   in Loop: Header=BB6_144 Depth=3
	s_and_not1_saveexec_b32 s13, s13
; %bb.1086:                             ;   in Loop: Header=BB6_144 Depth=3
	s_delay_alu instid0(VALU_DEP_1)
	v_bfe_u32 v8, v9, 23, 1
; %bb.1087:                             ;   in Loop: Header=BB6_144 Depth=3
	s_or_b32 exec_lo, exec_lo, s13
	v_lshrrev_b32_e32 v9, 21, v9
	s_delay_alu instid0(VALU_DEP_2) | instskip(SKIP_2) | instid1(VALU_DEP_3)
	v_min_i32_e32 v10, 31, v8
	v_cmp_gt_i32_e32 vcc_lo, 32, v8
	v_lshrrev_b32_e32 v2, 24, v2
	v_dual_mov_b32 v51, v128 :: v_dual_lshlrev_b32 v10, 2, v10
	s_delay_alu instid0(VALU_DEP_2) | instskip(NEXT) | instid1(VALU_DEP_2)
	v_dual_cndmask_b32 v9, 3, v9 :: v_dual_and_b32 v2, 0x80, v2
	v_and_b32_e32 v10, 0xfc, v10
	s_delay_alu instid0(VALU_DEP_2) | instskip(SKIP_1) | instid1(VALU_DEP_2)
	v_and_b32_e32 v26, 3, v9
	v_or_b32_e32 v8, v8, v9
	v_or3_b32 v2, v2, v10, v26
	s_delay_alu instid0(VALU_DEP_2) | instskip(NEXT) | instid1(VALU_DEP_2)
	v_cmp_ne_u32_e32 vcc_lo, 0, v8
	v_lshlrev_b32_e32 v2, 8, v2
	s_delay_alu instid0(VALU_DEP_1)
	v_cndmask_b32_e32 v8, 0, v2, vcc_lo
.LBB6_1088:                             ;   in Loop: Header=BB6_144 Depth=3
	s_or_b32 exec_lo, exec_lo, s36
.LBB6_1089:                             ;   in Loop: Header=BB6_144 Depth=3
	s_delay_alu instid0(SALU_CYCLE_1)
	s_or_b32 exec_lo, exec_lo, s35
	v_lshrrev_b32_e32 v2, 16, v11
	s_mov_b32 s13, 0
	s_mov_b32 s36, exec_lo
	scratch_store_b32 off, v8, s33 offset:488 ; 4-byte Folded Spill
                                        ; implicit-def: $sgpr35
	v_and_b32_e32 v9, 0xff, v2
	s_delay_alu instid0(VALU_DEP_1)
	v_cmpx_lt_i16_e32 0x7f, v9
	s_xor_b32 s36, exec_lo, s36
	s_cbranch_execnz .LBB6_1999
; %bb.1090:                             ;   in Loop: Header=BB6_144 Depth=3
	s_or_saveexec_b32 s36, s36
	v_mov_b32_e32 v8, s35
	s_xor_b32 exec_lo, exec_lo, s36
	s_cbranch_execnz .LBB6_2002
.LBB6_1091:                             ;   in Loop: Header=BB6_144 Depth=3
	s_or_b32 exec_lo, exec_lo, s36
	s_and_saveexec_b32 s35, s13
	s_cbranch_execz .LBB6_1093
.LBB6_1092:                             ;   in Loop: Header=BB6_144 Depth=3
	v_bfe_u32 v8, v11, 16, 2
	v_lshlrev_b32_e32 v26, 8, v11
	s_delay_alu instid0(VALU_DEP_2) | instskip(NEXT) | instid1(VALU_DEP_1)
	v_clz_i32_u32_e32 v9, v8
	v_min_u32_e32 v9, 32, v9
	s_delay_alu instid0(VALU_DEP_1) | instskip(SKIP_1) | instid1(VALU_DEP_2)
	v_subrev_nc_u32_e32 v10, 29, v9
	v_sub_nc_u32_e32 v9, 30, v9
	v_lshlrev_b32_e32 v2, v10, v2
	v_bfe_u32 v10, v11, 18, 5
	s_delay_alu instid0(VALU_DEP_1) | instskip(NEXT) | instid1(VALU_DEP_3)
	v_cmp_eq_u32_e32 vcc_lo, 0, v10
	v_dual_cndmask_b32 v9, v10, v9 :: v_dual_and_b32 v2, 3, v2
	s_delay_alu instid0(VALU_DEP_1) | instskip(SKIP_1) | instid1(VALU_DEP_3)
	v_cndmask_b32_e32 v2, v8, v2, vcc_lo
	v_and_b32_e32 v8, 0x80000000, v26
	v_lshl_add_u32 v9, v9, 23, 0x37800000
	s_delay_alu instid0(VALU_DEP_3) | instskip(NEXT) | instid1(VALU_DEP_1)
	v_lshlrev_b32_e32 v2, 21, v2
	v_or3_b32 v8, v8, v9, v2
.LBB6_1093:                             ;   in Loop: Header=BB6_144 Depth=3
	s_or_b32 exec_lo, exec_lo, s35
	s_delay_alu instid0(VALU_DEP_1) | instskip(SKIP_2) | instid1(VALU_DEP_2)
	v_mul_f32_e32 v2, s34, v8
	v_mov_b32_e32 v166, 0x80
	s_mov_b32 s35, exec_lo
	v_and_b32_e32 v8, 0x7f800000, v2
	s_delay_alu instid0(VALU_DEP_1)
	v_cmpx_ne_u32_e32 0x7f800000, v8
	s_cbranch_execz .LBB6_1101
; %bb.1094:                             ;   in Loop: Header=BB6_144 Depth=3
	v_mov_b32_e32 v166, 0
	s_mov_b32 s36, exec_lo
	v_cmpx_ne_u32_e32 0, v2
	s_cbranch_execz .LBB6_1100
; %bb.1095:                             ;   in Loop: Header=BB6_144 Depth=3
	v_bfe_u32 v8, v2, 23, 8
	v_and_b32_e32 v9, 0x7fffff, v2
	s_delay_alu instid0(VALU_DEP_2) | instskip(SKIP_1) | instid1(VALU_DEP_3)
	v_sub_nc_u32_e32 v10, 0x70, v8
	v_cmp_gt_u32_e32 vcc_lo, 0x71, v8
	v_or_b32_e32 v26, 0x800000, v9
	s_delay_alu instid0(VALU_DEP_3) | instskip(SKIP_1) | instid1(VALU_DEP_3)
	v_cndmask_b32_e32 v10, 0, v10, vcc_lo
	v_cmp_eq_u32_e32 vcc_lo, 0, v8
	v_dual_cndmask_b32 v9, v26, v9 :: v_dual_add_nc_u32 v8, 0xffffff91, v8
	s_delay_alu instid0(VALU_DEP_3) | instskip(NEXT) | instid1(VALU_DEP_2)
	v_cndmask_b32_e64 v10, v10, 0x6f, vcc_lo
	v_cndmask_b32_e64 v8, v8, 0xffffff92, vcc_lo
	s_delay_alu instid0(VALU_DEP_2) | instskip(SKIP_2) | instid1(VALU_DEP_4)
	v_lshrrev_b32_e32 v27, v10, v9
	v_lshl_add_u32 v26, 0x200000, v10, -1
	v_lshlrev_b32_e64 v37, v10, 0x100000
	v_add_nc_u32_e32 v10, v10, v8
	s_delay_alu instid0(VALU_DEP_4) | instskip(NEXT) | instid1(VALU_DEP_4)
	v_bfe_u32 v36, v27, 21, 1
	v_and_b32_e32 v9, v26, v9
	s_delay_alu instid0(VALU_DEP_2) | instskip(NEXT) | instid1(VALU_DEP_2)
	v_add_nc_u32_e32 v26, -1, v36
	v_cmp_eq_u32_e64 s13, v9, v37
	s_delay_alu instid0(VALU_DEP_1) | instskip(SKIP_2) | instid1(VALU_DEP_2)
	v_cndmask_b32_e64 v9, 0, v26, s13
	v_lshrrev_b32_e32 v26, 23, v27
	s_mov_b32 s13, exec_lo
	v_add_nc_u32_e32 v9, v9, v27
	s_delay_alu instid0(VALU_DEP_2) | instskip(NEXT) | instid1(VALU_DEP_2)
	v_xor_b32_e32 v26, 1, v26
	v_and_b32_e32 v8, 0x1fffff, v9
	s_delay_alu instid0(VALU_DEP_1) | instskip(NEXT) | instid1(VALU_DEP_3)
	v_add_nc_u32_e32 v9, v8, v27
                                        ; implicit-def: $vgpr8
	v_cmpx_ne_u32_e64 v10, v26
	s_xor_b32 s13, exec_lo, s13
; %bb.1096:                             ;   in Loop: Header=BB6_144 Depth=3
	s_delay_alu instid0(VALU_DEP_2) | instskip(SKIP_2) | instid1(VALU_DEP_2)
	v_cmp_lt_u32_e32 vcc_lo, 0xffffff, v9
	v_sub_nc_u32_e32 v8, v10, v26
	v_cndmask_b32_e64 v10, 0, 1, vcc_lo
	v_add_co_ci_u32_e32 v8, vcc_lo, 0, v8, vcc_lo
	s_delay_alu instid0(VALU_DEP_2)
	v_lshrrev_b32_e32 v9, v10, v9
; %bb.1097:                             ;   in Loop: Header=BB6_144 Depth=3
	s_and_not1_saveexec_b32 s13, s13
; %bb.1098:                             ;   in Loop: Header=BB6_144 Depth=3
	s_delay_alu instid0(VALU_DEP_1)
	v_bfe_u32 v8, v9, 23, 1
; %bb.1099:                             ;   in Loop: Header=BB6_144 Depth=3
	s_or_b32 exec_lo, exec_lo, s13
	v_lshrrev_b32_e32 v9, 21, v9
	s_delay_alu instid0(VALU_DEP_2) | instskip(SKIP_2) | instid1(VALU_DEP_3)
	v_min_i32_e32 v10, 31, v8
	v_cmp_gt_i32_e32 vcc_lo, 32, v8
	v_lshrrev_b32_e32 v2, 24, v2
	v_dual_mov_b32 v51, v128 :: v_dual_lshlrev_b32 v10, 2, v10
	s_delay_alu instid0(VALU_DEP_2) | instskip(NEXT) | instid1(VALU_DEP_2)
	v_dual_cndmask_b32 v9, 3, v9 :: v_dual_and_b32 v2, 0x80, v2
	v_and_b32_e32 v10, 0xfc, v10
	s_delay_alu instid0(VALU_DEP_2) | instskip(SKIP_1) | instid1(VALU_DEP_2)
	v_and_b32_e32 v26, 3, v9
	v_or_b32_e32 v8, v8, v9
	v_or3_b32 v2, v10, v2, v26
	s_delay_alu instid0(VALU_DEP_2) | instskip(NEXT) | instid1(VALU_DEP_2)
	v_cmp_ne_u32_e32 vcc_lo, 0, v8
	v_cndmask_b32_e32 v166, 0, v2, vcc_lo
.LBB6_1100:                             ;   in Loop: Header=BB6_144 Depth=3
	s_or_b32 exec_lo, exec_lo, s36
.LBB6_1101:                             ;   in Loop: Header=BB6_144 Depth=3
	s_delay_alu instid0(SALU_CYCLE_1) | instskip(SKIP_3) | instid1(VALU_DEP_1)
	s_or_b32 exec_lo, exec_lo, s35
	v_lshrrev_b32_e32 v2, 24, v11
	s_mov_b32 s13, 0
	s_mov_b32 s36, exec_lo
                                        ; implicit-def: $sgpr35
	v_cmpx_lt_i16_e32 0x7f, v2
	s_xor_b32 s36, exec_lo, s36
	s_cbranch_execnz .LBB6_2003
; %bb.1102:                             ;   in Loop: Header=BB6_144 Depth=3
	s_or_saveexec_b32 s36, s36
	v_mov_b32_e32 v8, s35
	s_xor_b32 exec_lo, exec_lo, s36
	s_cbranch_execnz .LBB6_2006
.LBB6_1103:                             ;   in Loop: Header=BB6_144 Depth=3
	s_or_b32 exec_lo, exec_lo, s36
	s_and_saveexec_b32 s35, s13
	s_cbranch_execz .LBB6_1105
.LBB6_1104:                             ;   in Loop: Header=BB6_144 Depth=3
	v_bfe_u32 v8, v11, 24, 2
	s_delay_alu instid0(VALU_DEP_1) | instskip(NEXT) | instid1(VALU_DEP_1)
	v_clz_i32_u32_e32 v9, v8
	v_min_u32_e32 v9, 32, v9
	s_delay_alu instid0(VALU_DEP_1) | instskip(SKIP_1) | instid1(VALU_DEP_2)
	v_subrev_nc_u32_e32 v10, 29, v9
	v_sub_nc_u32_e32 v9, 30, v9
	v_lshlrev_b32_e32 v2, v10, v2
	v_bfe_u32 v10, v11, 26, 5
	s_delay_alu instid0(VALU_DEP_1) | instskip(NEXT) | instid1(VALU_DEP_3)
	v_cmp_eq_u32_e32 vcc_lo, 0, v10
	v_dual_cndmask_b32 v9, v10, v9 :: v_dual_and_b32 v2, 3, v2
	s_delay_alu instid0(VALU_DEP_1) | instskip(SKIP_1) | instid1(VALU_DEP_3)
	v_cndmask_b32_e32 v2, v8, v2, vcc_lo
	v_and_b32_e32 v8, 0x80000000, v11
	v_lshl_add_u32 v9, v9, 23, 0x37800000
	s_delay_alu instid0(VALU_DEP_3) | instskip(NEXT) | instid1(VALU_DEP_1)
	v_lshlrev_b32_e32 v2, 21, v2
	v_or3_b32 v8, v8, v9, v2
.LBB6_1105:                             ;   in Loop: Header=BB6_144 Depth=3
	s_or_b32 exec_lo, exec_lo, s35
	s_delay_alu instid0(VALU_DEP_1) | instskip(SKIP_1) | instid1(VALU_DEP_1)
	v_dual_mul_f32 v2, s34, v8 :: v_dual_mov_b32 v99, 0x8000
	s_mov_b32 s35, exec_lo
	v_and_b32_e32 v8, 0x7f800000, v2
	s_delay_alu instid0(VALU_DEP_1)
	v_cmpx_ne_u32_e32 0x7f800000, v8
	s_cbranch_execz .LBB6_1113
; %bb.1106:                             ;   in Loop: Header=BB6_144 Depth=3
	v_mov_b32_e32 v99, 0
	s_mov_b32 s36, exec_lo
	v_cmpx_ne_u32_e32 0, v2
	s_cbranch_execz .LBB6_1112
; %bb.1107:                             ;   in Loop: Header=BB6_144 Depth=3
	v_bfe_u32 v8, v2, 23, 8
	v_and_b32_e32 v9, 0x7fffff, v2
	s_delay_alu instid0(VALU_DEP_2) | instskip(SKIP_1) | instid1(VALU_DEP_3)
	v_sub_nc_u32_e32 v10, 0x70, v8
	v_cmp_gt_u32_e32 vcc_lo, 0x71, v8
	v_or_b32_e32 v11, 0x800000, v9
	s_delay_alu instid0(VALU_DEP_3) | instskip(SKIP_1) | instid1(VALU_DEP_3)
	v_cndmask_b32_e32 v10, 0, v10, vcc_lo
	v_cmp_eq_u32_e32 vcc_lo, 0, v8
	v_dual_cndmask_b32 v9, v11, v9 :: v_dual_add_nc_u32 v8, 0xffffff91, v8
	s_delay_alu instid0(VALU_DEP_3) | instskip(NEXT) | instid1(VALU_DEP_2)
	v_cndmask_b32_e64 v10, v10, 0x6f, vcc_lo
	v_cndmask_b32_e64 v8, v8, 0xffffff92, vcc_lo
	s_delay_alu instid0(VALU_DEP_2) | instskip(SKIP_2) | instid1(VALU_DEP_4)
	v_lshrrev_b32_e32 v26, v10, v9
	v_lshl_add_u32 v11, 0x200000, v10, -1
	v_lshlrev_b32_e64 v36, v10, 0x100000
	v_add_nc_u32_e32 v10, v10, v8
	s_delay_alu instid0(VALU_DEP_4) | instskip(NEXT) | instid1(VALU_DEP_4)
	v_bfe_u32 v27, v26, 21, 1
	v_and_b32_e32 v9, v11, v9
	s_delay_alu instid0(VALU_DEP_2) | instskip(NEXT) | instid1(VALU_DEP_2)
	v_add_nc_u32_e32 v11, -1, v27
	v_cmp_eq_u32_e64 s13, v9, v36
	s_delay_alu instid0(VALU_DEP_1) | instskip(SKIP_2) | instid1(VALU_DEP_2)
	v_cndmask_b32_e64 v9, 0, v11, s13
	v_lshrrev_b32_e32 v11, 23, v26
	s_mov_b32 s13, exec_lo
	v_add_nc_u32_e32 v9, v9, v26
	s_delay_alu instid0(VALU_DEP_2) | instskip(NEXT) | instid1(VALU_DEP_2)
	v_xor_b32_e32 v11, 1, v11
	v_and_b32_e32 v8, 0x1fffff, v9
	s_delay_alu instid0(VALU_DEP_1) | instskip(NEXT) | instid1(VALU_DEP_3)
	v_add_nc_u32_e32 v9, v8, v26
                                        ; implicit-def: $vgpr8
	v_cmpx_ne_u32_e64 v10, v11
	s_xor_b32 s13, exec_lo, s13
; %bb.1108:                             ;   in Loop: Header=BB6_144 Depth=3
	s_delay_alu instid0(VALU_DEP_2) | instskip(SKIP_2) | instid1(VALU_DEP_2)
	v_cmp_lt_u32_e32 vcc_lo, 0xffffff, v9
	v_sub_nc_u32_e32 v8, v10, v11
	v_cndmask_b32_e64 v10, 0, 1, vcc_lo
	v_add_co_ci_u32_e32 v8, vcc_lo, 0, v8, vcc_lo
	s_delay_alu instid0(VALU_DEP_2)
	v_lshrrev_b32_e32 v9, v10, v9
; %bb.1109:                             ;   in Loop: Header=BB6_144 Depth=3
	s_and_not1_saveexec_b32 s13, s13
; %bb.1110:                             ;   in Loop: Header=BB6_144 Depth=3
	s_delay_alu instid0(VALU_DEP_1)
	v_bfe_u32 v8, v9, 23, 1
; %bb.1111:                             ;   in Loop: Header=BB6_144 Depth=3
	s_or_b32 exec_lo, exec_lo, s13
	v_lshrrev_b32_e32 v9, 21, v9
	s_delay_alu instid0(VALU_DEP_2) | instskip(SKIP_2) | instid1(VALU_DEP_3)
	v_min_i32_e32 v10, 31, v8
	v_cmp_gt_i32_e32 vcc_lo, 32, v8
	v_lshrrev_b32_e32 v2, 24, v2
	v_dual_mov_b32 v51, v128 :: v_dual_lshlrev_b32 v10, 2, v10
	s_delay_alu instid0(VALU_DEP_2) | instskip(NEXT) | instid1(VALU_DEP_2)
	v_dual_cndmask_b32 v9, 3, v9 :: v_dual_and_b32 v2, 0x80, v2
	v_and_b32_e32 v10, 0xfc, v10
	s_delay_alu instid0(VALU_DEP_2) | instskip(SKIP_1) | instid1(VALU_DEP_2)
	v_and_b32_e32 v11, 3, v9
	v_or_b32_e32 v8, v8, v9
	v_or3_b32 v2, v2, v10, v11
	s_delay_alu instid0(VALU_DEP_2) | instskip(NEXT) | instid1(VALU_DEP_2)
	v_cmp_ne_u32_e32 vcc_lo, 0, v8
	v_lshlrev_b32_e32 v2, 8, v2
	s_delay_alu instid0(VALU_DEP_1)
	v_cndmask_b32_e32 v99, 0, v2, vcc_lo
.LBB6_1112:                             ;   in Loop: Header=BB6_144 Depth=3
	s_or_b32 exec_lo, exec_lo, s36
.LBB6_1113:                             ;   in Loop: Header=BB6_144 Depth=3
	s_delay_alu instid0(SALU_CYCLE_1)
	s_or_b32 exec_lo, exec_lo, s35
	global_load_b128 v[8:11], v[20:21], off offset:2560 slc dlc
	s_mov_b32 s13, 0
	s_mov_b32 s36, exec_lo
                                        ; implicit-def: $sgpr35
	s_waitcnt vmcnt(0)
	v_and_b32_e32 v26, 0xff, v8
	s_delay_alu instid0(VALU_DEP_1)
	v_cmpx_lt_i16_e32 0x7f, v26
	s_xor_b32 s36, exec_lo, s36
	s_cbranch_execnz .LBB6_2007
; %bb.1114:                             ;   in Loop: Header=BB6_144 Depth=3
	s_or_saveexec_b32 s36, s36
	v_mov_b32_e32 v2, s35
	s_xor_b32 exec_lo, exec_lo, s36
	s_cbranch_execnz .LBB6_2010
.LBB6_1115:                             ;   in Loop: Header=BB6_144 Depth=3
	s_or_b32 exec_lo, exec_lo, s36
	s_and_saveexec_b32 s35, s13
	s_cbranch_execz .LBB6_1117
.LBB6_1116:                             ;   in Loop: Header=BB6_144 Depth=3
	v_and_b32_e32 v2, 3, v8
	v_bfe_u32 v36, v8, 2, 5
	s_delay_alu instid0(VALU_DEP_2) | instskip(NEXT) | instid1(VALU_DEP_2)
	v_clz_i32_u32_e32 v26, v2
	v_cmp_eq_u32_e32 vcc_lo, 0, v36
	s_delay_alu instid0(VALU_DEP_2) | instskip(NEXT) | instid1(VALU_DEP_1)
	v_min_u32_e32 v26, 32, v26
	v_subrev_nc_u32_e32 v27, 29, v26
	v_sub_nc_u32_e32 v26, 30, v26
	s_delay_alu instid0(VALU_DEP_1) | instskip(NEXT) | instid1(VALU_DEP_1)
	v_dual_cndmask_b32 v26, v36, v26 :: v_dual_lshlrev_b32 v27, v27, v8
	v_and_b32_e32 v27, 3, v27
	v_lshlrev_b32_e32 v37, 24, v8
	s_delay_alu instid0(VALU_DEP_3) | instskip(NEXT) | instid1(VALU_DEP_2)
	v_lshl_add_u32 v26, v26, 23, 0x37800000
	v_dual_cndmask_b32 v2, v2, v27 :: v_dual_and_b32 v27, 0x80000000, v37
	s_delay_alu instid0(VALU_DEP_1) | instskip(NEXT) | instid1(VALU_DEP_1)
	v_lshlrev_b32_e32 v2, 21, v2
	v_or3_b32 v2, v27, v26, v2
.LBB6_1117:                             ;   in Loop: Header=BB6_144 Depth=3
	s_or_b32 exec_lo, exec_lo, s35
	s_delay_alu instid0(VALU_DEP_1) | instskip(SKIP_2) | instid1(VALU_DEP_2)
	v_mul_f32_e32 v2, s34, v2
	v_mov_b32_e32 v176, 0x80
	s_mov_b32 s35, exec_lo
	v_and_b32_e32 v26, 0x7f800000, v2
	s_delay_alu instid0(VALU_DEP_1)
	v_cmpx_ne_u32_e32 0x7f800000, v26
	s_cbranch_execz .LBB6_1125
; %bb.1118:                             ;   in Loop: Header=BB6_144 Depth=3
	v_mov_b32_e32 v176, 0
	s_mov_b32 s36, exec_lo
	v_cmpx_ne_u32_e32 0, v2
	s_cbranch_execz .LBB6_1124
; %bb.1119:                             ;   in Loop: Header=BB6_144 Depth=3
	v_bfe_u32 v26, v2, 23, 8
	s_delay_alu instid0(VALU_DEP_1) | instskip(SKIP_1) | instid1(VALU_DEP_2)
	v_sub_nc_u32_e32 v36, 0x70, v26
	v_cmp_gt_u32_e32 vcc_lo, 0x71, v26
	v_dual_cndmask_b32 v36, 0, v36 :: v_dual_and_b32 v27, 0x7fffff, v2
	s_delay_alu instid0(VALU_DEP_1) | instskip(SKIP_2) | instid1(VALU_DEP_4)
	v_or_b32_e32 v37, 0x800000, v27
	v_cmp_eq_u32_e32 vcc_lo, 0, v26
	v_add_nc_u32_e32 v26, 0xffffff91, v26
	v_cndmask_b32_e64 v36, v36, 0x6f, vcc_lo
	s_delay_alu instid0(VALU_DEP_4) | instskip(NEXT) | instid1(VALU_DEP_3)
	v_cndmask_b32_e32 v27, v37, v27, vcc_lo
	v_cndmask_b32_e64 v26, v26, 0xffffff92, vcc_lo
	s_delay_alu instid0(VALU_DEP_3) | instskip(NEXT) | instid1(VALU_DEP_3)
	v_lshl_add_u32 v37, 0x200000, v36, -1
	v_lshrrev_b32_e32 v38, v36, v27
	v_lshlrev_b32_e64 v48, v36, 0x100000
	s_delay_alu instid0(VALU_DEP_4) | instskip(NEXT) | instid1(VALU_DEP_4)
	v_add_nc_u32_e32 v36, v36, v26
	v_and_b32_e32 v27, v37, v27
	s_delay_alu instid0(VALU_DEP_4) | instskip(NEXT) | instid1(VALU_DEP_2)
	v_bfe_u32 v39, v38, 21, 1
	v_cmp_eq_u32_e64 s13, v27, v48
	s_delay_alu instid0(VALU_DEP_2) | instskip(NEXT) | instid1(VALU_DEP_1)
	v_add_nc_u32_e32 v37, -1, v39
	v_cndmask_b32_e64 v27, 0, v37, s13
	v_lshrrev_b32_e32 v37, 23, v38
	s_mov_b32 s13, exec_lo
	s_delay_alu instid0(VALU_DEP_2) | instskip(NEXT) | instid1(VALU_DEP_2)
	v_add_nc_u32_e32 v27, v27, v38
	v_xor_b32_e32 v37, 1, v37
	s_delay_alu instid0(VALU_DEP_2) | instskip(NEXT) | instid1(VALU_DEP_1)
	v_and_b32_e32 v26, 0x1fffff, v27
	v_add_nc_u32_e32 v27, v26, v38
                                        ; implicit-def: $vgpr26
	s_delay_alu instid0(VALU_DEP_3)
	v_cmpx_ne_u32_e64 v36, v37
	s_xor_b32 s13, exec_lo, s13
; %bb.1120:                             ;   in Loop: Header=BB6_144 Depth=3
	s_delay_alu instid0(VALU_DEP_2) | instskip(SKIP_2) | instid1(VALU_DEP_2)
	v_cmp_lt_u32_e32 vcc_lo, 0xffffff, v27
	v_sub_nc_u32_e32 v26, v36, v37
	v_cndmask_b32_e64 v36, 0, 1, vcc_lo
	v_add_co_ci_u32_e32 v26, vcc_lo, 0, v26, vcc_lo
	s_delay_alu instid0(VALU_DEP_2)
	v_lshrrev_b32_e32 v27, v36, v27
; %bb.1121:                             ;   in Loop: Header=BB6_144 Depth=3
	s_and_not1_saveexec_b32 s13, s13
; %bb.1122:                             ;   in Loop: Header=BB6_144 Depth=3
	s_delay_alu instid0(VALU_DEP_1)
	v_bfe_u32 v26, v27, 23, 1
; %bb.1123:                             ;   in Loop: Header=BB6_144 Depth=3
	s_or_b32 exec_lo, exec_lo, s13
	v_lshrrev_b32_e32 v27, 21, v27
	s_delay_alu instid0(VALU_DEP_2) | instskip(SKIP_3) | instid1(VALU_DEP_3)
	v_cmp_gt_i32_e32 vcc_lo, 32, v26
	v_lshrrev_b32_e32 v2, 24, v2
	v_min_i32_e32 v36, 31, v26
	v_mov_b32_e32 v51, v128
	v_dual_cndmask_b32 v27, 3, v27 :: v_dual_and_b32 v2, 0x80, v2
	s_delay_alu instid0(VALU_DEP_3) | instskip(NEXT) | instid1(VALU_DEP_2)
	v_lshlrev_b32_e32 v36, 2, v36
	v_or_b32_e32 v26, v26, v27
	s_delay_alu instid0(VALU_DEP_1) | instskip(SKIP_1) | instid1(VALU_DEP_1)
	v_cmp_ne_u32_e32 vcc_lo, 0, v26
	v_and_b32_e32 v37, 3, v27
	v_or3_b32 v2, v36, v2, v37
	s_delay_alu instid0(VALU_DEP_1)
	v_cndmask_b32_e32 v176, 0, v2, vcc_lo
.LBB6_1124:                             ;   in Loop: Header=BB6_144 Depth=3
	s_or_b32 exec_lo, exec_lo, s36
.LBB6_1125:                             ;   in Loop: Header=BB6_144 Depth=3
	s_delay_alu instid0(SALU_CYCLE_1) | instskip(SKIP_3) | instid1(VALU_DEP_1)
	s_or_b32 exec_lo, exec_lo, s35
	v_lshrrev_b16 v2, 8, v8
	s_mov_b32 s13, 0
	s_mov_b32 s36, exec_lo
                                        ; implicit-def: $sgpr35
	v_cmpx_lt_i16_e32 0x7f, v2
	s_xor_b32 s36, exec_lo, s36
	s_cbranch_execnz .LBB6_2011
; %bb.1126:                             ;   in Loop: Header=BB6_144 Depth=3
	s_or_saveexec_b32 s36, s36
	v_mov_b32_e32 v26, s35
	s_xor_b32 exec_lo, exec_lo, s36
	s_cbranch_execnz .LBB6_2014
.LBB6_1127:                             ;   in Loop: Header=BB6_144 Depth=3
	s_or_b32 exec_lo, exec_lo, s36
	s_and_saveexec_b32 s35, s13
	s_cbranch_execz .LBB6_1129
.LBB6_1128:                             ;   in Loop: Header=BB6_144 Depth=3
	v_and_b32_e32 v26, 0xffff, v2
	v_lshlrev_b32_e32 v2, 24, v2
	s_delay_alu instid0(VALU_DEP_2) | instskip(NEXT) | instid1(VALU_DEP_2)
	v_and_b32_e32 v27, 3, v26
	v_and_b32_e32 v2, 0x80000000, v2
	s_delay_alu instid0(VALU_DEP_2) | instskip(NEXT) | instid1(VALU_DEP_1)
	v_clz_i32_u32_e32 v36, v27
	v_min_u32_e32 v36, 32, v36
	s_delay_alu instid0(VALU_DEP_1) | instskip(SKIP_1) | instid1(VALU_DEP_2)
	v_subrev_nc_u32_e32 v37, 29, v36
	v_sub_nc_u32_e32 v36, 30, v36
	v_lshlrev_b32_e32 v37, v37, v26
	v_bfe_u32 v26, v26, 2, 5
	s_delay_alu instid0(VALU_DEP_2) | instskip(NEXT) | instid1(VALU_DEP_2)
	v_and_b32_e32 v37, 3, v37
	v_cmp_eq_u32_e32 vcc_lo, 0, v26
	s_delay_alu instid0(VALU_DEP_2) | instskip(NEXT) | instid1(VALU_DEP_1)
	v_dual_cndmask_b32 v26, v26, v36 :: v_dual_cndmask_b32 v27, v27, v37
	v_lshl_add_u32 v26, v26, 23, 0x37800000
	s_delay_alu instid0(VALU_DEP_2) | instskip(NEXT) | instid1(VALU_DEP_1)
	v_lshlrev_b32_e32 v27, 21, v27
	v_or3_b32 v26, v2, v26, v27
.LBB6_1129:                             ;   in Loop: Header=BB6_144 Depth=3
	s_or_b32 exec_lo, exec_lo, s35
	s_delay_alu instid0(VALU_DEP_1) | instskip(SKIP_1) | instid1(VALU_DEP_1)
	v_dual_mul_f32 v2, s34, v26 :: v_dual_mov_b32 v177, 0x80
	s_mov_b32 s35, exec_lo
	v_and_b32_e32 v26, 0x7f800000, v2
	s_delay_alu instid0(VALU_DEP_1)
	v_cmpx_ne_u32_e32 0x7f800000, v26
	s_cbranch_execz .LBB6_1137
; %bb.1130:                             ;   in Loop: Header=BB6_144 Depth=3
	v_mov_b32_e32 v177, 0
	s_mov_b32 s36, exec_lo
	v_cmpx_ne_u32_e32 0, v2
	s_cbranch_execz .LBB6_1136
; %bb.1131:                             ;   in Loop: Header=BB6_144 Depth=3
	v_bfe_u32 v26, v2, 23, 8
	s_delay_alu instid0(VALU_DEP_1) | instskip(SKIP_1) | instid1(VALU_DEP_2)
	v_sub_nc_u32_e32 v36, 0x70, v26
	v_cmp_gt_u32_e32 vcc_lo, 0x71, v26
	v_dual_cndmask_b32 v36, 0, v36 :: v_dual_and_b32 v27, 0x7fffff, v2
	s_delay_alu instid0(VALU_DEP_1) | instskip(SKIP_2) | instid1(VALU_DEP_4)
	v_or_b32_e32 v37, 0x800000, v27
	v_cmp_eq_u32_e32 vcc_lo, 0, v26
	v_add_nc_u32_e32 v26, 0xffffff91, v26
	v_cndmask_b32_e64 v36, v36, 0x6f, vcc_lo
	s_delay_alu instid0(VALU_DEP_4) | instskip(NEXT) | instid1(VALU_DEP_3)
	v_cndmask_b32_e32 v27, v37, v27, vcc_lo
	v_cndmask_b32_e64 v26, v26, 0xffffff92, vcc_lo
	s_delay_alu instid0(VALU_DEP_3) | instskip(NEXT) | instid1(VALU_DEP_3)
	v_lshl_add_u32 v37, 0x200000, v36, -1
	v_lshrrev_b32_e32 v38, v36, v27
	v_lshlrev_b32_e64 v48, v36, 0x100000
	s_delay_alu instid0(VALU_DEP_4) | instskip(NEXT) | instid1(VALU_DEP_4)
	v_add_nc_u32_e32 v36, v36, v26
	v_and_b32_e32 v27, v37, v27
	s_delay_alu instid0(VALU_DEP_4) | instskip(NEXT) | instid1(VALU_DEP_2)
	v_bfe_u32 v39, v38, 21, 1
	v_cmp_eq_u32_e64 s13, v27, v48
	s_delay_alu instid0(VALU_DEP_2) | instskip(NEXT) | instid1(VALU_DEP_1)
	v_add_nc_u32_e32 v37, -1, v39
	v_cndmask_b32_e64 v27, 0, v37, s13
	v_lshrrev_b32_e32 v37, 23, v38
	s_mov_b32 s13, exec_lo
	s_delay_alu instid0(VALU_DEP_2) | instskip(NEXT) | instid1(VALU_DEP_2)
	v_add_nc_u32_e32 v27, v27, v38
	v_xor_b32_e32 v37, 1, v37
	s_delay_alu instid0(VALU_DEP_2) | instskip(NEXT) | instid1(VALU_DEP_1)
	v_and_b32_e32 v26, 0x1fffff, v27
	v_add_nc_u32_e32 v27, v26, v38
                                        ; implicit-def: $vgpr26
	s_delay_alu instid0(VALU_DEP_3)
	v_cmpx_ne_u32_e64 v36, v37
	s_xor_b32 s13, exec_lo, s13
; %bb.1132:                             ;   in Loop: Header=BB6_144 Depth=3
	s_delay_alu instid0(VALU_DEP_2) | instskip(SKIP_2) | instid1(VALU_DEP_2)
	v_cmp_lt_u32_e32 vcc_lo, 0xffffff, v27
	v_sub_nc_u32_e32 v26, v36, v37
	v_cndmask_b32_e64 v36, 0, 1, vcc_lo
	v_add_co_ci_u32_e32 v26, vcc_lo, 0, v26, vcc_lo
	s_delay_alu instid0(VALU_DEP_2)
	v_lshrrev_b32_e32 v27, v36, v27
; %bb.1133:                             ;   in Loop: Header=BB6_144 Depth=3
	s_and_not1_saveexec_b32 s13, s13
; %bb.1134:                             ;   in Loop: Header=BB6_144 Depth=3
	s_delay_alu instid0(VALU_DEP_1)
	v_bfe_u32 v26, v27, 23, 1
; %bb.1135:                             ;   in Loop: Header=BB6_144 Depth=3
	s_or_b32 exec_lo, exec_lo, s13
	v_lshrrev_b32_e32 v27, 21, v27
	s_delay_alu instid0(VALU_DEP_2) | instskip(SKIP_3) | instid1(VALU_DEP_3)
	v_cmp_gt_i32_e32 vcc_lo, 32, v26
	v_lshrrev_b32_e32 v2, 24, v2
	v_min_i32_e32 v36, 31, v26
	v_mov_b32_e32 v51, v128
	v_dual_cndmask_b32 v27, 3, v27 :: v_dual_and_b32 v2, 0x80, v2
	s_delay_alu instid0(VALU_DEP_1) | instskip(SKIP_1) | instid1(VALU_DEP_2)
	v_or_b32_e32 v26, v26, v27
	v_and_b32_e32 v37, 3, v27
	v_cmp_ne_u32_e32 vcc_lo, 0, v26
	v_lshlrev_b32_e32 v36, 2, v36
	s_delay_alu instid0(VALU_DEP_1) | instskip(NEXT) | instid1(VALU_DEP_1)
	v_or3_b32 v2, v36, v2, v37
	v_cndmask_b32_e32 v177, 0, v2, vcc_lo
.LBB6_1136:                             ;   in Loop: Header=BB6_144 Depth=3
	s_or_b32 exec_lo, exec_lo, s36
.LBB6_1137:                             ;   in Loop: Header=BB6_144 Depth=3
	s_delay_alu instid0(SALU_CYCLE_1) | instskip(SKIP_3) | instid1(VALU_DEP_1)
	s_or_b32 exec_lo, exec_lo, s35
	v_lshrrev_b32_e32 v2, 16, v8
	s_mov_b32 s13, 0
	s_mov_b32 s36, exec_lo
                                        ; implicit-def: $sgpr35
	v_and_b32_e32 v27, 0xff, v2
	s_delay_alu instid0(VALU_DEP_1)
	v_cmpx_lt_i16_e32 0x7f, v27
	s_xor_b32 s36, exec_lo, s36
	s_cbranch_execnz .LBB6_2015
; %bb.1138:                             ;   in Loop: Header=BB6_144 Depth=3
	s_or_saveexec_b32 s36, s36
	v_mov_b32_e32 v26, s35
	s_xor_b32 exec_lo, exec_lo, s36
	s_cbranch_execnz .LBB6_2018
.LBB6_1139:                             ;   in Loop: Header=BB6_144 Depth=3
	s_or_b32 exec_lo, exec_lo, s36
	s_and_saveexec_b32 s35, s13
	s_cbranch_execz .LBB6_1141
.LBB6_1140:                             ;   in Loop: Header=BB6_144 Depth=3
	v_bfe_u32 v26, v8, 16, 2
	s_delay_alu instid0(VALU_DEP_1) | instskip(NEXT) | instid1(VALU_DEP_1)
	v_clz_i32_u32_e32 v27, v26
	v_min_u32_e32 v27, 32, v27
	s_delay_alu instid0(VALU_DEP_1) | instskip(SKIP_1) | instid1(VALU_DEP_2)
	v_subrev_nc_u32_e32 v36, 29, v27
	v_sub_nc_u32_e32 v27, 30, v27
	v_lshlrev_b32_e32 v2, v36, v2
	v_bfe_u32 v36, v8, 18, 5
	s_delay_alu instid0(VALU_DEP_1) | instskip(NEXT) | instid1(VALU_DEP_3)
	v_cmp_eq_u32_e32 vcc_lo, 0, v36
	v_dual_cndmask_b32 v27, v36, v27 :: v_dual_and_b32 v2, 3, v2
	s_delay_alu instid0(VALU_DEP_1) | instskip(NEXT) | instid1(VALU_DEP_2)
	v_dual_cndmask_b32 v2, v26, v2 :: v_dual_lshlrev_b32 v37, 8, v8
	v_lshl_add_u32 v27, v27, 23, 0x37800000
	s_delay_alu instid0(VALU_DEP_2) | instskip(NEXT) | instid1(VALU_DEP_3)
	v_and_b32_e32 v26, 0x80000000, v37
	v_lshlrev_b32_e32 v2, 21, v2
	s_delay_alu instid0(VALU_DEP_1)
	v_or3_b32 v26, v26, v27, v2
.LBB6_1141:                             ;   in Loop: Header=BB6_144 Depth=3
	s_or_b32 exec_lo, exec_lo, s35
	s_delay_alu instid0(VALU_DEP_1) | instskip(SKIP_2) | instid1(VALU_DEP_2)
	v_mul_f32_e32 v2, s34, v26
	v_mov_b32_e32 v178, 0x80
	s_mov_b32 s35, exec_lo
	v_and_b32_e32 v26, 0x7f800000, v2
	s_delay_alu instid0(VALU_DEP_1)
	v_cmpx_ne_u32_e32 0x7f800000, v26
	s_cbranch_execz .LBB6_1149
; %bb.1142:                             ;   in Loop: Header=BB6_144 Depth=3
	v_mov_b32_e32 v178, 0
	s_mov_b32 s36, exec_lo
	v_cmpx_ne_u32_e32 0, v2
	s_cbranch_execz .LBB6_1148
; %bb.1143:                             ;   in Loop: Header=BB6_144 Depth=3
	v_bfe_u32 v26, v2, 23, 8
	s_delay_alu instid0(VALU_DEP_1) | instskip(SKIP_1) | instid1(VALU_DEP_2)
	v_sub_nc_u32_e32 v36, 0x70, v26
	v_cmp_gt_u32_e32 vcc_lo, 0x71, v26
	v_dual_cndmask_b32 v36, 0, v36 :: v_dual_and_b32 v27, 0x7fffff, v2
	s_delay_alu instid0(VALU_DEP_1) | instskip(SKIP_2) | instid1(VALU_DEP_4)
	v_or_b32_e32 v37, 0x800000, v27
	v_cmp_eq_u32_e32 vcc_lo, 0, v26
	v_add_nc_u32_e32 v26, 0xffffff91, v26
	v_cndmask_b32_e64 v36, v36, 0x6f, vcc_lo
	s_delay_alu instid0(VALU_DEP_4) | instskip(NEXT) | instid1(VALU_DEP_3)
	v_cndmask_b32_e32 v27, v37, v27, vcc_lo
	v_cndmask_b32_e64 v26, v26, 0xffffff92, vcc_lo
	s_delay_alu instid0(VALU_DEP_3) | instskip(NEXT) | instid1(VALU_DEP_3)
	v_lshl_add_u32 v37, 0x200000, v36, -1
	v_lshrrev_b32_e32 v38, v36, v27
	v_lshlrev_b32_e64 v48, v36, 0x100000
	s_delay_alu instid0(VALU_DEP_4) | instskip(NEXT) | instid1(VALU_DEP_4)
	v_add_nc_u32_e32 v36, v36, v26
	v_and_b32_e32 v27, v37, v27
	s_delay_alu instid0(VALU_DEP_4) | instskip(NEXT) | instid1(VALU_DEP_2)
	v_bfe_u32 v39, v38, 21, 1
	v_cmp_eq_u32_e64 s13, v27, v48
	s_delay_alu instid0(VALU_DEP_2) | instskip(NEXT) | instid1(VALU_DEP_1)
	v_add_nc_u32_e32 v37, -1, v39
	v_cndmask_b32_e64 v27, 0, v37, s13
	v_lshrrev_b32_e32 v37, 23, v38
	s_mov_b32 s13, exec_lo
	s_delay_alu instid0(VALU_DEP_2) | instskip(NEXT) | instid1(VALU_DEP_2)
	v_add_nc_u32_e32 v27, v27, v38
	v_xor_b32_e32 v37, 1, v37
	s_delay_alu instid0(VALU_DEP_2) | instskip(NEXT) | instid1(VALU_DEP_1)
	v_and_b32_e32 v26, 0x1fffff, v27
	v_add_nc_u32_e32 v27, v26, v38
                                        ; implicit-def: $vgpr26
	s_delay_alu instid0(VALU_DEP_3)
	v_cmpx_ne_u32_e64 v36, v37
	s_xor_b32 s13, exec_lo, s13
; %bb.1144:                             ;   in Loop: Header=BB6_144 Depth=3
	s_delay_alu instid0(VALU_DEP_2) | instskip(SKIP_2) | instid1(VALU_DEP_2)
	v_cmp_lt_u32_e32 vcc_lo, 0xffffff, v27
	v_sub_nc_u32_e32 v26, v36, v37
	v_cndmask_b32_e64 v36, 0, 1, vcc_lo
	v_add_co_ci_u32_e32 v26, vcc_lo, 0, v26, vcc_lo
	s_delay_alu instid0(VALU_DEP_2)
	v_lshrrev_b32_e32 v27, v36, v27
; %bb.1145:                             ;   in Loop: Header=BB6_144 Depth=3
	s_and_not1_saveexec_b32 s13, s13
; %bb.1146:                             ;   in Loop: Header=BB6_144 Depth=3
	s_delay_alu instid0(VALU_DEP_1)
	v_bfe_u32 v26, v27, 23, 1
; %bb.1147:                             ;   in Loop: Header=BB6_144 Depth=3
	s_or_b32 exec_lo, exec_lo, s13
	v_lshrrev_b32_e32 v27, 21, v27
	s_delay_alu instid0(VALU_DEP_2) | instskip(SKIP_3) | instid1(VALU_DEP_3)
	v_cmp_gt_i32_e32 vcc_lo, 32, v26
	v_lshrrev_b32_e32 v2, 24, v2
	v_min_i32_e32 v36, 31, v26
	v_mov_b32_e32 v51, v128
	v_dual_cndmask_b32 v27, 3, v27 :: v_dual_and_b32 v2, 0x80, v2
	s_delay_alu instid0(VALU_DEP_3) | instskip(NEXT) | instid1(VALU_DEP_2)
	v_lshlrev_b32_e32 v36, 2, v36
	v_or_b32_e32 v26, v26, v27
	s_delay_alu instid0(VALU_DEP_1) | instskip(SKIP_1) | instid1(VALU_DEP_1)
	v_cmp_ne_u32_e32 vcc_lo, 0, v26
	v_and_b32_e32 v37, 3, v27
	v_or3_b32 v2, v36, v2, v37
	s_delay_alu instid0(VALU_DEP_1)
	v_cndmask_b32_e32 v178, 0, v2, vcc_lo
.LBB6_1148:                             ;   in Loop: Header=BB6_144 Depth=3
	s_or_b32 exec_lo, exec_lo, s36
.LBB6_1149:                             ;   in Loop: Header=BB6_144 Depth=3
	s_delay_alu instid0(SALU_CYCLE_1) | instskip(SKIP_3) | instid1(VALU_DEP_1)
	s_or_b32 exec_lo, exec_lo, s35
	v_lshrrev_b32_e32 v2, 24, v8
	s_mov_b32 s13, 0
	s_mov_b32 s36, exec_lo
                                        ; implicit-def: $sgpr35
	v_cmpx_lt_i16_e32 0x7f, v2
	s_xor_b32 s36, exec_lo, s36
	s_cbranch_execnz .LBB6_2019
; %bb.1150:                             ;   in Loop: Header=BB6_144 Depth=3
	s_or_saveexec_b32 s36, s36
	v_mov_b32_e32 v26, s35
	s_xor_b32 exec_lo, exec_lo, s36
	s_cbranch_execnz .LBB6_2022
.LBB6_1151:                             ;   in Loop: Header=BB6_144 Depth=3
	s_or_b32 exec_lo, exec_lo, s36
	s_and_saveexec_b32 s35, s13
	s_cbranch_execz .LBB6_1153
.LBB6_1152:                             ;   in Loop: Header=BB6_144 Depth=3
	v_bfe_u32 v26, v8, 24, 2
	s_delay_alu instid0(VALU_DEP_1) | instskip(NEXT) | instid1(VALU_DEP_1)
	v_clz_i32_u32_e32 v27, v26
	v_min_u32_e32 v27, 32, v27
	s_delay_alu instid0(VALU_DEP_1) | instskip(SKIP_1) | instid1(VALU_DEP_2)
	v_subrev_nc_u32_e32 v36, 29, v27
	v_sub_nc_u32_e32 v27, 30, v27
	v_lshlrev_b32_e32 v2, v36, v2
	v_bfe_u32 v36, v8, 26, 5
	v_and_b32_e32 v8, 0x80000000, v8
	s_delay_alu instid0(VALU_DEP_2) | instskip(NEXT) | instid1(VALU_DEP_4)
	v_cmp_eq_u32_e32 vcc_lo, 0, v36
	v_dual_cndmask_b32 v27, v36, v27 :: v_dual_and_b32 v2, 3, v2
	s_delay_alu instid0(VALU_DEP_1) | instskip(NEXT) | instid1(VALU_DEP_2)
	v_cndmask_b32_e32 v2, v26, v2, vcc_lo
	v_lshl_add_u32 v26, v27, 23, 0x37800000
	s_delay_alu instid0(VALU_DEP_2) | instskip(NEXT) | instid1(VALU_DEP_1)
	v_lshlrev_b32_e32 v2, 21, v2
	v_or3_b32 v26, v8, v26, v2
.LBB6_1153:                             ;   in Loop: Header=BB6_144 Depth=3
	s_or_b32 exec_lo, exec_lo, s35
	s_delay_alu instid0(VALU_DEP_1) | instskip(SKIP_1) | instid1(VALU_DEP_1)
	v_dual_mul_f32 v2, s34, v26 :: v_dual_mov_b32 v179, 0x80
	s_mov_b32 s35, exec_lo
	v_and_b32_e32 v8, 0x7f800000, v2
	s_delay_alu instid0(VALU_DEP_1)
	v_cmpx_ne_u32_e32 0x7f800000, v8
	s_cbranch_execz .LBB6_1161
; %bb.1154:                             ;   in Loop: Header=BB6_144 Depth=3
	v_mov_b32_e32 v179, 0
	s_mov_b32 s36, exec_lo
	v_cmpx_ne_u32_e32 0, v2
	s_cbranch_execz .LBB6_1160
; %bb.1155:                             ;   in Loop: Header=BB6_144 Depth=3
	v_bfe_u32 v8, v2, 23, 8
	s_delay_alu instid0(VALU_DEP_1) | instskip(SKIP_1) | instid1(VALU_DEP_2)
	v_sub_nc_u32_e32 v27, 0x70, v8
	v_cmp_gt_u32_e32 vcc_lo, 0x71, v8
	v_dual_cndmask_b32 v27, 0, v27 :: v_dual_and_b32 v26, 0x7fffff, v2
	s_delay_alu instid0(VALU_DEP_1) | instskip(SKIP_2) | instid1(VALU_DEP_4)
	v_or_b32_e32 v36, 0x800000, v26
	v_cmp_eq_u32_e32 vcc_lo, 0, v8
	v_add_nc_u32_e32 v8, 0xffffff91, v8
	v_cndmask_b32_e64 v27, v27, 0x6f, vcc_lo
	s_delay_alu instid0(VALU_DEP_2) | instskip(SKIP_1) | instid1(VALU_DEP_3)
	v_cndmask_b32_e64 v8, v8, 0xffffff92, vcc_lo
	v_cndmask_b32_e32 v26, v36, v26, vcc_lo
	v_lshl_add_u32 v36, 0x200000, v27, -1
	v_lshlrev_b32_e64 v39, v27, 0x100000
	s_delay_alu instid0(VALU_DEP_3) | instskip(SKIP_1) | instid1(VALU_DEP_4)
	v_lshrrev_b32_e32 v37, v27, v26
	v_add_nc_u32_e32 v27, v27, v8
	v_and_b32_e32 v26, v36, v26
	s_delay_alu instid0(VALU_DEP_3) | instskip(NEXT) | instid1(VALU_DEP_2)
	v_bfe_u32 v38, v37, 21, 1
	v_cmp_eq_u32_e64 s13, v26, v39
	s_delay_alu instid0(VALU_DEP_2) | instskip(NEXT) | instid1(VALU_DEP_1)
	v_add_nc_u32_e32 v36, -1, v38
	v_cndmask_b32_e64 v26, 0, v36, s13
	v_lshrrev_b32_e32 v36, 23, v37
	s_mov_b32 s13, exec_lo
	s_delay_alu instid0(VALU_DEP_2) | instskip(NEXT) | instid1(VALU_DEP_2)
	v_add_nc_u32_e32 v26, v26, v37
	v_xor_b32_e32 v36, 1, v36
	s_delay_alu instid0(VALU_DEP_2) | instskip(NEXT) | instid1(VALU_DEP_1)
	v_and_b32_e32 v8, 0x1fffff, v26
	v_add_nc_u32_e32 v26, v8, v37
                                        ; implicit-def: $vgpr8
	s_delay_alu instid0(VALU_DEP_3)
	v_cmpx_ne_u32_e64 v27, v36
	s_xor_b32 s13, exec_lo, s13
; %bb.1156:                             ;   in Loop: Header=BB6_144 Depth=3
	s_delay_alu instid0(VALU_DEP_2) | instskip(SKIP_2) | instid1(VALU_DEP_2)
	v_cmp_lt_u32_e32 vcc_lo, 0xffffff, v26
	v_sub_nc_u32_e32 v8, v27, v36
	v_cndmask_b32_e64 v27, 0, 1, vcc_lo
	v_add_co_ci_u32_e32 v8, vcc_lo, 0, v8, vcc_lo
	s_delay_alu instid0(VALU_DEP_2)
	v_lshrrev_b32_e32 v26, v27, v26
; %bb.1157:                             ;   in Loop: Header=BB6_144 Depth=3
	s_and_not1_saveexec_b32 s13, s13
; %bb.1158:                             ;   in Loop: Header=BB6_144 Depth=3
	s_delay_alu instid0(VALU_DEP_1)
	v_bfe_u32 v8, v26, 23, 1
; %bb.1159:                             ;   in Loop: Header=BB6_144 Depth=3
	s_or_b32 exec_lo, exec_lo, s13
	v_lshrrev_b32_e32 v26, 21, v26
	s_delay_alu instid0(VALU_DEP_2) | instskip(SKIP_2) | instid1(VALU_DEP_4)
	v_cmp_gt_i32_e32 vcc_lo, 32, v8
	v_lshrrev_b32_e32 v2, 24, v2
	v_min_i32_e32 v27, 31, v8
	v_dual_mov_b32 v51, v128 :: v_dual_cndmask_b32 v26, 3, v26
	s_delay_alu instid0(VALU_DEP_3) | instskip(NEXT) | instid1(VALU_DEP_3)
	v_and_b32_e32 v2, 0x80, v2
	v_lshlrev_b32_e32 v27, 2, v27
	s_delay_alu instid0(VALU_DEP_3) | instskip(SKIP_1) | instid1(VALU_DEP_2)
	v_and_b32_e32 v36, 3, v26
	v_or_b32_e32 v8, v8, v26
	v_or3_b32 v2, v27, v2, v36
	s_delay_alu instid0(VALU_DEP_2) | instskip(NEXT) | instid1(VALU_DEP_2)
	v_cmp_ne_u32_e32 vcc_lo, 0, v8
	v_cndmask_b32_e32 v179, 0, v2, vcc_lo
.LBB6_1160:                             ;   in Loop: Header=BB6_144 Depth=3
	s_or_b32 exec_lo, exec_lo, s36
.LBB6_1161:                             ;   in Loop: Header=BB6_144 Depth=3
	s_delay_alu instid0(SALU_CYCLE_1) | instskip(SKIP_3) | instid1(VALU_DEP_1)
	s_or_b32 exec_lo, exec_lo, s35
	v_and_b32_e32 v8, 0xff, v9
	s_mov_b32 s13, 0
	s_mov_b32 s36, exec_lo
                                        ; implicit-def: $sgpr35
	v_cmpx_lt_i16_e32 0x7f, v8
	s_xor_b32 s36, exec_lo, s36
	s_cbranch_execnz .LBB6_2023
; %bb.1162:                             ;   in Loop: Header=BB6_144 Depth=3
	s_or_saveexec_b32 s36, s36
	v_mov_b32_e32 v2, s35
	s_xor_b32 exec_lo, exec_lo, s36
	s_cbranch_execnz .LBB6_2026
.LBB6_1163:                             ;   in Loop: Header=BB6_144 Depth=3
	s_or_b32 exec_lo, exec_lo, s36
	s_and_saveexec_b32 s35, s13
	s_cbranch_execz .LBB6_1165
.LBB6_1164:                             ;   in Loop: Header=BB6_144 Depth=3
	v_and_b32_e32 v2, 3, v9
	v_bfe_u32 v27, v9, 2, 5
	v_lshlrev_b32_e32 v36, 24, v9
	s_delay_alu instid0(VALU_DEP_3) | instskip(NEXT) | instid1(VALU_DEP_3)
	v_clz_i32_u32_e32 v8, v2
	v_cmp_eq_u32_e32 vcc_lo, 0, v27
	s_delay_alu instid0(VALU_DEP_2) | instskip(NEXT) | instid1(VALU_DEP_1)
	v_min_u32_e32 v8, 32, v8
	v_subrev_nc_u32_e32 v26, 29, v8
	v_sub_nc_u32_e32 v8, 30, v8
	s_delay_alu instid0(VALU_DEP_2) | instskip(NEXT) | instid1(VALU_DEP_2)
	v_lshlrev_b32_e32 v26, v26, v9
	v_cndmask_b32_e32 v8, v27, v8, vcc_lo
	s_delay_alu instid0(VALU_DEP_2) | instskip(NEXT) | instid1(VALU_DEP_2)
	v_and_b32_e32 v26, 3, v26
	v_lshl_add_u32 v8, v8, 23, 0x37800000
	s_delay_alu instid0(VALU_DEP_2) | instskip(SKIP_1) | instid1(VALU_DEP_2)
	v_cndmask_b32_e32 v2, v2, v26, vcc_lo
	v_and_b32_e32 v26, 0x80000000, v36
	v_lshlrev_b32_e32 v2, 21, v2
	s_delay_alu instid0(VALU_DEP_1)
	v_or3_b32 v2, v26, v8, v2
.LBB6_1165:                             ;   in Loop: Header=BB6_144 Depth=3
	s_or_b32 exec_lo, exec_lo, s35
	s_delay_alu instid0(VALU_DEP_1) | instskip(SKIP_2) | instid1(VALU_DEP_2)
	v_mul_f32_e32 v2, s34, v2
	v_mov_b32_e32 v180, 0x80
	s_mov_b32 s35, exec_lo
	v_and_b32_e32 v8, 0x7f800000, v2
	s_delay_alu instid0(VALU_DEP_1)
	v_cmpx_ne_u32_e32 0x7f800000, v8
	s_cbranch_execz .LBB6_1173
; %bb.1166:                             ;   in Loop: Header=BB6_144 Depth=3
	v_mov_b32_e32 v180, 0
	s_mov_b32 s36, exec_lo
	v_cmpx_ne_u32_e32 0, v2
	s_cbranch_execz .LBB6_1172
; %bb.1167:                             ;   in Loop: Header=BB6_144 Depth=3
	v_bfe_u32 v8, v2, 23, 8
	s_delay_alu instid0(VALU_DEP_1) | instskip(SKIP_1) | instid1(VALU_DEP_2)
	v_sub_nc_u32_e32 v27, 0x70, v8
	v_cmp_gt_u32_e32 vcc_lo, 0x71, v8
	v_dual_cndmask_b32 v27, 0, v27 :: v_dual_and_b32 v26, 0x7fffff, v2
	s_delay_alu instid0(VALU_DEP_1) | instskip(SKIP_2) | instid1(VALU_DEP_4)
	v_or_b32_e32 v36, 0x800000, v26
	v_cmp_eq_u32_e32 vcc_lo, 0, v8
	v_add_nc_u32_e32 v8, 0xffffff91, v8
	v_cndmask_b32_e64 v27, v27, 0x6f, vcc_lo
	s_delay_alu instid0(VALU_DEP_2) | instskip(SKIP_1) | instid1(VALU_DEP_3)
	v_cndmask_b32_e64 v8, v8, 0xffffff92, vcc_lo
	v_cndmask_b32_e32 v26, v36, v26, vcc_lo
	v_lshl_add_u32 v36, 0x200000, v27, -1
	v_lshlrev_b32_e64 v39, v27, 0x100000
	s_delay_alu instid0(VALU_DEP_3) | instskip(SKIP_1) | instid1(VALU_DEP_4)
	v_lshrrev_b32_e32 v37, v27, v26
	v_add_nc_u32_e32 v27, v27, v8
	v_and_b32_e32 v26, v36, v26
	s_delay_alu instid0(VALU_DEP_3) | instskip(NEXT) | instid1(VALU_DEP_2)
	v_bfe_u32 v38, v37, 21, 1
	v_cmp_eq_u32_e64 s13, v26, v39
	s_delay_alu instid0(VALU_DEP_2) | instskip(NEXT) | instid1(VALU_DEP_1)
	v_add_nc_u32_e32 v36, -1, v38
	v_cndmask_b32_e64 v26, 0, v36, s13
	v_lshrrev_b32_e32 v36, 23, v37
	s_mov_b32 s13, exec_lo
	s_delay_alu instid0(VALU_DEP_2) | instskip(NEXT) | instid1(VALU_DEP_2)
	v_add_nc_u32_e32 v26, v26, v37
	v_xor_b32_e32 v36, 1, v36
	s_delay_alu instid0(VALU_DEP_2) | instskip(NEXT) | instid1(VALU_DEP_1)
	v_and_b32_e32 v8, 0x1fffff, v26
	v_add_nc_u32_e32 v26, v8, v37
                                        ; implicit-def: $vgpr8
	s_delay_alu instid0(VALU_DEP_3)
	v_cmpx_ne_u32_e64 v27, v36
	s_xor_b32 s13, exec_lo, s13
; %bb.1168:                             ;   in Loop: Header=BB6_144 Depth=3
	s_delay_alu instid0(VALU_DEP_2) | instskip(SKIP_2) | instid1(VALU_DEP_2)
	v_cmp_lt_u32_e32 vcc_lo, 0xffffff, v26
	v_sub_nc_u32_e32 v8, v27, v36
	v_cndmask_b32_e64 v27, 0, 1, vcc_lo
	v_add_co_ci_u32_e32 v8, vcc_lo, 0, v8, vcc_lo
	s_delay_alu instid0(VALU_DEP_2)
	v_lshrrev_b32_e32 v26, v27, v26
; %bb.1169:                             ;   in Loop: Header=BB6_144 Depth=3
	s_and_not1_saveexec_b32 s13, s13
; %bb.1170:                             ;   in Loop: Header=BB6_144 Depth=3
	s_delay_alu instid0(VALU_DEP_1)
	v_bfe_u32 v8, v26, 23, 1
; %bb.1171:                             ;   in Loop: Header=BB6_144 Depth=3
	s_or_b32 exec_lo, exec_lo, s13
	v_lshrrev_b32_e32 v26, 21, v26
	s_delay_alu instid0(VALU_DEP_2) | instskip(SKIP_2) | instid1(VALU_DEP_4)
	v_cmp_gt_i32_e32 vcc_lo, 32, v8
	v_min_i32_e32 v27, 31, v8
	v_lshrrev_b32_e32 v2, 24, v2
	v_dual_mov_b32 v51, v128 :: v_dual_cndmask_b32 v26, 3, v26
	s_delay_alu instid0(VALU_DEP_3) | instskip(NEXT) | instid1(VALU_DEP_3)
	v_lshlrev_b32_e32 v27, 2, v27
	v_and_b32_e32 v2, 0x80, v2
	s_delay_alu instid0(VALU_DEP_3) | instskip(SKIP_1) | instid1(VALU_DEP_2)
	v_or_b32_e32 v8, v8, v26
	v_and_b32_e32 v36, 3, v26
	v_cmp_ne_u32_e32 vcc_lo, 0, v8
	v_and_b32_e32 v27, 0xfc, v27
	s_delay_alu instid0(VALU_DEP_1) | instskip(NEXT) | instid1(VALU_DEP_1)
	v_or3_b32 v2, v27, v2, v36
	v_cndmask_b32_e32 v180, 0, v2, vcc_lo
.LBB6_1172:                             ;   in Loop: Header=BB6_144 Depth=3
	s_or_b32 exec_lo, exec_lo, s36
.LBB6_1173:                             ;   in Loop: Header=BB6_144 Depth=3
	s_delay_alu instid0(SALU_CYCLE_1) | instskip(SKIP_3) | instid1(VALU_DEP_1)
	s_or_b32 exec_lo, exec_lo, s35
	v_lshrrev_b16 v2, 8, v9
	s_mov_b32 s13, 0
	s_mov_b32 s36, exec_lo
                                        ; implicit-def: $sgpr35
	v_cmpx_lt_i16_e32 0x7f, v2
	s_xor_b32 s36, exec_lo, s36
	s_cbranch_execnz .LBB6_2027
; %bb.1174:                             ;   in Loop: Header=BB6_144 Depth=3
	s_or_saveexec_b32 s36, s36
	v_mov_b32_e32 v8, s35
	s_xor_b32 exec_lo, exec_lo, s36
	s_cbranch_execnz .LBB6_2030
.LBB6_1175:                             ;   in Loop: Header=BB6_144 Depth=3
	s_or_b32 exec_lo, exec_lo, s36
	s_and_saveexec_b32 s35, s13
	s_cbranch_execz .LBB6_1177
.LBB6_1176:                             ;   in Loop: Header=BB6_144 Depth=3
	v_and_b32_e32 v8, 0xffff, v2
	v_lshlrev_b32_e32 v2, 24, v2
	s_delay_alu instid0(VALU_DEP_2) | instskip(NEXT) | instid1(VALU_DEP_2)
	v_and_b32_e32 v26, 3, v8
	v_and_b32_e32 v2, 0x80000000, v2
	s_delay_alu instid0(VALU_DEP_2) | instskip(NEXT) | instid1(VALU_DEP_1)
	v_clz_i32_u32_e32 v27, v26
	v_min_u32_e32 v27, 32, v27
	s_delay_alu instid0(VALU_DEP_1) | instskip(SKIP_1) | instid1(VALU_DEP_2)
	v_subrev_nc_u32_e32 v36, 29, v27
	v_sub_nc_u32_e32 v27, 30, v27
	v_lshlrev_b32_e32 v36, v36, v8
	v_bfe_u32 v8, v8, 2, 5
	s_delay_alu instid0(VALU_DEP_2) | instskip(NEXT) | instid1(VALU_DEP_2)
	v_and_b32_e32 v36, 3, v36
	v_cmp_eq_u32_e32 vcc_lo, 0, v8
	v_cndmask_b32_e32 v8, v8, v27, vcc_lo
	s_delay_alu instid0(VALU_DEP_3) | instskip(NEXT) | instid1(VALU_DEP_2)
	v_cndmask_b32_e32 v26, v26, v36, vcc_lo
	v_lshl_add_u32 v8, v8, 23, 0x37800000
	s_delay_alu instid0(VALU_DEP_2) | instskip(NEXT) | instid1(VALU_DEP_1)
	v_lshlrev_b32_e32 v26, 21, v26
	v_or3_b32 v8, v2, v8, v26
.LBB6_1177:                             ;   in Loop: Header=BB6_144 Depth=3
	s_or_b32 exec_lo, exec_lo, s35
	s_delay_alu instid0(VALU_DEP_1) | instskip(SKIP_1) | instid1(VALU_DEP_1)
	v_dual_mul_f32 v2, s34, v8 :: v_dual_mov_b32 v181, 0x8000
	s_mov_b32 s35, exec_lo
	v_and_b32_e32 v8, 0x7f800000, v2
	s_delay_alu instid0(VALU_DEP_1)
	v_cmpx_ne_u32_e32 0x7f800000, v8
	s_cbranch_execz .LBB6_1185
; %bb.1178:                             ;   in Loop: Header=BB6_144 Depth=3
	v_mov_b32_e32 v181, 0
	s_mov_b32 s36, exec_lo
	v_cmpx_ne_u32_e32 0, v2
	s_cbranch_execz .LBB6_1184
; %bb.1179:                             ;   in Loop: Header=BB6_144 Depth=3
	v_bfe_u32 v8, v2, 23, 8
	s_delay_alu instid0(VALU_DEP_1) | instskip(SKIP_1) | instid1(VALU_DEP_2)
	v_sub_nc_u32_e32 v27, 0x70, v8
	v_cmp_gt_u32_e32 vcc_lo, 0x71, v8
	v_dual_cndmask_b32 v27, 0, v27 :: v_dual_and_b32 v26, 0x7fffff, v2
	s_delay_alu instid0(VALU_DEP_1) | instskip(SKIP_2) | instid1(VALU_DEP_4)
	v_or_b32_e32 v36, 0x800000, v26
	v_cmp_eq_u32_e32 vcc_lo, 0, v8
	v_add_nc_u32_e32 v8, 0xffffff91, v8
	v_cndmask_b32_e64 v27, v27, 0x6f, vcc_lo
	s_delay_alu instid0(VALU_DEP_2) | instskip(SKIP_1) | instid1(VALU_DEP_3)
	v_cndmask_b32_e64 v8, v8, 0xffffff92, vcc_lo
	v_cndmask_b32_e32 v26, v36, v26, vcc_lo
	v_lshl_add_u32 v36, 0x200000, v27, -1
	v_lshlrev_b32_e64 v39, v27, 0x100000
	s_delay_alu instid0(VALU_DEP_3) | instskip(SKIP_1) | instid1(VALU_DEP_4)
	v_lshrrev_b32_e32 v37, v27, v26
	v_add_nc_u32_e32 v27, v27, v8
	v_and_b32_e32 v26, v36, v26
	s_delay_alu instid0(VALU_DEP_3) | instskip(NEXT) | instid1(VALU_DEP_2)
	v_bfe_u32 v38, v37, 21, 1
	v_cmp_eq_u32_e64 s13, v26, v39
	s_delay_alu instid0(VALU_DEP_2) | instskip(NEXT) | instid1(VALU_DEP_1)
	v_add_nc_u32_e32 v36, -1, v38
	v_cndmask_b32_e64 v26, 0, v36, s13
	v_lshrrev_b32_e32 v36, 23, v37
	s_mov_b32 s13, exec_lo
	s_delay_alu instid0(VALU_DEP_2) | instskip(NEXT) | instid1(VALU_DEP_2)
	v_add_nc_u32_e32 v26, v26, v37
	v_xor_b32_e32 v36, 1, v36
	s_delay_alu instid0(VALU_DEP_2) | instskip(NEXT) | instid1(VALU_DEP_1)
	v_and_b32_e32 v8, 0x1fffff, v26
	v_add_nc_u32_e32 v26, v8, v37
                                        ; implicit-def: $vgpr8
	s_delay_alu instid0(VALU_DEP_3)
	v_cmpx_ne_u32_e64 v27, v36
	s_xor_b32 s13, exec_lo, s13
; %bb.1180:                             ;   in Loop: Header=BB6_144 Depth=3
	s_delay_alu instid0(VALU_DEP_2) | instskip(SKIP_2) | instid1(VALU_DEP_2)
	v_cmp_lt_u32_e32 vcc_lo, 0xffffff, v26
	v_sub_nc_u32_e32 v8, v27, v36
	v_cndmask_b32_e64 v27, 0, 1, vcc_lo
	v_add_co_ci_u32_e32 v8, vcc_lo, 0, v8, vcc_lo
	s_delay_alu instid0(VALU_DEP_2)
	v_lshrrev_b32_e32 v26, v27, v26
; %bb.1181:                             ;   in Loop: Header=BB6_144 Depth=3
	s_and_not1_saveexec_b32 s13, s13
; %bb.1182:                             ;   in Loop: Header=BB6_144 Depth=3
	s_delay_alu instid0(VALU_DEP_1)
	v_bfe_u32 v8, v26, 23, 1
; %bb.1183:                             ;   in Loop: Header=BB6_144 Depth=3
	s_or_b32 exec_lo, exec_lo, s13
	v_lshrrev_b32_e32 v26, 21, v26
	s_delay_alu instid0(VALU_DEP_2) | instskip(SKIP_3) | instid1(VALU_DEP_4)
	v_min_i32_e32 v27, 31, v8
	v_cmp_gt_i32_e32 vcc_lo, 32, v8
	v_lshrrev_b32_e32 v2, 24, v2
	v_mov_b32_e32 v51, v128
	v_dual_cndmask_b32 v26, 3, v26 :: v_dual_lshlrev_b32 v27, 2, v27
	s_delay_alu instid0(VALU_DEP_3) | instskip(NEXT) | instid1(VALU_DEP_2)
	v_and_b32_e32 v2, 0x80, v2
	v_and_b32_e32 v27, 0xfc, v27
	s_delay_alu instid0(VALU_DEP_3) | instskip(SKIP_1) | instid1(VALU_DEP_2)
	v_and_b32_e32 v36, 3, v26
	v_or_b32_e32 v8, v8, v26
	v_or3_b32 v2, v2, v27, v36
	s_delay_alu instid0(VALU_DEP_2) | instskip(NEXT) | instid1(VALU_DEP_2)
	v_cmp_ne_u32_e32 vcc_lo, 0, v8
	v_lshlrev_b32_e32 v2, 8, v2
	s_delay_alu instid0(VALU_DEP_1)
	v_cndmask_b32_e32 v181, 0, v2, vcc_lo
.LBB6_1184:                             ;   in Loop: Header=BB6_144 Depth=3
	s_or_b32 exec_lo, exec_lo, s36
.LBB6_1185:                             ;   in Loop: Header=BB6_144 Depth=3
	s_delay_alu instid0(SALU_CYCLE_1) | instskip(SKIP_3) | instid1(VALU_DEP_1)
	s_or_b32 exec_lo, exec_lo, s35
	v_lshrrev_b32_e32 v2, 16, v9
	s_mov_b32 s13, 0
	s_mov_b32 s36, exec_lo
                                        ; implicit-def: $sgpr35
	v_and_b32_e32 v26, 0xff, v2
	s_delay_alu instid0(VALU_DEP_1)
	v_cmpx_lt_i16_e32 0x7f, v26
	s_xor_b32 s36, exec_lo, s36
	s_cbranch_execnz .LBB6_2031
; %bb.1186:                             ;   in Loop: Header=BB6_144 Depth=3
	s_or_saveexec_b32 s36, s36
	v_mov_b32_e32 v8, s35
	s_xor_b32 exec_lo, exec_lo, s36
	s_cbranch_execnz .LBB6_2034
.LBB6_1187:                             ;   in Loop: Header=BB6_144 Depth=3
	s_or_b32 exec_lo, exec_lo, s36
	s_and_saveexec_b32 s35, s13
	s_cbranch_execz .LBB6_1189
.LBB6_1188:                             ;   in Loop: Header=BB6_144 Depth=3
	v_bfe_u32 v8, v9, 16, 2
	v_lshlrev_b32_e32 v36, 8, v9
	s_delay_alu instid0(VALU_DEP_2) | instskip(NEXT) | instid1(VALU_DEP_1)
	v_clz_i32_u32_e32 v26, v8
	v_min_u32_e32 v26, 32, v26
	s_delay_alu instid0(VALU_DEP_1) | instskip(SKIP_1) | instid1(VALU_DEP_2)
	v_subrev_nc_u32_e32 v27, 29, v26
	v_sub_nc_u32_e32 v26, 30, v26
	v_lshlrev_b32_e32 v2, v27, v2
	v_bfe_u32 v27, v9, 18, 5
	s_delay_alu instid0(VALU_DEP_2) | instskip(NEXT) | instid1(VALU_DEP_2)
	v_and_b32_e32 v2, 3, v2
	v_cmp_eq_u32_e32 vcc_lo, 0, v27
	v_cndmask_b32_e32 v26, v27, v26, vcc_lo
	s_delay_alu instid0(VALU_DEP_3) | instskip(SKIP_1) | instid1(VALU_DEP_3)
	v_cndmask_b32_e32 v2, v8, v2, vcc_lo
	v_and_b32_e32 v8, 0x80000000, v36
	v_lshl_add_u32 v26, v26, 23, 0x37800000
	s_delay_alu instid0(VALU_DEP_3) | instskip(NEXT) | instid1(VALU_DEP_1)
	v_lshlrev_b32_e32 v2, 21, v2
	v_or3_b32 v8, v8, v26, v2
.LBB6_1189:                             ;   in Loop: Header=BB6_144 Depth=3
	s_or_b32 exec_lo, exec_lo, s35
	s_delay_alu instid0(VALU_DEP_1) | instskip(SKIP_1) | instid1(VALU_DEP_1)
	v_dual_mul_f32 v2, s34, v8 :: v_dual_mov_b32 v87, 0x80
	s_mov_b32 s35, exec_lo
	v_and_b32_e32 v8, 0x7f800000, v2
	s_delay_alu instid0(VALU_DEP_1)
	v_cmpx_ne_u32_e32 0x7f800000, v8
	s_cbranch_execz .LBB6_1197
; %bb.1190:                             ;   in Loop: Header=BB6_144 Depth=3
	v_mov_b32_e32 v87, 0
	s_mov_b32 s36, exec_lo
	v_cmpx_ne_u32_e32 0, v2
	s_cbranch_execz .LBB6_1196
; %bb.1191:                             ;   in Loop: Header=BB6_144 Depth=3
	v_bfe_u32 v8, v2, 23, 8
	s_delay_alu instid0(VALU_DEP_1) | instskip(SKIP_1) | instid1(VALU_DEP_2)
	v_sub_nc_u32_e32 v27, 0x70, v8
	v_cmp_gt_u32_e32 vcc_lo, 0x71, v8
	v_dual_cndmask_b32 v27, 0, v27 :: v_dual_and_b32 v26, 0x7fffff, v2
	s_delay_alu instid0(VALU_DEP_1) | instskip(SKIP_2) | instid1(VALU_DEP_4)
	v_or_b32_e32 v36, 0x800000, v26
	v_cmp_eq_u32_e32 vcc_lo, 0, v8
	v_add_nc_u32_e32 v8, 0xffffff91, v8
	v_cndmask_b32_e64 v27, v27, 0x6f, vcc_lo
	s_delay_alu instid0(VALU_DEP_2) | instskip(SKIP_1) | instid1(VALU_DEP_3)
	v_cndmask_b32_e64 v8, v8, 0xffffff92, vcc_lo
	v_cndmask_b32_e32 v26, v36, v26, vcc_lo
	v_lshl_add_u32 v36, 0x200000, v27, -1
	v_lshlrev_b32_e64 v39, v27, 0x100000
	s_delay_alu instid0(VALU_DEP_3) | instskip(SKIP_1) | instid1(VALU_DEP_4)
	v_lshrrev_b32_e32 v37, v27, v26
	v_add_nc_u32_e32 v27, v27, v8
	v_and_b32_e32 v26, v36, v26
	s_delay_alu instid0(VALU_DEP_3) | instskip(NEXT) | instid1(VALU_DEP_2)
	v_bfe_u32 v38, v37, 21, 1
	v_cmp_eq_u32_e64 s13, v26, v39
	s_delay_alu instid0(VALU_DEP_2) | instskip(NEXT) | instid1(VALU_DEP_1)
	v_add_nc_u32_e32 v36, -1, v38
	v_cndmask_b32_e64 v26, 0, v36, s13
	v_lshrrev_b32_e32 v36, 23, v37
	s_mov_b32 s13, exec_lo
	s_delay_alu instid0(VALU_DEP_2) | instskip(NEXT) | instid1(VALU_DEP_2)
	v_add_nc_u32_e32 v26, v26, v37
	v_xor_b32_e32 v36, 1, v36
	s_delay_alu instid0(VALU_DEP_2) | instskip(NEXT) | instid1(VALU_DEP_1)
	v_and_b32_e32 v8, 0x1fffff, v26
	v_add_nc_u32_e32 v26, v8, v37
                                        ; implicit-def: $vgpr8
	s_delay_alu instid0(VALU_DEP_3)
	v_cmpx_ne_u32_e64 v27, v36
	s_xor_b32 s13, exec_lo, s13
; %bb.1192:                             ;   in Loop: Header=BB6_144 Depth=3
	s_delay_alu instid0(VALU_DEP_2) | instskip(SKIP_2) | instid1(VALU_DEP_2)
	v_cmp_lt_u32_e32 vcc_lo, 0xffffff, v26
	v_sub_nc_u32_e32 v8, v27, v36
	v_cndmask_b32_e64 v27, 0, 1, vcc_lo
	v_add_co_ci_u32_e32 v8, vcc_lo, 0, v8, vcc_lo
	s_delay_alu instid0(VALU_DEP_2)
	v_lshrrev_b32_e32 v26, v27, v26
; %bb.1193:                             ;   in Loop: Header=BB6_144 Depth=3
	s_and_not1_saveexec_b32 s13, s13
; %bb.1194:                             ;   in Loop: Header=BB6_144 Depth=3
	s_delay_alu instid0(VALU_DEP_1)
	v_bfe_u32 v8, v26, 23, 1
; %bb.1195:                             ;   in Loop: Header=BB6_144 Depth=3
	s_or_b32 exec_lo, exec_lo, s13
	v_lshrrev_b32_e32 v26, 21, v26
	s_delay_alu instid0(VALU_DEP_2) | instskip(SKIP_3) | instid1(VALU_DEP_4)
	v_min_i32_e32 v27, 31, v8
	v_cmp_gt_i32_e32 vcc_lo, 32, v8
	v_lshrrev_b32_e32 v2, 24, v2
	v_mov_b32_e32 v51, v128
	v_dual_cndmask_b32 v26, 3, v26 :: v_dual_lshlrev_b32 v27, 2, v27
	s_delay_alu instid0(VALU_DEP_3) | instskip(NEXT) | instid1(VALU_DEP_2)
	v_and_b32_e32 v2, 0x80, v2
	v_and_b32_e32 v27, 0xfc, v27
	s_delay_alu instid0(VALU_DEP_3) | instskip(SKIP_1) | instid1(VALU_DEP_2)
	v_and_b32_e32 v36, 3, v26
	v_or_b32_e32 v8, v8, v26
	v_or3_b32 v2, v27, v2, v36
	s_delay_alu instid0(VALU_DEP_2) | instskip(NEXT) | instid1(VALU_DEP_2)
	v_cmp_ne_u32_e32 vcc_lo, 0, v8
	v_cndmask_b32_e32 v87, 0, v2, vcc_lo
.LBB6_1196:                             ;   in Loop: Header=BB6_144 Depth=3
	s_or_b32 exec_lo, exec_lo, s36
.LBB6_1197:                             ;   in Loop: Header=BB6_144 Depth=3
	s_delay_alu instid0(SALU_CYCLE_1) | instskip(SKIP_3) | instid1(VALU_DEP_1)
	s_or_b32 exec_lo, exec_lo, s35
	v_lshrrev_b32_e32 v2, 24, v9
	s_mov_b32 s13, 0
	s_mov_b32 s36, exec_lo
                                        ; implicit-def: $sgpr35
	v_cmpx_lt_i16_e32 0x7f, v2
	s_xor_b32 s36, exec_lo, s36
	s_cbranch_execnz .LBB6_2035
; %bb.1198:                             ;   in Loop: Header=BB6_144 Depth=3
	s_or_saveexec_b32 s36, s36
	v_mov_b32_e32 v8, s35
	s_xor_b32 exec_lo, exec_lo, s36
	s_cbranch_execnz .LBB6_2038
.LBB6_1199:                             ;   in Loop: Header=BB6_144 Depth=3
	s_or_b32 exec_lo, exec_lo, s36
	s_and_saveexec_b32 s35, s13
	s_cbranch_execz .LBB6_1201
.LBB6_1200:                             ;   in Loop: Header=BB6_144 Depth=3
	v_bfe_u32 v8, v9, 24, 2
	s_delay_alu instid0(VALU_DEP_1) | instskip(NEXT) | instid1(VALU_DEP_1)
	v_clz_i32_u32_e32 v26, v8
	v_min_u32_e32 v26, 32, v26
	s_delay_alu instid0(VALU_DEP_1) | instskip(SKIP_1) | instid1(VALU_DEP_2)
	v_subrev_nc_u32_e32 v27, 29, v26
	v_sub_nc_u32_e32 v26, 30, v26
	v_lshlrev_b32_e32 v2, v27, v2
	v_bfe_u32 v27, v9, 26, 5
	s_delay_alu instid0(VALU_DEP_2) | instskip(NEXT) | instid1(VALU_DEP_2)
	v_and_b32_e32 v2, 3, v2
	v_cmp_eq_u32_e32 vcc_lo, 0, v27
	v_cndmask_b32_e32 v26, v27, v26, vcc_lo
	s_delay_alu instid0(VALU_DEP_3) | instskip(SKIP_1) | instid1(VALU_DEP_3)
	v_cndmask_b32_e32 v2, v8, v2, vcc_lo
	v_and_b32_e32 v8, 0x80000000, v9
	v_lshl_add_u32 v9, v26, 23, 0x37800000
	s_delay_alu instid0(VALU_DEP_3) | instskip(NEXT) | instid1(VALU_DEP_1)
	v_lshlrev_b32_e32 v2, 21, v2
	v_or3_b32 v8, v8, v9, v2
.LBB6_1201:                             ;   in Loop: Header=BB6_144 Depth=3
	s_or_b32 exec_lo, exec_lo, s35
	s_delay_alu instid0(VALU_DEP_1) | instskip(SKIP_2) | instid1(VALU_DEP_2)
	v_mul_f32_e32 v2, s34, v8
	v_mov_b32_e32 v182, 0x8000
	s_mov_b32 s35, exec_lo
	v_and_b32_e32 v8, 0x7f800000, v2
	s_delay_alu instid0(VALU_DEP_1)
	v_cmpx_ne_u32_e32 0x7f800000, v8
	s_cbranch_execz .LBB6_1209
; %bb.1202:                             ;   in Loop: Header=BB6_144 Depth=3
	v_mov_b32_e32 v182, 0
	s_mov_b32 s36, exec_lo
	v_cmpx_ne_u32_e32 0, v2
	s_cbranch_execz .LBB6_1208
; %bb.1203:                             ;   in Loop: Header=BB6_144 Depth=3
	v_bfe_u32 v8, v2, 23, 8
	v_and_b32_e32 v9, 0x7fffff, v2
	s_delay_alu instid0(VALU_DEP_2) | instskip(SKIP_1) | instid1(VALU_DEP_3)
	v_sub_nc_u32_e32 v26, 0x70, v8
	v_cmp_gt_u32_e32 vcc_lo, 0x71, v8
	v_or_b32_e32 v27, 0x800000, v9
	s_delay_alu instid0(VALU_DEP_3) | instskip(SKIP_1) | instid1(VALU_DEP_3)
	v_cndmask_b32_e32 v26, 0, v26, vcc_lo
	v_cmp_eq_u32_e32 vcc_lo, 0, v8
	v_dual_cndmask_b32 v9, v27, v9 :: v_dual_add_nc_u32 v8, 0xffffff91, v8
	s_delay_alu instid0(VALU_DEP_3) | instskip(NEXT) | instid1(VALU_DEP_2)
	v_cndmask_b32_e64 v26, v26, 0x6f, vcc_lo
	v_cndmask_b32_e64 v8, v8, 0xffffff92, vcc_lo
	s_delay_alu instid0(VALU_DEP_2) | instskip(SKIP_2) | instid1(VALU_DEP_4)
	v_lshrrev_b32_e32 v36, v26, v9
	v_lshl_add_u32 v27, 0x200000, v26, -1
	v_lshlrev_b32_e64 v38, v26, 0x100000
	v_add_nc_u32_e32 v26, v26, v8
	s_delay_alu instid0(VALU_DEP_4) | instskip(NEXT) | instid1(VALU_DEP_4)
	v_bfe_u32 v37, v36, 21, 1
	v_and_b32_e32 v9, v27, v9
	s_delay_alu instid0(VALU_DEP_2) | instskip(NEXT) | instid1(VALU_DEP_2)
	v_add_nc_u32_e32 v27, -1, v37
	v_cmp_eq_u32_e64 s13, v9, v38
	s_delay_alu instid0(VALU_DEP_1) | instskip(SKIP_2) | instid1(VALU_DEP_2)
	v_cndmask_b32_e64 v9, 0, v27, s13
	v_lshrrev_b32_e32 v27, 23, v36
	s_mov_b32 s13, exec_lo
	v_add_nc_u32_e32 v9, v9, v36
	s_delay_alu instid0(VALU_DEP_2) | instskip(NEXT) | instid1(VALU_DEP_2)
	v_xor_b32_e32 v27, 1, v27
	v_and_b32_e32 v8, 0x1fffff, v9
	s_delay_alu instid0(VALU_DEP_1) | instskip(NEXT) | instid1(VALU_DEP_3)
	v_add_nc_u32_e32 v9, v8, v36
                                        ; implicit-def: $vgpr8
	v_cmpx_ne_u32_e64 v26, v27
	s_xor_b32 s13, exec_lo, s13
; %bb.1204:                             ;   in Loop: Header=BB6_144 Depth=3
	s_delay_alu instid0(VALU_DEP_2) | instskip(SKIP_2) | instid1(VALU_DEP_2)
	v_cmp_lt_u32_e32 vcc_lo, 0xffffff, v9
	v_sub_nc_u32_e32 v8, v26, v27
	v_cndmask_b32_e64 v26, 0, 1, vcc_lo
	v_add_co_ci_u32_e32 v8, vcc_lo, 0, v8, vcc_lo
	s_delay_alu instid0(VALU_DEP_2)
	v_lshrrev_b32_e32 v9, v26, v9
; %bb.1205:                             ;   in Loop: Header=BB6_144 Depth=3
	s_and_not1_saveexec_b32 s13, s13
; %bb.1206:                             ;   in Loop: Header=BB6_144 Depth=3
	s_delay_alu instid0(VALU_DEP_1)
	v_bfe_u32 v8, v9, 23, 1
; %bb.1207:                             ;   in Loop: Header=BB6_144 Depth=3
	s_or_b32 exec_lo, exec_lo, s13
	v_lshrrev_b32_e32 v9, 21, v9
	s_delay_alu instid0(VALU_DEP_2) | instskip(SKIP_3) | instid1(VALU_DEP_3)
	v_cmp_gt_i32_e32 vcc_lo, 32, v8
	v_min_i32_e32 v26, 31, v8
	v_lshrrev_b32_e32 v2, 24, v2
	v_mov_b32_e32 v51, v128
	v_dual_cndmask_b32 v9, 3, v9 :: v_dual_lshlrev_b32 v26, 2, v26
	s_delay_alu instid0(VALU_DEP_3) | instskip(NEXT) | instid1(VALU_DEP_2)
	v_and_b32_e32 v2, 0x80, v2
	v_or_b32_e32 v8, v8, v9
	s_delay_alu instid0(VALU_DEP_3) | instskip(NEXT) | instid1(VALU_DEP_2)
	v_and_b32_e32 v26, 0xfc, v26
	v_cmp_ne_u32_e32 vcc_lo, 0, v8
	v_and_b32_e32 v27, 3, v9
	s_delay_alu instid0(VALU_DEP_1) | instskip(NEXT) | instid1(VALU_DEP_1)
	v_or3_b32 v2, v2, v26, v27
	v_lshlrev_b32_e32 v2, 8, v2
	s_delay_alu instid0(VALU_DEP_1)
	v_cndmask_b32_e32 v182, 0, v2, vcc_lo
.LBB6_1208:                             ;   in Loop: Header=BB6_144 Depth=3
	s_or_b32 exec_lo, exec_lo, s36
.LBB6_1209:                             ;   in Loop: Header=BB6_144 Depth=3
	s_delay_alu instid0(SALU_CYCLE_1) | instskip(SKIP_3) | instid1(VALU_DEP_1)
	s_or_b32 exec_lo, exec_lo, s35
	v_and_b32_e32 v8, 0xff, v10
	s_mov_b32 s13, 0
	s_mov_b32 s36, exec_lo
                                        ; implicit-def: $sgpr35
	v_cmpx_lt_i16_e32 0x7f, v8
	s_xor_b32 s36, exec_lo, s36
	s_cbranch_execnz .LBB6_2039
; %bb.1210:                             ;   in Loop: Header=BB6_144 Depth=3
	s_or_saveexec_b32 s36, s36
	v_mov_b32_e32 v2, s35
	s_xor_b32 exec_lo, exec_lo, s36
	s_cbranch_execnz .LBB6_2042
.LBB6_1211:                             ;   in Loop: Header=BB6_144 Depth=3
	s_or_b32 exec_lo, exec_lo, s36
	s_and_saveexec_b32 s35, s13
	s_cbranch_execz .LBB6_1213
.LBB6_1212:                             ;   in Loop: Header=BB6_144 Depth=3
	v_and_b32_e32 v2, 3, v10
	v_bfe_u32 v26, v10, 2, 5
	s_delay_alu instid0(VALU_DEP_2) | instskip(NEXT) | instid1(VALU_DEP_2)
	v_clz_i32_u32_e32 v8, v2
	v_cmp_eq_u32_e32 vcc_lo, 0, v26
	s_delay_alu instid0(VALU_DEP_2) | instskip(NEXT) | instid1(VALU_DEP_1)
	v_min_u32_e32 v8, 32, v8
	v_subrev_nc_u32_e32 v9, 29, v8
	v_sub_nc_u32_e32 v8, 30, v8
	s_delay_alu instid0(VALU_DEP_1) | instskip(NEXT) | instid1(VALU_DEP_1)
	v_dual_cndmask_b32 v8, v26, v8 :: v_dual_lshlrev_b32 v9, v9, v10
	v_and_b32_e32 v9, 3, v9
	v_lshlrev_b32_e32 v27, 24, v10
	s_delay_alu instid0(VALU_DEP_3) | instskip(NEXT) | instid1(VALU_DEP_2)
	v_lshl_add_u32 v8, v8, 23, 0x37800000
	v_dual_cndmask_b32 v2, v2, v9 :: v_dual_and_b32 v9, 0x80000000, v27
	s_delay_alu instid0(VALU_DEP_1) | instskip(NEXT) | instid1(VALU_DEP_1)
	v_lshlrev_b32_e32 v2, 21, v2
	v_or3_b32 v2, v9, v8, v2
.LBB6_1213:                             ;   in Loop: Header=BB6_144 Depth=3
	s_or_b32 exec_lo, exec_lo, s35
	s_delay_alu instid0(VALU_DEP_1) | instskip(SKIP_1) | instid1(VALU_DEP_1)
	v_dual_mul_f32 v2, s34, v2 :: v_dual_mov_b32 v97, 0x80
	s_mov_b32 s35, exec_lo
	v_and_b32_e32 v8, 0x7f800000, v2
	s_delay_alu instid0(VALU_DEP_1)
	v_cmpx_ne_u32_e32 0x7f800000, v8
	s_cbranch_execz .LBB6_1221
; %bb.1214:                             ;   in Loop: Header=BB6_144 Depth=3
	v_mov_b32_e32 v97, 0
	s_mov_b32 s36, exec_lo
	v_cmpx_ne_u32_e32 0, v2
	s_cbranch_execz .LBB6_1220
; %bb.1215:                             ;   in Loop: Header=BB6_144 Depth=3
	v_bfe_u32 v8, v2, 23, 8
	v_and_b32_e32 v9, 0x7fffff, v2
	s_delay_alu instid0(VALU_DEP_2) | instskip(SKIP_1) | instid1(VALU_DEP_3)
	v_sub_nc_u32_e32 v26, 0x70, v8
	v_cmp_gt_u32_e32 vcc_lo, 0x71, v8
	v_or_b32_e32 v27, 0x800000, v9
	s_delay_alu instid0(VALU_DEP_3) | instskip(SKIP_1) | instid1(VALU_DEP_3)
	v_cndmask_b32_e32 v26, 0, v26, vcc_lo
	v_cmp_eq_u32_e32 vcc_lo, 0, v8
	v_dual_cndmask_b32 v9, v27, v9 :: v_dual_add_nc_u32 v8, 0xffffff91, v8
	s_delay_alu instid0(VALU_DEP_3) | instskip(NEXT) | instid1(VALU_DEP_2)
	v_cndmask_b32_e64 v26, v26, 0x6f, vcc_lo
	v_cndmask_b32_e64 v8, v8, 0xffffff92, vcc_lo
	s_delay_alu instid0(VALU_DEP_2) | instskip(SKIP_2) | instid1(VALU_DEP_4)
	v_lshrrev_b32_e32 v36, v26, v9
	v_lshl_add_u32 v27, 0x200000, v26, -1
	v_lshlrev_b32_e64 v38, v26, 0x100000
	v_add_nc_u32_e32 v26, v26, v8
	s_delay_alu instid0(VALU_DEP_4) | instskip(NEXT) | instid1(VALU_DEP_4)
	v_bfe_u32 v37, v36, 21, 1
	v_and_b32_e32 v9, v27, v9
	s_delay_alu instid0(VALU_DEP_2) | instskip(NEXT) | instid1(VALU_DEP_2)
	v_add_nc_u32_e32 v27, -1, v37
	v_cmp_eq_u32_e64 s13, v9, v38
	s_delay_alu instid0(VALU_DEP_1) | instskip(SKIP_2) | instid1(VALU_DEP_2)
	v_cndmask_b32_e64 v9, 0, v27, s13
	v_lshrrev_b32_e32 v27, 23, v36
	s_mov_b32 s13, exec_lo
	v_add_nc_u32_e32 v9, v9, v36
	s_delay_alu instid0(VALU_DEP_2) | instskip(NEXT) | instid1(VALU_DEP_2)
	v_xor_b32_e32 v27, 1, v27
	v_and_b32_e32 v8, 0x1fffff, v9
	s_delay_alu instid0(VALU_DEP_1) | instskip(NEXT) | instid1(VALU_DEP_3)
	v_add_nc_u32_e32 v9, v8, v36
                                        ; implicit-def: $vgpr8
	v_cmpx_ne_u32_e64 v26, v27
	s_xor_b32 s13, exec_lo, s13
; %bb.1216:                             ;   in Loop: Header=BB6_144 Depth=3
	s_delay_alu instid0(VALU_DEP_2) | instskip(SKIP_2) | instid1(VALU_DEP_2)
	v_cmp_lt_u32_e32 vcc_lo, 0xffffff, v9
	v_sub_nc_u32_e32 v8, v26, v27
	v_cndmask_b32_e64 v26, 0, 1, vcc_lo
	v_add_co_ci_u32_e32 v8, vcc_lo, 0, v8, vcc_lo
	s_delay_alu instid0(VALU_DEP_2)
	v_lshrrev_b32_e32 v9, v26, v9
; %bb.1217:                             ;   in Loop: Header=BB6_144 Depth=3
	s_and_not1_saveexec_b32 s13, s13
; %bb.1218:                             ;   in Loop: Header=BB6_144 Depth=3
	s_delay_alu instid0(VALU_DEP_1)
	v_bfe_u32 v8, v9, 23, 1
; %bb.1219:                             ;   in Loop: Header=BB6_144 Depth=3
	s_or_b32 exec_lo, exec_lo, s13
	v_lshrrev_b32_e32 v9, 21, v9
	s_delay_alu instid0(VALU_DEP_2) | instskip(SKIP_3) | instid1(VALU_DEP_3)
	v_cmp_gt_i32_e32 vcc_lo, 32, v8
	v_lshrrev_b32_e32 v2, 24, v2
	v_min_i32_e32 v26, 31, v8
	v_mov_b32_e32 v51, v128
	v_dual_cndmask_b32 v9, 3, v9 :: v_dual_and_b32 v2, 0x80, v2
	s_delay_alu instid0(VALU_DEP_3) | instskip(NEXT) | instid1(VALU_DEP_2)
	v_lshlrev_b32_e32 v26, 2, v26
	v_and_b32_e32 v27, 3, v9
	v_or_b32_e32 v8, v8, v9
	s_delay_alu instid0(VALU_DEP_2) | instskip(NEXT) | instid1(VALU_DEP_2)
	v_or3_b32 v2, v26, v2, v27
	v_cmp_ne_u32_e32 vcc_lo, 0, v8
	s_delay_alu instid0(VALU_DEP_2)
	v_cndmask_b32_e32 v97, 0, v2, vcc_lo
.LBB6_1220:                             ;   in Loop: Header=BB6_144 Depth=3
	s_or_b32 exec_lo, exec_lo, s36
.LBB6_1221:                             ;   in Loop: Header=BB6_144 Depth=3
	s_delay_alu instid0(SALU_CYCLE_1) | instskip(SKIP_3) | instid1(VALU_DEP_1)
	s_or_b32 exec_lo, exec_lo, s35
	v_lshrrev_b16 v2, 8, v10
	s_mov_b32 s13, 0
	s_mov_b32 s36, exec_lo
                                        ; implicit-def: $sgpr35
	v_cmpx_lt_i16_e32 0x7f, v2
	s_xor_b32 s36, exec_lo, s36
	s_cbranch_execnz .LBB6_2043
; %bb.1222:                             ;   in Loop: Header=BB6_144 Depth=3
	s_or_saveexec_b32 s36, s36
	v_mov_b32_e32 v8, s35
	s_xor_b32 exec_lo, exec_lo, s36
	s_cbranch_execnz .LBB6_2046
.LBB6_1223:                             ;   in Loop: Header=BB6_144 Depth=3
	s_or_b32 exec_lo, exec_lo, s36
	s_and_saveexec_b32 s35, s13
	s_cbranch_execz .LBB6_1225
.LBB6_1224:                             ;   in Loop: Header=BB6_144 Depth=3
	v_and_b32_e32 v8, 0xffff, v2
	v_lshlrev_b32_e32 v2, 24, v2
	s_delay_alu instid0(VALU_DEP_2) | instskip(NEXT) | instid1(VALU_DEP_2)
	v_and_b32_e32 v9, 3, v8
	v_and_b32_e32 v2, 0x80000000, v2
	s_delay_alu instid0(VALU_DEP_2) | instskip(NEXT) | instid1(VALU_DEP_1)
	v_clz_i32_u32_e32 v26, v9
	v_min_u32_e32 v26, 32, v26
	s_delay_alu instid0(VALU_DEP_1) | instskip(SKIP_1) | instid1(VALU_DEP_2)
	v_subrev_nc_u32_e32 v27, 29, v26
	v_sub_nc_u32_e32 v26, 30, v26
	v_lshlrev_b32_e32 v27, v27, v8
	v_bfe_u32 v8, v8, 2, 5
	s_delay_alu instid0(VALU_DEP_2) | instskip(NEXT) | instid1(VALU_DEP_2)
	v_and_b32_e32 v27, 3, v27
	v_cmp_eq_u32_e32 vcc_lo, 0, v8
	s_delay_alu instid0(VALU_DEP_2) | instskip(NEXT) | instid1(VALU_DEP_1)
	v_dual_cndmask_b32 v8, v8, v26 :: v_dual_cndmask_b32 v9, v9, v27
	v_lshl_add_u32 v8, v8, 23, 0x37800000
	s_delay_alu instid0(VALU_DEP_2) | instskip(NEXT) | instid1(VALU_DEP_1)
	v_lshlrev_b32_e32 v9, 21, v9
	v_or3_b32 v8, v2, v8, v9
.LBB6_1225:                             ;   in Loop: Header=BB6_144 Depth=3
	s_or_b32 exec_lo, exec_lo, s35
	s_delay_alu instid0(VALU_DEP_1) | instskip(SKIP_1) | instid1(VALU_DEP_1)
	v_dual_mul_f32 v2, s34, v8 :: v_dual_mov_b32 v183, 0x80
	s_mov_b32 s35, exec_lo
	v_and_b32_e32 v8, 0x7f800000, v2
	s_delay_alu instid0(VALU_DEP_1)
	v_cmpx_ne_u32_e32 0x7f800000, v8
	s_cbranch_execz .LBB6_1233
; %bb.1226:                             ;   in Loop: Header=BB6_144 Depth=3
	v_mov_b32_e32 v183, 0
	s_mov_b32 s36, exec_lo
	v_cmpx_ne_u32_e32 0, v2
	s_cbranch_execz .LBB6_1232
; %bb.1227:                             ;   in Loop: Header=BB6_144 Depth=3
	v_bfe_u32 v8, v2, 23, 8
	v_and_b32_e32 v9, 0x7fffff, v2
	s_delay_alu instid0(VALU_DEP_2) | instskip(SKIP_1) | instid1(VALU_DEP_3)
	v_sub_nc_u32_e32 v26, 0x70, v8
	v_cmp_gt_u32_e32 vcc_lo, 0x71, v8
	v_or_b32_e32 v27, 0x800000, v9
	s_delay_alu instid0(VALU_DEP_3) | instskip(SKIP_1) | instid1(VALU_DEP_3)
	v_cndmask_b32_e32 v26, 0, v26, vcc_lo
	v_cmp_eq_u32_e32 vcc_lo, 0, v8
	v_dual_cndmask_b32 v9, v27, v9 :: v_dual_add_nc_u32 v8, 0xffffff91, v8
	s_delay_alu instid0(VALU_DEP_3) | instskip(NEXT) | instid1(VALU_DEP_2)
	v_cndmask_b32_e64 v26, v26, 0x6f, vcc_lo
	v_cndmask_b32_e64 v8, v8, 0xffffff92, vcc_lo
	s_delay_alu instid0(VALU_DEP_2) | instskip(SKIP_2) | instid1(VALU_DEP_4)
	v_lshrrev_b32_e32 v36, v26, v9
	v_lshl_add_u32 v27, 0x200000, v26, -1
	v_lshlrev_b32_e64 v38, v26, 0x100000
	v_add_nc_u32_e32 v26, v26, v8
	s_delay_alu instid0(VALU_DEP_4) | instskip(NEXT) | instid1(VALU_DEP_4)
	v_bfe_u32 v37, v36, 21, 1
	v_and_b32_e32 v9, v27, v9
	s_delay_alu instid0(VALU_DEP_2) | instskip(NEXT) | instid1(VALU_DEP_2)
	v_add_nc_u32_e32 v27, -1, v37
	v_cmp_eq_u32_e64 s13, v9, v38
	s_delay_alu instid0(VALU_DEP_1) | instskip(SKIP_2) | instid1(VALU_DEP_2)
	v_cndmask_b32_e64 v9, 0, v27, s13
	v_lshrrev_b32_e32 v27, 23, v36
	s_mov_b32 s13, exec_lo
	v_add_nc_u32_e32 v9, v9, v36
	s_delay_alu instid0(VALU_DEP_2) | instskip(NEXT) | instid1(VALU_DEP_2)
	v_xor_b32_e32 v27, 1, v27
	v_and_b32_e32 v8, 0x1fffff, v9
	s_delay_alu instid0(VALU_DEP_1) | instskip(NEXT) | instid1(VALU_DEP_3)
	v_add_nc_u32_e32 v9, v8, v36
                                        ; implicit-def: $vgpr8
	v_cmpx_ne_u32_e64 v26, v27
	s_xor_b32 s13, exec_lo, s13
; %bb.1228:                             ;   in Loop: Header=BB6_144 Depth=3
	s_delay_alu instid0(VALU_DEP_2) | instskip(SKIP_2) | instid1(VALU_DEP_2)
	v_cmp_lt_u32_e32 vcc_lo, 0xffffff, v9
	v_sub_nc_u32_e32 v8, v26, v27
	v_cndmask_b32_e64 v26, 0, 1, vcc_lo
	v_add_co_ci_u32_e32 v8, vcc_lo, 0, v8, vcc_lo
	s_delay_alu instid0(VALU_DEP_2)
	v_lshrrev_b32_e32 v9, v26, v9
; %bb.1229:                             ;   in Loop: Header=BB6_144 Depth=3
	s_and_not1_saveexec_b32 s13, s13
; %bb.1230:                             ;   in Loop: Header=BB6_144 Depth=3
	s_delay_alu instid0(VALU_DEP_1)
	v_bfe_u32 v8, v9, 23, 1
; %bb.1231:                             ;   in Loop: Header=BB6_144 Depth=3
	s_or_b32 exec_lo, exec_lo, s13
	v_lshrrev_b32_e32 v9, 21, v9
	s_delay_alu instid0(VALU_DEP_2) | instskip(SKIP_3) | instid1(VALU_DEP_3)
	v_cmp_gt_i32_e32 vcc_lo, 32, v8
	v_lshrrev_b32_e32 v2, 24, v2
	v_min_i32_e32 v26, 31, v8
	v_mov_b32_e32 v51, v128
	v_dual_cndmask_b32 v9, 3, v9 :: v_dual_and_b32 v2, 0x80, v2
	s_delay_alu instid0(VALU_DEP_3) | instskip(NEXT) | instid1(VALU_DEP_2)
	v_lshlrev_b32_e32 v26, 2, v26
	v_and_b32_e32 v27, 3, v9
	v_or_b32_e32 v8, v8, v9
	s_delay_alu instid0(VALU_DEP_2) | instskip(NEXT) | instid1(VALU_DEP_2)
	v_or3_b32 v2, v26, v2, v27
	v_cmp_ne_u32_e32 vcc_lo, 0, v8
	s_delay_alu instid0(VALU_DEP_2)
	v_cndmask_b32_e32 v183, 0, v2, vcc_lo
.LBB6_1232:                             ;   in Loop: Header=BB6_144 Depth=3
	s_or_b32 exec_lo, exec_lo, s36
.LBB6_1233:                             ;   in Loop: Header=BB6_144 Depth=3
	s_delay_alu instid0(SALU_CYCLE_1) | instskip(SKIP_3) | instid1(VALU_DEP_1)
	s_or_b32 exec_lo, exec_lo, s35
	v_lshrrev_b32_e32 v2, 16, v10
	s_mov_b32 s13, 0
	s_mov_b32 s36, exec_lo
                                        ; implicit-def: $sgpr35
	v_and_b32_e32 v9, 0xff, v2
	s_delay_alu instid0(VALU_DEP_1)
	v_cmpx_lt_i16_e32 0x7f, v9
	s_xor_b32 s36, exec_lo, s36
	s_cbranch_execnz .LBB6_2047
; %bb.1234:                             ;   in Loop: Header=BB6_144 Depth=3
	s_or_saveexec_b32 s36, s36
	v_mov_b32_e32 v8, s35
	s_xor_b32 exec_lo, exec_lo, s36
	s_cbranch_execnz .LBB6_2050
.LBB6_1235:                             ;   in Loop: Header=BB6_144 Depth=3
	s_or_b32 exec_lo, exec_lo, s36
	s_and_saveexec_b32 s35, s13
	s_cbranch_execz .LBB6_1237
.LBB6_1236:                             ;   in Loop: Header=BB6_144 Depth=3
	v_bfe_u32 v8, v10, 16, 2
	v_lshlrev_b32_e32 v27, 8, v10
	s_delay_alu instid0(VALU_DEP_2) | instskip(NEXT) | instid1(VALU_DEP_1)
	v_clz_i32_u32_e32 v9, v8
	v_min_u32_e32 v9, 32, v9
	s_delay_alu instid0(VALU_DEP_1) | instskip(SKIP_1) | instid1(VALU_DEP_2)
	v_subrev_nc_u32_e32 v26, 29, v9
	v_sub_nc_u32_e32 v9, 30, v9
	v_lshlrev_b32_e32 v2, v26, v2
	v_bfe_u32 v26, v10, 18, 5
	s_delay_alu instid0(VALU_DEP_1) | instskip(NEXT) | instid1(VALU_DEP_3)
	v_cmp_eq_u32_e32 vcc_lo, 0, v26
	v_dual_cndmask_b32 v9, v26, v9 :: v_dual_and_b32 v2, 3, v2
	s_delay_alu instid0(VALU_DEP_1) | instskip(SKIP_1) | instid1(VALU_DEP_3)
	v_cndmask_b32_e32 v2, v8, v2, vcc_lo
	v_and_b32_e32 v8, 0x80000000, v27
	v_lshl_add_u32 v9, v9, 23, 0x37800000
	s_delay_alu instid0(VALU_DEP_3) | instskip(NEXT) | instid1(VALU_DEP_1)
	v_lshlrev_b32_e32 v2, 21, v2
	v_or3_b32 v8, v8, v9, v2
.LBB6_1237:                             ;   in Loop: Header=BB6_144 Depth=3
	s_or_b32 exec_lo, exec_lo, s35
	s_delay_alu instid0(VALU_DEP_1) | instskip(SKIP_2) | instid1(VALU_DEP_2)
	v_mul_f32_e32 v2, s34, v8
	v_mov_b32_e32 v86, 0x80
	s_mov_b32 s35, exec_lo
	v_and_b32_e32 v8, 0x7f800000, v2
	s_delay_alu instid0(VALU_DEP_1)
	v_cmpx_ne_u32_e32 0x7f800000, v8
	s_cbranch_execz .LBB6_1245
; %bb.1238:                             ;   in Loop: Header=BB6_144 Depth=3
	v_mov_b32_e32 v86, 0
	s_mov_b32 s36, exec_lo
	v_cmpx_ne_u32_e32 0, v2
	s_cbranch_execz .LBB6_1244
; %bb.1239:                             ;   in Loop: Header=BB6_144 Depth=3
	v_bfe_u32 v8, v2, 23, 8
	v_and_b32_e32 v9, 0x7fffff, v2
	s_delay_alu instid0(VALU_DEP_2) | instskip(SKIP_1) | instid1(VALU_DEP_3)
	v_sub_nc_u32_e32 v26, 0x70, v8
	v_cmp_gt_u32_e32 vcc_lo, 0x71, v8
	v_or_b32_e32 v27, 0x800000, v9
	s_delay_alu instid0(VALU_DEP_3) | instskip(SKIP_1) | instid1(VALU_DEP_3)
	v_cndmask_b32_e32 v26, 0, v26, vcc_lo
	v_cmp_eq_u32_e32 vcc_lo, 0, v8
	v_dual_cndmask_b32 v9, v27, v9 :: v_dual_add_nc_u32 v8, 0xffffff91, v8
	s_delay_alu instid0(VALU_DEP_3) | instskip(NEXT) | instid1(VALU_DEP_2)
	v_cndmask_b32_e64 v26, v26, 0x6f, vcc_lo
	v_cndmask_b32_e64 v8, v8, 0xffffff92, vcc_lo
	s_delay_alu instid0(VALU_DEP_2) | instskip(SKIP_2) | instid1(VALU_DEP_4)
	v_lshrrev_b32_e32 v36, v26, v9
	v_lshl_add_u32 v27, 0x200000, v26, -1
	v_lshlrev_b32_e64 v38, v26, 0x100000
	v_add_nc_u32_e32 v26, v26, v8
	s_delay_alu instid0(VALU_DEP_4) | instskip(NEXT) | instid1(VALU_DEP_4)
	v_bfe_u32 v37, v36, 21, 1
	v_and_b32_e32 v9, v27, v9
	s_delay_alu instid0(VALU_DEP_2) | instskip(NEXT) | instid1(VALU_DEP_2)
	v_add_nc_u32_e32 v27, -1, v37
	v_cmp_eq_u32_e64 s13, v9, v38
	s_delay_alu instid0(VALU_DEP_1) | instskip(SKIP_2) | instid1(VALU_DEP_2)
	v_cndmask_b32_e64 v9, 0, v27, s13
	v_lshrrev_b32_e32 v27, 23, v36
	s_mov_b32 s13, exec_lo
	v_add_nc_u32_e32 v9, v9, v36
	s_delay_alu instid0(VALU_DEP_2) | instskip(NEXT) | instid1(VALU_DEP_2)
	v_xor_b32_e32 v27, 1, v27
	v_and_b32_e32 v8, 0x1fffff, v9
	s_delay_alu instid0(VALU_DEP_1) | instskip(NEXT) | instid1(VALU_DEP_3)
	v_add_nc_u32_e32 v9, v8, v36
                                        ; implicit-def: $vgpr8
	v_cmpx_ne_u32_e64 v26, v27
	s_xor_b32 s13, exec_lo, s13
; %bb.1240:                             ;   in Loop: Header=BB6_144 Depth=3
	s_delay_alu instid0(VALU_DEP_2) | instskip(SKIP_2) | instid1(VALU_DEP_2)
	v_cmp_lt_u32_e32 vcc_lo, 0xffffff, v9
	v_sub_nc_u32_e32 v8, v26, v27
	v_cndmask_b32_e64 v26, 0, 1, vcc_lo
	v_add_co_ci_u32_e32 v8, vcc_lo, 0, v8, vcc_lo
	s_delay_alu instid0(VALU_DEP_2)
	v_lshrrev_b32_e32 v9, v26, v9
; %bb.1241:                             ;   in Loop: Header=BB6_144 Depth=3
	s_and_not1_saveexec_b32 s13, s13
; %bb.1242:                             ;   in Loop: Header=BB6_144 Depth=3
	s_delay_alu instid0(VALU_DEP_1)
	v_bfe_u32 v8, v9, 23, 1
; %bb.1243:                             ;   in Loop: Header=BB6_144 Depth=3
	s_or_b32 exec_lo, exec_lo, s13
	v_lshrrev_b32_e32 v9, 21, v9
	s_delay_alu instid0(VALU_DEP_2) | instskip(SKIP_3) | instid1(VALU_DEP_3)
	v_cmp_gt_i32_e32 vcc_lo, 32, v8
	v_lshrrev_b32_e32 v2, 24, v2
	v_min_i32_e32 v26, 31, v8
	v_mov_b32_e32 v51, v128
	v_dual_cndmask_b32 v9, 3, v9 :: v_dual_and_b32 v2, 0x80, v2
	s_delay_alu instid0(VALU_DEP_3) | instskip(NEXT) | instid1(VALU_DEP_2)
	v_lshlrev_b32_e32 v26, 2, v26
	v_or_b32_e32 v8, v8, v9
	s_delay_alu instid0(VALU_DEP_1) | instskip(SKIP_1) | instid1(VALU_DEP_1)
	v_cmp_ne_u32_e32 vcc_lo, 0, v8
	v_and_b32_e32 v27, 3, v9
	v_or3_b32 v2, v26, v2, v27
	s_delay_alu instid0(VALU_DEP_1)
	v_cndmask_b32_e32 v86, 0, v2, vcc_lo
.LBB6_1244:                             ;   in Loop: Header=BB6_144 Depth=3
	s_or_b32 exec_lo, exec_lo, s36
.LBB6_1245:                             ;   in Loop: Header=BB6_144 Depth=3
	s_delay_alu instid0(SALU_CYCLE_1) | instskip(SKIP_3) | instid1(VALU_DEP_1)
	s_or_b32 exec_lo, exec_lo, s35
	v_lshrrev_b32_e32 v2, 24, v10
	s_mov_b32 s13, 0
	s_mov_b32 s36, exec_lo
                                        ; implicit-def: $sgpr35
	v_cmpx_lt_i16_e32 0x7f, v2
	s_xor_b32 s36, exec_lo, s36
	s_cbranch_execnz .LBB6_2051
; %bb.1246:                             ;   in Loop: Header=BB6_144 Depth=3
	s_or_saveexec_b32 s36, s36
	v_mov_b32_e32 v8, s35
	s_xor_b32 exec_lo, exec_lo, s36
	s_cbranch_execnz .LBB6_2054
.LBB6_1247:                             ;   in Loop: Header=BB6_144 Depth=3
	s_or_b32 exec_lo, exec_lo, s36
	s_and_saveexec_b32 s35, s13
	s_cbranch_execz .LBB6_1249
.LBB6_1248:                             ;   in Loop: Header=BB6_144 Depth=3
	v_bfe_u32 v8, v10, 24, 2
	s_delay_alu instid0(VALU_DEP_1) | instskip(NEXT) | instid1(VALU_DEP_1)
	v_clz_i32_u32_e32 v9, v8
	v_min_u32_e32 v9, 32, v9
	s_delay_alu instid0(VALU_DEP_1) | instskip(SKIP_1) | instid1(VALU_DEP_2)
	v_subrev_nc_u32_e32 v26, 29, v9
	v_sub_nc_u32_e32 v9, 30, v9
	v_lshlrev_b32_e32 v2, v26, v2
	v_bfe_u32 v26, v10, 26, 5
	s_delay_alu instid0(VALU_DEP_1) | instskip(NEXT) | instid1(VALU_DEP_3)
	v_cmp_eq_u32_e32 vcc_lo, 0, v26
	v_dual_cndmask_b32 v9, v26, v9 :: v_dual_and_b32 v2, 3, v2
	s_delay_alu instid0(VALU_DEP_1) | instskip(SKIP_1) | instid1(VALU_DEP_3)
	v_cndmask_b32_e32 v2, v8, v2, vcc_lo
	v_and_b32_e32 v8, 0x80000000, v10
	v_lshl_add_u32 v9, v9, 23, 0x37800000
	s_delay_alu instid0(VALU_DEP_3) | instskip(NEXT) | instid1(VALU_DEP_1)
	v_lshlrev_b32_e32 v2, 21, v2
	v_or3_b32 v8, v8, v9, v2
.LBB6_1249:                             ;   in Loop: Header=BB6_144 Depth=3
	s_or_b32 exec_lo, exec_lo, s35
	s_delay_alu instid0(VALU_DEP_1) | instskip(SKIP_1) | instid1(VALU_DEP_1)
	v_dual_mul_f32 v2, s34, v8 :: v_dual_mov_b32 v157, 0x80
	s_mov_b32 s35, exec_lo
	v_and_b32_e32 v8, 0x7f800000, v2
	s_delay_alu instid0(VALU_DEP_1)
	v_cmpx_ne_u32_e32 0x7f800000, v8
	s_cbranch_execz .LBB6_1257
; %bb.1250:                             ;   in Loop: Header=BB6_144 Depth=3
	v_mov_b32_e32 v157, 0
	s_mov_b32 s36, exec_lo
	v_cmpx_ne_u32_e32 0, v2
	s_cbranch_execz .LBB6_1256
; %bb.1251:                             ;   in Loop: Header=BB6_144 Depth=3
	v_bfe_u32 v8, v2, 23, 8
	v_and_b32_e32 v9, 0x7fffff, v2
	s_delay_alu instid0(VALU_DEP_2) | instskip(SKIP_1) | instid1(VALU_DEP_3)
	v_sub_nc_u32_e32 v10, 0x70, v8
	v_cmp_gt_u32_e32 vcc_lo, 0x71, v8
	v_or_b32_e32 v26, 0x800000, v9
	s_delay_alu instid0(VALU_DEP_3) | instskip(SKIP_1) | instid1(VALU_DEP_3)
	v_cndmask_b32_e32 v10, 0, v10, vcc_lo
	v_cmp_eq_u32_e32 vcc_lo, 0, v8
	v_dual_cndmask_b32 v9, v26, v9 :: v_dual_add_nc_u32 v8, 0xffffff91, v8
	s_delay_alu instid0(VALU_DEP_3) | instskip(NEXT) | instid1(VALU_DEP_2)
	v_cndmask_b32_e64 v10, v10, 0x6f, vcc_lo
	v_cndmask_b32_e64 v8, v8, 0xffffff92, vcc_lo
	s_delay_alu instid0(VALU_DEP_2) | instskip(SKIP_2) | instid1(VALU_DEP_4)
	v_lshrrev_b32_e32 v27, v10, v9
	v_lshl_add_u32 v26, 0x200000, v10, -1
	v_lshlrev_b32_e64 v37, v10, 0x100000
	v_add_nc_u32_e32 v10, v10, v8
	s_delay_alu instid0(VALU_DEP_4) | instskip(NEXT) | instid1(VALU_DEP_4)
	v_bfe_u32 v36, v27, 21, 1
	v_and_b32_e32 v9, v26, v9
	s_delay_alu instid0(VALU_DEP_2) | instskip(NEXT) | instid1(VALU_DEP_2)
	v_add_nc_u32_e32 v26, -1, v36
	v_cmp_eq_u32_e64 s13, v9, v37
	s_delay_alu instid0(VALU_DEP_1) | instskip(SKIP_2) | instid1(VALU_DEP_2)
	v_cndmask_b32_e64 v9, 0, v26, s13
	v_lshrrev_b32_e32 v26, 23, v27
	s_mov_b32 s13, exec_lo
	v_add_nc_u32_e32 v9, v9, v27
	s_delay_alu instid0(VALU_DEP_2) | instskip(NEXT) | instid1(VALU_DEP_2)
	v_xor_b32_e32 v26, 1, v26
	v_and_b32_e32 v8, 0x1fffff, v9
	s_delay_alu instid0(VALU_DEP_1) | instskip(NEXT) | instid1(VALU_DEP_3)
	v_add_nc_u32_e32 v9, v8, v27
                                        ; implicit-def: $vgpr8
	v_cmpx_ne_u32_e64 v10, v26
	s_xor_b32 s13, exec_lo, s13
; %bb.1252:                             ;   in Loop: Header=BB6_144 Depth=3
	s_delay_alu instid0(VALU_DEP_2) | instskip(SKIP_2) | instid1(VALU_DEP_2)
	v_cmp_lt_u32_e32 vcc_lo, 0xffffff, v9
	v_sub_nc_u32_e32 v8, v10, v26
	v_cndmask_b32_e64 v10, 0, 1, vcc_lo
	v_add_co_ci_u32_e32 v8, vcc_lo, 0, v8, vcc_lo
	s_delay_alu instid0(VALU_DEP_2)
	v_lshrrev_b32_e32 v9, v10, v9
; %bb.1253:                             ;   in Loop: Header=BB6_144 Depth=3
	s_and_not1_saveexec_b32 s13, s13
; %bb.1254:                             ;   in Loop: Header=BB6_144 Depth=3
	s_delay_alu instid0(VALU_DEP_1)
	v_bfe_u32 v8, v9, 23, 1
; %bb.1255:                             ;   in Loop: Header=BB6_144 Depth=3
	s_or_b32 exec_lo, exec_lo, s13
	v_lshrrev_b32_e32 v9, 21, v9
	s_delay_alu instid0(VALU_DEP_2) | instskip(SKIP_3) | instid1(VALU_DEP_3)
	v_cmp_gt_i32_e32 vcc_lo, 32, v8
	v_lshrrev_b32_e32 v2, 24, v2
	v_min_i32_e32 v10, 31, v8
	v_mov_b32_e32 v51, v128
	v_dual_cndmask_b32 v9, 3, v9 :: v_dual_and_b32 v2, 0x80, v2
	s_delay_alu instid0(VALU_DEP_3) | instskip(NEXT) | instid1(VALU_DEP_2)
	v_lshlrev_b32_e32 v10, 2, v10
	v_or_b32_e32 v8, v8, v9
	s_delay_alu instid0(VALU_DEP_1) | instskip(SKIP_1) | instid1(VALU_DEP_1)
	v_cmp_ne_u32_e32 vcc_lo, 0, v8
	v_and_b32_e32 v26, 3, v9
	v_or3_b32 v2, v10, v2, v26
	s_delay_alu instid0(VALU_DEP_1)
	v_cndmask_b32_e32 v157, 0, v2, vcc_lo
.LBB6_1256:                             ;   in Loop: Header=BB6_144 Depth=3
	s_or_b32 exec_lo, exec_lo, s36
.LBB6_1257:                             ;   in Loop: Header=BB6_144 Depth=3
	s_delay_alu instid0(SALU_CYCLE_1) | instskip(SKIP_3) | instid1(VALU_DEP_1)
	s_or_b32 exec_lo, exec_lo, s35
	v_and_b32_e32 v8, 0xff, v11
	s_mov_b32 s13, 0
	s_mov_b32 s36, exec_lo
                                        ; implicit-def: $sgpr35
	v_cmpx_lt_i16_e32 0x7f, v8
	s_xor_b32 s36, exec_lo, s36
	s_cbranch_execnz .LBB6_2055
; %bb.1258:                             ;   in Loop: Header=BB6_144 Depth=3
	s_or_saveexec_b32 s36, s36
	v_mov_b32_e32 v2, s35
	s_xor_b32 exec_lo, exec_lo, s36
	s_cbranch_execnz .LBB6_2058
.LBB6_1259:                             ;   in Loop: Header=BB6_144 Depth=3
	s_or_b32 exec_lo, exec_lo, s36
	s_and_saveexec_b32 s35, s13
	s_cbranch_execz .LBB6_1261
.LBB6_1260:                             ;   in Loop: Header=BB6_144 Depth=3
	v_and_b32_e32 v2, 3, v11
	v_bfe_u32 v10, v11, 2, 5
	v_lshlrev_b32_e32 v26, 24, v11
	s_delay_alu instid0(VALU_DEP_3) | instskip(NEXT) | instid1(VALU_DEP_3)
	v_clz_i32_u32_e32 v8, v2
	v_cmp_eq_u32_e32 vcc_lo, 0, v10
	s_delay_alu instid0(VALU_DEP_2) | instskip(NEXT) | instid1(VALU_DEP_1)
	v_min_u32_e32 v8, 32, v8
	v_subrev_nc_u32_e32 v9, 29, v8
	v_sub_nc_u32_e32 v8, 30, v8
	s_delay_alu instid0(VALU_DEP_1) | instskip(NEXT) | instid1(VALU_DEP_1)
	v_dual_cndmask_b32 v8, v10, v8 :: v_dual_lshlrev_b32 v9, v9, v11
	v_and_b32_e32 v9, 3, v9
	s_delay_alu instid0(VALU_DEP_2) | instskip(NEXT) | instid1(VALU_DEP_2)
	v_lshl_add_u32 v8, v8, 23, 0x37800000
	v_dual_cndmask_b32 v2, v2, v9 :: v_dual_and_b32 v9, 0x80000000, v26
	s_delay_alu instid0(VALU_DEP_1) | instskip(NEXT) | instid1(VALU_DEP_1)
	v_lshlrev_b32_e32 v2, 21, v2
	v_or3_b32 v2, v9, v8, v2
.LBB6_1261:                             ;   in Loop: Header=BB6_144 Depth=3
	s_or_b32 exec_lo, exec_lo, s35
	s_delay_alu instid0(VALU_DEP_1) | instskip(SKIP_2) | instid1(VALU_DEP_2)
	v_mul_f32_e32 v2, s34, v2
	v_mov_b32_e32 v38, 0x80
	s_mov_b32 s35, exec_lo
	v_and_b32_e32 v8, 0x7f800000, v2
	s_delay_alu instid0(VALU_DEP_1)
	v_cmpx_ne_u32_e32 0x7f800000, v8
	s_cbranch_execz .LBB6_1269
; %bb.1262:                             ;   in Loop: Header=BB6_144 Depth=3
	v_mov_b32_e32 v38, 0
	s_mov_b32 s36, exec_lo
	v_cmpx_ne_u32_e32 0, v2
	s_cbranch_execz .LBB6_1268
; %bb.1263:                             ;   in Loop: Header=BB6_144 Depth=3
	v_bfe_u32 v8, v2, 23, 8
	v_and_b32_e32 v9, 0x7fffff, v2
	s_delay_alu instid0(VALU_DEP_2) | instskip(SKIP_1) | instid1(VALU_DEP_3)
	v_sub_nc_u32_e32 v10, 0x70, v8
	v_cmp_gt_u32_e32 vcc_lo, 0x71, v8
	v_or_b32_e32 v26, 0x800000, v9
	s_delay_alu instid0(VALU_DEP_3) | instskip(SKIP_1) | instid1(VALU_DEP_3)
	v_cndmask_b32_e32 v10, 0, v10, vcc_lo
	v_cmp_eq_u32_e32 vcc_lo, 0, v8
	v_dual_cndmask_b32 v9, v26, v9 :: v_dual_add_nc_u32 v8, 0xffffff91, v8
	s_delay_alu instid0(VALU_DEP_3) | instskip(NEXT) | instid1(VALU_DEP_2)
	v_cndmask_b32_e64 v10, v10, 0x6f, vcc_lo
	v_cndmask_b32_e64 v8, v8, 0xffffff92, vcc_lo
	s_delay_alu instid0(VALU_DEP_2) | instskip(SKIP_2) | instid1(VALU_DEP_4)
	v_lshrrev_b32_e32 v27, v10, v9
	v_lshl_add_u32 v26, 0x200000, v10, -1
	v_lshlrev_b32_e64 v37, v10, 0x100000
	v_add_nc_u32_e32 v10, v10, v8
	s_delay_alu instid0(VALU_DEP_4) | instskip(NEXT) | instid1(VALU_DEP_4)
	v_bfe_u32 v36, v27, 21, 1
	v_and_b32_e32 v9, v26, v9
	s_delay_alu instid0(VALU_DEP_2) | instskip(NEXT) | instid1(VALU_DEP_2)
	v_add_nc_u32_e32 v26, -1, v36
	v_cmp_eq_u32_e64 s13, v9, v37
	s_delay_alu instid0(VALU_DEP_1) | instskip(SKIP_2) | instid1(VALU_DEP_2)
	v_cndmask_b32_e64 v9, 0, v26, s13
	v_lshrrev_b32_e32 v26, 23, v27
	s_mov_b32 s13, exec_lo
	v_add_nc_u32_e32 v9, v9, v27
	s_delay_alu instid0(VALU_DEP_2) | instskip(NEXT) | instid1(VALU_DEP_2)
	v_xor_b32_e32 v26, 1, v26
	v_and_b32_e32 v8, 0x1fffff, v9
	s_delay_alu instid0(VALU_DEP_1) | instskip(NEXT) | instid1(VALU_DEP_3)
	v_add_nc_u32_e32 v9, v8, v27
                                        ; implicit-def: $vgpr8
	v_cmpx_ne_u32_e64 v10, v26
	s_xor_b32 s13, exec_lo, s13
; %bb.1264:                             ;   in Loop: Header=BB6_144 Depth=3
	s_delay_alu instid0(VALU_DEP_2) | instskip(SKIP_2) | instid1(VALU_DEP_2)
	v_cmp_lt_u32_e32 vcc_lo, 0xffffff, v9
	v_sub_nc_u32_e32 v8, v10, v26
	v_cndmask_b32_e64 v10, 0, 1, vcc_lo
	v_add_co_ci_u32_e32 v8, vcc_lo, 0, v8, vcc_lo
	s_delay_alu instid0(VALU_DEP_2)
	v_lshrrev_b32_e32 v9, v10, v9
; %bb.1265:                             ;   in Loop: Header=BB6_144 Depth=3
	s_and_not1_saveexec_b32 s13, s13
; %bb.1266:                             ;   in Loop: Header=BB6_144 Depth=3
	s_delay_alu instid0(VALU_DEP_1)
	v_bfe_u32 v8, v9, 23, 1
; %bb.1267:                             ;   in Loop: Header=BB6_144 Depth=3
	s_or_b32 exec_lo, exec_lo, s13
	v_lshrrev_b32_e32 v9, 21, v9
	s_delay_alu instid0(VALU_DEP_2) | instskip(SKIP_2) | instid1(VALU_DEP_3)
	v_min_i32_e32 v10, 31, v8
	v_cmp_gt_i32_e32 vcc_lo, 32, v8
	v_lshrrev_b32_e32 v2, 24, v2
	v_dual_mov_b32 v51, v128 :: v_dual_lshlrev_b32 v10, 2, v10
	s_delay_alu instid0(VALU_DEP_2) | instskip(NEXT) | instid1(VALU_DEP_2)
	v_dual_cndmask_b32 v9, 3, v9 :: v_dual_and_b32 v2, 0x80, v2
	v_and_b32_e32 v10, 0xfc, v10
	s_delay_alu instid0(VALU_DEP_2) | instskip(SKIP_1) | instid1(VALU_DEP_2)
	v_and_b32_e32 v26, 3, v9
	v_or_b32_e32 v8, v8, v9
	v_or3_b32 v2, v10, v2, v26
	s_delay_alu instid0(VALU_DEP_2) | instskip(NEXT) | instid1(VALU_DEP_2)
	v_cmp_ne_u32_e32 vcc_lo, 0, v8
	v_cndmask_b32_e32 v38, 0, v2, vcc_lo
.LBB6_1268:                             ;   in Loop: Header=BB6_144 Depth=3
	s_or_b32 exec_lo, exec_lo, s36
.LBB6_1269:                             ;   in Loop: Header=BB6_144 Depth=3
	s_delay_alu instid0(SALU_CYCLE_1) | instskip(SKIP_3) | instid1(VALU_DEP_1)
	s_or_b32 exec_lo, exec_lo, s35
	v_lshrrev_b16 v2, 8, v11
	s_mov_b32 s13, 0
	s_mov_b32 s36, exec_lo
                                        ; implicit-def: $sgpr35
	v_cmpx_lt_i16_e32 0x7f, v2
	s_xor_b32 s36, exec_lo, s36
	s_cbranch_execnz .LBB6_2059
; %bb.1270:                             ;   in Loop: Header=BB6_144 Depth=3
	s_or_saveexec_b32 s36, s36
	v_mov_b32_e32 v8, s35
	s_xor_b32 exec_lo, exec_lo, s36
	s_cbranch_execnz .LBB6_2062
.LBB6_1271:                             ;   in Loop: Header=BB6_144 Depth=3
	s_or_b32 exec_lo, exec_lo, s36
	s_and_saveexec_b32 s35, s13
	s_cbranch_execz .LBB6_1273
.LBB6_1272:                             ;   in Loop: Header=BB6_144 Depth=3
	v_and_b32_e32 v8, 0xffff, v2
	v_lshlrev_b32_e32 v2, 24, v2
	s_delay_alu instid0(VALU_DEP_2) | instskip(NEXT) | instid1(VALU_DEP_2)
	v_and_b32_e32 v9, 3, v8
	v_and_b32_e32 v2, 0x80000000, v2
	s_delay_alu instid0(VALU_DEP_2) | instskip(NEXT) | instid1(VALU_DEP_1)
	v_clz_i32_u32_e32 v10, v9
	v_min_u32_e32 v10, 32, v10
	s_delay_alu instid0(VALU_DEP_1) | instskip(SKIP_1) | instid1(VALU_DEP_2)
	v_subrev_nc_u32_e32 v26, 29, v10
	v_sub_nc_u32_e32 v10, 30, v10
	v_lshlrev_b32_e32 v26, v26, v8
	v_bfe_u32 v8, v8, 2, 5
	s_delay_alu instid0(VALU_DEP_2) | instskip(NEXT) | instid1(VALU_DEP_2)
	v_and_b32_e32 v26, 3, v26
	v_cmp_eq_u32_e32 vcc_lo, 0, v8
	v_cndmask_b32_e32 v8, v8, v10, vcc_lo
	s_delay_alu instid0(VALU_DEP_3) | instskip(NEXT) | instid1(VALU_DEP_2)
	v_cndmask_b32_e32 v9, v9, v26, vcc_lo
	v_lshl_add_u32 v8, v8, 23, 0x37800000
	s_delay_alu instid0(VALU_DEP_2) | instskip(NEXT) | instid1(VALU_DEP_1)
	v_lshlrev_b32_e32 v9, 21, v9
	v_or3_b32 v8, v2, v8, v9
.LBB6_1273:                             ;   in Loop: Header=BB6_144 Depth=3
	s_or_b32 exec_lo, exec_lo, s35
	s_delay_alu instid0(VALU_DEP_1) | instskip(SKIP_2) | instid1(VALU_DEP_2)
	v_mul_f32_e32 v2, s34, v8
	v_mov_b32_e32 v36, 0x8000
	s_mov_b32 s35, exec_lo
	v_and_b32_e32 v8, 0x7f800000, v2
	s_delay_alu instid0(VALU_DEP_1)
	v_cmpx_ne_u32_e32 0x7f800000, v8
	s_cbranch_execz .LBB6_1281
; %bb.1274:                             ;   in Loop: Header=BB6_144 Depth=3
	v_mov_b32_e32 v36, 0
	s_mov_b32 s36, exec_lo
	v_cmpx_ne_u32_e32 0, v2
	s_cbranch_execz .LBB6_1280
; %bb.1275:                             ;   in Loop: Header=BB6_144 Depth=3
	v_bfe_u32 v8, v2, 23, 8
	v_and_b32_e32 v9, 0x7fffff, v2
	s_delay_alu instid0(VALU_DEP_2) | instskip(SKIP_1) | instid1(VALU_DEP_3)
	v_sub_nc_u32_e32 v10, 0x70, v8
	v_cmp_gt_u32_e32 vcc_lo, 0x71, v8
	v_or_b32_e32 v26, 0x800000, v9
	s_delay_alu instid0(VALU_DEP_3) | instskip(SKIP_1) | instid1(VALU_DEP_3)
	v_cndmask_b32_e32 v10, 0, v10, vcc_lo
	v_cmp_eq_u32_e32 vcc_lo, 0, v8
	v_dual_cndmask_b32 v9, v26, v9 :: v_dual_add_nc_u32 v8, 0xffffff91, v8
	s_delay_alu instid0(VALU_DEP_3) | instskip(NEXT) | instid1(VALU_DEP_2)
	v_cndmask_b32_e64 v10, v10, 0x6f, vcc_lo
	v_cndmask_b32_e64 v8, v8, 0xffffff92, vcc_lo
	s_delay_alu instid0(VALU_DEP_2) | instskip(SKIP_2) | instid1(VALU_DEP_4)
	v_lshrrev_b32_e32 v27, v10, v9
	v_lshl_add_u32 v26, 0x200000, v10, -1
	v_lshlrev_b32_e64 v37, v10, 0x100000
	v_add_nc_u32_e32 v10, v10, v8
	s_delay_alu instid0(VALU_DEP_4) | instskip(NEXT) | instid1(VALU_DEP_4)
	v_bfe_u32 v36, v27, 21, 1
	v_and_b32_e32 v9, v26, v9
	s_delay_alu instid0(VALU_DEP_2) | instskip(NEXT) | instid1(VALU_DEP_2)
	v_add_nc_u32_e32 v26, -1, v36
	v_cmp_eq_u32_e64 s13, v9, v37
	s_delay_alu instid0(VALU_DEP_1) | instskip(SKIP_2) | instid1(VALU_DEP_2)
	v_cndmask_b32_e64 v9, 0, v26, s13
	v_lshrrev_b32_e32 v26, 23, v27
	s_mov_b32 s13, exec_lo
	v_add_nc_u32_e32 v9, v9, v27
	s_delay_alu instid0(VALU_DEP_2) | instskip(NEXT) | instid1(VALU_DEP_2)
	v_xor_b32_e32 v26, 1, v26
	v_and_b32_e32 v8, 0x1fffff, v9
	s_delay_alu instid0(VALU_DEP_1) | instskip(NEXT) | instid1(VALU_DEP_3)
	v_add_nc_u32_e32 v9, v8, v27
                                        ; implicit-def: $vgpr8
	v_cmpx_ne_u32_e64 v10, v26
	s_xor_b32 s13, exec_lo, s13
; %bb.1276:                             ;   in Loop: Header=BB6_144 Depth=3
	s_delay_alu instid0(VALU_DEP_2) | instskip(SKIP_2) | instid1(VALU_DEP_2)
	v_cmp_lt_u32_e32 vcc_lo, 0xffffff, v9
	v_sub_nc_u32_e32 v8, v10, v26
	v_cndmask_b32_e64 v10, 0, 1, vcc_lo
	v_add_co_ci_u32_e32 v8, vcc_lo, 0, v8, vcc_lo
	s_delay_alu instid0(VALU_DEP_2)
	v_lshrrev_b32_e32 v9, v10, v9
; %bb.1277:                             ;   in Loop: Header=BB6_144 Depth=3
	s_and_not1_saveexec_b32 s13, s13
; %bb.1278:                             ;   in Loop: Header=BB6_144 Depth=3
	s_delay_alu instid0(VALU_DEP_1)
	v_bfe_u32 v8, v9, 23, 1
; %bb.1279:                             ;   in Loop: Header=BB6_144 Depth=3
	s_or_b32 exec_lo, exec_lo, s13
	v_lshrrev_b32_e32 v9, 21, v9
	s_delay_alu instid0(VALU_DEP_2) | instskip(SKIP_2) | instid1(VALU_DEP_3)
	v_min_i32_e32 v10, 31, v8
	v_cmp_gt_i32_e32 vcc_lo, 32, v8
	v_lshrrev_b32_e32 v2, 24, v2
	v_dual_mov_b32 v51, v128 :: v_dual_lshlrev_b32 v10, 2, v10
	s_delay_alu instid0(VALU_DEP_2) | instskip(NEXT) | instid1(VALU_DEP_2)
	v_dual_cndmask_b32 v9, 3, v9 :: v_dual_and_b32 v2, 0x80, v2
	v_and_b32_e32 v10, 0xfc, v10
	s_delay_alu instid0(VALU_DEP_2) | instskip(SKIP_1) | instid1(VALU_DEP_2)
	v_and_b32_e32 v26, 3, v9
	v_or_b32_e32 v8, v8, v9
	v_or3_b32 v2, v2, v10, v26
	s_delay_alu instid0(VALU_DEP_2) | instskip(NEXT) | instid1(VALU_DEP_2)
	v_cmp_ne_u32_e32 vcc_lo, 0, v8
	v_lshlrev_b32_e32 v2, 8, v2
	s_delay_alu instid0(VALU_DEP_1)
	v_cndmask_b32_e32 v36, 0, v2, vcc_lo
.LBB6_1280:                             ;   in Loop: Header=BB6_144 Depth=3
	s_or_b32 exec_lo, exec_lo, s36
.LBB6_1281:                             ;   in Loop: Header=BB6_144 Depth=3
	s_delay_alu instid0(SALU_CYCLE_1) | instskip(SKIP_3) | instid1(VALU_DEP_1)
	s_or_b32 exec_lo, exec_lo, s35
	v_lshrrev_b32_e32 v2, 16, v11
	s_mov_b32 s13, 0
	s_mov_b32 s36, exec_lo
                                        ; implicit-def: $sgpr35
	v_and_b32_e32 v9, 0xff, v2
	s_delay_alu instid0(VALU_DEP_1)
	v_cmpx_lt_i16_e32 0x7f, v9
	s_xor_b32 s36, exec_lo, s36
	s_cbranch_execnz .LBB6_2063
; %bb.1282:                             ;   in Loop: Header=BB6_144 Depth=3
	s_or_saveexec_b32 s36, s36
	v_mov_b32_e32 v8, s35
	s_xor_b32 exec_lo, exec_lo, s36
	s_cbranch_execnz .LBB6_2066
.LBB6_1283:                             ;   in Loop: Header=BB6_144 Depth=3
	s_or_b32 exec_lo, exec_lo, s36
	s_and_saveexec_b32 s35, s13
	s_cbranch_execz .LBB6_1285
.LBB6_1284:                             ;   in Loop: Header=BB6_144 Depth=3
	v_bfe_u32 v8, v11, 16, 2
	v_lshlrev_b32_e32 v26, 8, v11
	s_delay_alu instid0(VALU_DEP_2) | instskip(NEXT) | instid1(VALU_DEP_1)
	v_clz_i32_u32_e32 v9, v8
	v_min_u32_e32 v9, 32, v9
	s_delay_alu instid0(VALU_DEP_1) | instskip(SKIP_1) | instid1(VALU_DEP_2)
	v_subrev_nc_u32_e32 v10, 29, v9
	v_sub_nc_u32_e32 v9, 30, v9
	v_lshlrev_b32_e32 v2, v10, v2
	v_bfe_u32 v10, v11, 18, 5
	s_delay_alu instid0(VALU_DEP_1) | instskip(NEXT) | instid1(VALU_DEP_3)
	v_cmp_eq_u32_e32 vcc_lo, 0, v10
	v_dual_cndmask_b32 v9, v10, v9 :: v_dual_and_b32 v2, 3, v2
	s_delay_alu instid0(VALU_DEP_1) | instskip(SKIP_1) | instid1(VALU_DEP_3)
	v_cndmask_b32_e32 v2, v8, v2, vcc_lo
	v_and_b32_e32 v8, 0x80000000, v26
	v_lshl_add_u32 v9, v9, 23, 0x37800000
	s_delay_alu instid0(VALU_DEP_3) | instskip(NEXT) | instid1(VALU_DEP_1)
	v_lshlrev_b32_e32 v2, 21, v2
	v_or3_b32 v8, v8, v9, v2
.LBB6_1285:                             ;   in Loop: Header=BB6_144 Depth=3
	s_or_b32 exec_lo, exec_lo, s35
	s_delay_alu instid0(VALU_DEP_1) | instskip(SKIP_2) | instid1(VALU_DEP_2)
	v_mul_f32_e32 v2, s34, v8
	v_mov_b32_e32 v168, 0x80
	s_mov_b32 s35, exec_lo
	v_and_b32_e32 v8, 0x7f800000, v2
	s_delay_alu instid0(VALU_DEP_1)
	v_cmpx_ne_u32_e32 0x7f800000, v8
	s_cbranch_execz .LBB6_1293
; %bb.1286:                             ;   in Loop: Header=BB6_144 Depth=3
	v_mov_b32_e32 v168, 0
	s_mov_b32 s36, exec_lo
	v_cmpx_ne_u32_e32 0, v2
	s_cbranch_execz .LBB6_1292
; %bb.1287:                             ;   in Loop: Header=BB6_144 Depth=3
	v_bfe_u32 v8, v2, 23, 8
	v_and_b32_e32 v9, 0x7fffff, v2
	s_delay_alu instid0(VALU_DEP_2) | instskip(SKIP_1) | instid1(VALU_DEP_3)
	v_sub_nc_u32_e32 v10, 0x70, v8
	v_cmp_gt_u32_e32 vcc_lo, 0x71, v8
	v_or_b32_e32 v26, 0x800000, v9
	s_delay_alu instid0(VALU_DEP_3) | instskip(SKIP_1) | instid1(VALU_DEP_3)
	v_cndmask_b32_e32 v10, 0, v10, vcc_lo
	v_cmp_eq_u32_e32 vcc_lo, 0, v8
	v_dual_cndmask_b32 v9, v26, v9 :: v_dual_add_nc_u32 v8, 0xffffff91, v8
	s_delay_alu instid0(VALU_DEP_3) | instskip(NEXT) | instid1(VALU_DEP_2)
	v_cndmask_b32_e64 v10, v10, 0x6f, vcc_lo
	v_cndmask_b32_e64 v8, v8, 0xffffff92, vcc_lo
	s_delay_alu instid0(VALU_DEP_2) | instskip(SKIP_2) | instid1(VALU_DEP_4)
	v_lshrrev_b32_e32 v27, v10, v9
	v_lshl_add_u32 v26, 0x200000, v10, -1
	v_lshlrev_b32_e64 v39, v10, 0x100000
	v_add_nc_u32_e32 v10, v10, v8
	s_delay_alu instid0(VALU_DEP_4) | instskip(NEXT) | instid1(VALU_DEP_4)
	v_bfe_u32 v37, v27, 21, 1
	v_and_b32_e32 v9, v26, v9
	s_delay_alu instid0(VALU_DEP_2) | instskip(NEXT) | instid1(VALU_DEP_2)
	v_add_nc_u32_e32 v26, -1, v37
	v_cmp_eq_u32_e64 s13, v9, v39
	s_delay_alu instid0(VALU_DEP_1) | instskip(SKIP_2) | instid1(VALU_DEP_2)
	v_cndmask_b32_e64 v9, 0, v26, s13
	v_lshrrev_b32_e32 v26, 23, v27
	s_mov_b32 s13, exec_lo
	v_add_nc_u32_e32 v9, v9, v27
	s_delay_alu instid0(VALU_DEP_2) | instskip(NEXT) | instid1(VALU_DEP_2)
	v_xor_b32_e32 v26, 1, v26
	v_and_b32_e32 v8, 0x1fffff, v9
	s_delay_alu instid0(VALU_DEP_1) | instskip(NEXT) | instid1(VALU_DEP_3)
	v_add_nc_u32_e32 v9, v8, v27
                                        ; implicit-def: $vgpr8
	v_cmpx_ne_u32_e64 v10, v26
	s_xor_b32 s13, exec_lo, s13
; %bb.1288:                             ;   in Loop: Header=BB6_144 Depth=3
	s_delay_alu instid0(VALU_DEP_2) | instskip(SKIP_2) | instid1(VALU_DEP_2)
	v_cmp_lt_u32_e32 vcc_lo, 0xffffff, v9
	v_sub_nc_u32_e32 v8, v10, v26
	v_cndmask_b32_e64 v10, 0, 1, vcc_lo
	v_add_co_ci_u32_e32 v8, vcc_lo, 0, v8, vcc_lo
	s_delay_alu instid0(VALU_DEP_2)
	v_lshrrev_b32_e32 v9, v10, v9
; %bb.1289:                             ;   in Loop: Header=BB6_144 Depth=3
	s_and_not1_saveexec_b32 s13, s13
; %bb.1290:                             ;   in Loop: Header=BB6_144 Depth=3
	s_delay_alu instid0(VALU_DEP_1)
	v_bfe_u32 v8, v9, 23, 1
; %bb.1291:                             ;   in Loop: Header=BB6_144 Depth=3
	s_or_b32 exec_lo, exec_lo, s13
	v_lshrrev_b32_e32 v9, 21, v9
	s_delay_alu instid0(VALU_DEP_2) | instskip(SKIP_2) | instid1(VALU_DEP_3)
	v_min_i32_e32 v10, 31, v8
	v_cmp_gt_i32_e32 vcc_lo, 32, v8
	v_lshrrev_b32_e32 v2, 24, v2
	v_dual_mov_b32 v51, v128 :: v_dual_lshlrev_b32 v10, 2, v10
	s_delay_alu instid0(VALU_DEP_2) | instskip(NEXT) | instid1(VALU_DEP_2)
	v_dual_cndmask_b32 v9, 3, v9 :: v_dual_and_b32 v2, 0x80, v2
	v_and_b32_e32 v10, 0xfc, v10
	s_delay_alu instid0(VALU_DEP_2) | instskip(SKIP_1) | instid1(VALU_DEP_2)
	v_and_b32_e32 v26, 3, v9
	v_or_b32_e32 v8, v8, v9
	v_or3_b32 v2, v10, v2, v26
	s_delay_alu instid0(VALU_DEP_2) | instskip(NEXT) | instid1(VALU_DEP_2)
	v_cmp_ne_u32_e32 vcc_lo, 0, v8
	v_cndmask_b32_e32 v168, 0, v2, vcc_lo
.LBB6_1292:                             ;   in Loop: Header=BB6_144 Depth=3
	s_or_b32 exec_lo, exec_lo, s36
.LBB6_1293:                             ;   in Loop: Header=BB6_144 Depth=3
	s_delay_alu instid0(SALU_CYCLE_1) | instskip(SKIP_3) | instid1(VALU_DEP_1)
	s_or_b32 exec_lo, exec_lo, s35
	v_lshrrev_b32_e32 v2, 24, v11
	s_mov_b32 s13, 0
	s_mov_b32 s36, exec_lo
                                        ; implicit-def: $sgpr35
	v_cmpx_lt_i16_e32 0x7f, v2
	s_xor_b32 s36, exec_lo, s36
	s_cbranch_execnz .LBB6_2067
; %bb.1294:                             ;   in Loop: Header=BB6_144 Depth=3
	s_or_saveexec_b32 s36, s36
	v_mov_b32_e32 v8, s35
	s_xor_b32 exec_lo, exec_lo, s36
	s_cbranch_execnz .LBB6_2070
.LBB6_1295:                             ;   in Loop: Header=BB6_144 Depth=3
	s_or_b32 exec_lo, exec_lo, s36
	s_and_saveexec_b32 s35, s13
	s_cbranch_execz .LBB6_1297
.LBB6_1296:                             ;   in Loop: Header=BB6_144 Depth=3
	v_bfe_u32 v8, v11, 24, 2
	s_delay_alu instid0(VALU_DEP_1) | instskip(NEXT) | instid1(VALU_DEP_1)
	v_clz_i32_u32_e32 v9, v8
	v_min_u32_e32 v9, 32, v9
	s_delay_alu instid0(VALU_DEP_1) | instskip(SKIP_1) | instid1(VALU_DEP_2)
	v_subrev_nc_u32_e32 v10, 29, v9
	v_sub_nc_u32_e32 v9, 30, v9
	v_lshlrev_b32_e32 v2, v10, v2
	v_bfe_u32 v10, v11, 26, 5
	s_delay_alu instid0(VALU_DEP_1) | instskip(NEXT) | instid1(VALU_DEP_3)
	v_cmp_eq_u32_e32 vcc_lo, 0, v10
	v_dual_cndmask_b32 v9, v10, v9 :: v_dual_and_b32 v2, 3, v2
	s_delay_alu instid0(VALU_DEP_1) | instskip(SKIP_1) | instid1(VALU_DEP_3)
	v_cndmask_b32_e32 v2, v8, v2, vcc_lo
	v_and_b32_e32 v8, 0x80000000, v11
	v_lshl_add_u32 v9, v9, 23, 0x37800000
	s_delay_alu instid0(VALU_DEP_3) | instskip(NEXT) | instid1(VALU_DEP_1)
	v_lshlrev_b32_e32 v2, 21, v2
	v_or3_b32 v8, v8, v9, v2
.LBB6_1297:                             ;   in Loop: Header=BB6_144 Depth=3
	s_or_b32 exec_lo, exec_lo, s35
	s_delay_alu instid0(VALU_DEP_1) | instskip(SKIP_2) | instid1(VALU_DEP_2)
	v_mul_f32_e32 v2, s34, v8
	v_mov_b32_e32 v120, 0x8000
	s_mov_b32 s35, exec_lo
	v_and_b32_e32 v8, 0x7f800000, v2
	s_delay_alu instid0(VALU_DEP_1)
	v_cmpx_ne_u32_e32 0x7f800000, v8
	s_cbranch_execz .LBB6_1305
; %bb.1298:                             ;   in Loop: Header=BB6_144 Depth=3
	v_mov_b32_e32 v120, 0
	s_mov_b32 s36, exec_lo
	v_cmpx_ne_u32_e32 0, v2
	s_cbranch_execz .LBB6_1304
; %bb.1299:                             ;   in Loop: Header=BB6_144 Depth=3
	v_bfe_u32 v8, v2, 23, 8
	v_and_b32_e32 v9, 0x7fffff, v2
	s_delay_alu instid0(VALU_DEP_2) | instskip(SKIP_1) | instid1(VALU_DEP_3)
	v_sub_nc_u32_e32 v10, 0x70, v8
	v_cmp_gt_u32_e32 vcc_lo, 0x71, v8
	v_or_b32_e32 v11, 0x800000, v9
	s_delay_alu instid0(VALU_DEP_3) | instskip(SKIP_1) | instid1(VALU_DEP_3)
	v_cndmask_b32_e32 v10, 0, v10, vcc_lo
	v_cmp_eq_u32_e32 vcc_lo, 0, v8
	v_dual_cndmask_b32 v9, v11, v9 :: v_dual_add_nc_u32 v8, 0xffffff91, v8
	s_delay_alu instid0(VALU_DEP_3) | instskip(NEXT) | instid1(VALU_DEP_2)
	v_cndmask_b32_e64 v10, v10, 0x6f, vcc_lo
	v_cndmask_b32_e64 v8, v8, 0xffffff92, vcc_lo
	s_delay_alu instid0(VALU_DEP_2) | instskip(SKIP_2) | instid1(VALU_DEP_4)
	v_lshrrev_b32_e32 v26, v10, v9
	v_lshl_add_u32 v11, 0x200000, v10, -1
	v_lshlrev_b32_e64 v37, v10, 0x100000
	v_add_nc_u32_e32 v10, v10, v8
	s_delay_alu instid0(VALU_DEP_4) | instskip(NEXT) | instid1(VALU_DEP_4)
	v_bfe_u32 v27, v26, 21, 1
	v_and_b32_e32 v9, v11, v9
	s_delay_alu instid0(VALU_DEP_2) | instskip(NEXT) | instid1(VALU_DEP_2)
	v_add_nc_u32_e32 v11, -1, v27
	v_cmp_eq_u32_e64 s13, v9, v37
	s_delay_alu instid0(VALU_DEP_1) | instskip(SKIP_2) | instid1(VALU_DEP_2)
	v_cndmask_b32_e64 v9, 0, v11, s13
	v_lshrrev_b32_e32 v11, 23, v26
	s_mov_b32 s13, exec_lo
	v_add_nc_u32_e32 v9, v9, v26
	s_delay_alu instid0(VALU_DEP_2) | instskip(NEXT) | instid1(VALU_DEP_2)
	v_xor_b32_e32 v11, 1, v11
	v_and_b32_e32 v8, 0x1fffff, v9
	s_delay_alu instid0(VALU_DEP_1) | instskip(NEXT) | instid1(VALU_DEP_3)
	v_add_nc_u32_e32 v9, v8, v26
                                        ; implicit-def: $vgpr8
	v_cmpx_ne_u32_e64 v10, v11
	s_xor_b32 s13, exec_lo, s13
; %bb.1300:                             ;   in Loop: Header=BB6_144 Depth=3
	s_delay_alu instid0(VALU_DEP_2) | instskip(SKIP_2) | instid1(VALU_DEP_2)
	v_cmp_lt_u32_e32 vcc_lo, 0xffffff, v9
	v_sub_nc_u32_e32 v8, v10, v11
	v_cndmask_b32_e64 v10, 0, 1, vcc_lo
	v_add_co_ci_u32_e32 v8, vcc_lo, 0, v8, vcc_lo
	s_delay_alu instid0(VALU_DEP_2)
	v_lshrrev_b32_e32 v9, v10, v9
; %bb.1301:                             ;   in Loop: Header=BB6_144 Depth=3
	s_and_not1_saveexec_b32 s13, s13
; %bb.1302:                             ;   in Loop: Header=BB6_144 Depth=3
	s_delay_alu instid0(VALU_DEP_1)
	v_bfe_u32 v8, v9, 23, 1
; %bb.1303:                             ;   in Loop: Header=BB6_144 Depth=3
	s_or_b32 exec_lo, exec_lo, s13
	v_lshrrev_b32_e32 v9, 21, v9
	s_delay_alu instid0(VALU_DEP_2) | instskip(SKIP_3) | instid1(VALU_DEP_3)
	v_cmp_gt_i32_e32 vcc_lo, 32, v8
	v_min_i32_e32 v10, 31, v8
	v_lshrrev_b32_e32 v2, 24, v2
	v_mov_b32_e32 v51, v128
	v_dual_cndmask_b32 v9, 3, v9 :: v_dual_lshlrev_b32 v10, 2, v10
	s_delay_alu instid0(VALU_DEP_3) | instskip(NEXT) | instid1(VALU_DEP_2)
	v_and_b32_e32 v2, 0x80, v2
	v_or_b32_e32 v8, v8, v9
	s_delay_alu instid0(VALU_DEP_3) | instskip(NEXT) | instid1(VALU_DEP_2)
	v_and_b32_e32 v10, 0xfc, v10
	v_cmp_ne_u32_e32 vcc_lo, 0, v8
	v_and_b32_e32 v11, 3, v9
	s_delay_alu instid0(VALU_DEP_1) | instskip(NEXT) | instid1(VALU_DEP_1)
	v_or3_b32 v2, v2, v10, v11
	v_lshlrev_b32_e32 v2, 8, v2
	s_delay_alu instid0(VALU_DEP_1)
	v_cndmask_b32_e32 v120, 0, v2, vcc_lo
.LBB6_1304:                             ;   in Loop: Header=BB6_144 Depth=3
	s_or_b32 exec_lo, exec_lo, s36
.LBB6_1305:                             ;   in Loop: Header=BB6_144 Depth=3
	s_delay_alu instid0(SALU_CYCLE_1)
	s_or_b32 exec_lo, exec_lo, s35
	global_load_b128 v[8:11], v[20:21], off offset:3072 slc dlc
	s_mov_b32 s13, 0
	s_mov_b32 s36, exec_lo
                                        ; implicit-def: $sgpr35
	s_waitcnt vmcnt(0)
	v_and_b32_e32 v26, 0xff, v8
	s_delay_alu instid0(VALU_DEP_1)
	v_cmpx_lt_i16_e32 0x7f, v26
	s_xor_b32 s36, exec_lo, s36
	s_cbranch_execnz .LBB6_2071
; %bb.1306:                             ;   in Loop: Header=BB6_144 Depth=3
	s_or_saveexec_b32 s36, s36
	v_mov_b32_e32 v2, s35
	s_xor_b32 exec_lo, exec_lo, s36
	s_cbranch_execnz .LBB6_2074
.LBB6_1307:                             ;   in Loop: Header=BB6_144 Depth=3
	s_or_b32 exec_lo, exec_lo, s36
	s_and_saveexec_b32 s35, s13
	s_cbranch_execz .LBB6_1309
.LBB6_1308:                             ;   in Loop: Header=BB6_144 Depth=3
	v_and_b32_e32 v2, 3, v8
	v_bfe_u32 v37, v8, 2, 5
	s_delay_alu instid0(VALU_DEP_2) | instskip(NEXT) | instid1(VALU_DEP_2)
	v_clz_i32_u32_e32 v26, v2
	v_cmp_eq_u32_e32 vcc_lo, 0, v37
	s_delay_alu instid0(VALU_DEP_2) | instskip(NEXT) | instid1(VALU_DEP_1)
	v_min_u32_e32 v26, 32, v26
	v_subrev_nc_u32_e32 v27, 29, v26
	v_sub_nc_u32_e32 v26, 30, v26
	s_delay_alu instid0(VALU_DEP_1) | instskip(NEXT) | instid1(VALU_DEP_1)
	v_dual_cndmask_b32 v26, v37, v26 :: v_dual_lshlrev_b32 v27, v27, v8
	v_and_b32_e32 v27, 3, v27
	v_lshlrev_b32_e32 v39, 24, v8
	s_delay_alu instid0(VALU_DEP_3) | instskip(NEXT) | instid1(VALU_DEP_3)
	v_lshl_add_u32 v26, v26, 23, 0x37800000
	v_cndmask_b32_e32 v2, v2, v27, vcc_lo
	s_delay_alu instid0(VALU_DEP_3) | instskip(NEXT) | instid1(VALU_DEP_2)
	v_and_b32_e32 v27, 0x80000000, v39
	v_lshlrev_b32_e32 v2, 21, v2
	s_delay_alu instid0(VALU_DEP_1)
	v_or3_b32 v2, v27, v26, v2
.LBB6_1309:                             ;   in Loop: Header=BB6_144 Depth=3
	s_or_b32 exec_lo, exec_lo, s35
	s_delay_alu instid0(VALU_DEP_1) | instskip(SKIP_2) | instid1(VALU_DEP_2)
	v_mul_f32_e32 v2, s34, v2
	v_mov_b32_e32 v110, 0x80
	s_mov_b32 s35, exec_lo
	v_and_b32_e32 v26, 0x7f800000, v2
	s_delay_alu instid0(VALU_DEP_1)
	v_cmpx_ne_u32_e32 0x7f800000, v26
	s_cbranch_execz .LBB6_1317
; %bb.1310:                             ;   in Loop: Header=BB6_144 Depth=3
	v_mov_b32_e32 v110, 0
	s_mov_b32 s36, exec_lo
	v_cmpx_ne_u32_e32 0, v2
	s_cbranch_execz .LBB6_1316
; %bb.1311:                             ;   in Loop: Header=BB6_144 Depth=3
	v_bfe_u32 v26, v2, 23, 8
	v_and_b32_e32 v27, 0x7fffff, v2
	s_delay_alu instid0(VALU_DEP_2) | instskip(SKIP_1) | instid1(VALU_DEP_3)
	v_sub_nc_u32_e32 v37, 0x70, v26
	v_cmp_gt_u32_e32 vcc_lo, 0x71, v26
	v_or_b32_e32 v39, 0x800000, v27
	s_delay_alu instid0(VALU_DEP_3) | instskip(SKIP_2) | instid1(VALU_DEP_3)
	v_cndmask_b32_e32 v37, 0, v37, vcc_lo
	v_cmp_eq_u32_e32 vcc_lo, 0, v26
	v_add_nc_u32_e32 v26, 0xffffff91, v26
	v_cndmask_b32_e64 v37, v37, 0x6f, vcc_lo
	v_cndmask_b32_e32 v27, v39, v27, vcc_lo
	s_delay_alu instid0(VALU_DEP_3) | instskip(NEXT) | instid1(VALU_DEP_3)
	v_cndmask_b32_e64 v26, v26, 0xffffff92, vcc_lo
	v_lshl_add_u32 v39, 0x200000, v37, -1
	s_delay_alu instid0(VALU_DEP_3) | instskip(SKIP_1) | instid1(VALU_DEP_4)
	v_lshrrev_b32_e32 v48, v37, v27
	v_lshlrev_b32_e64 v53, v37, 0x100000
	v_add_nc_u32_e32 v37, v37, v26
	s_delay_alu instid0(VALU_DEP_4) | instskip(NEXT) | instid1(VALU_DEP_4)
	v_and_b32_e32 v27, v39, v27
	v_bfe_u32 v49, v48, 21, 1
	s_delay_alu instid0(VALU_DEP_2) | instskip(NEXT) | instid1(VALU_DEP_2)
	v_cmp_eq_u32_e64 s13, v27, v53
	v_add_nc_u32_e32 v39, -1, v49
	s_delay_alu instid0(VALU_DEP_1) | instskip(SKIP_2) | instid1(VALU_DEP_2)
	v_cndmask_b32_e64 v27, 0, v39, s13
	v_lshrrev_b32_e32 v39, 23, v48
	s_mov_b32 s13, exec_lo
	v_add_nc_u32_e32 v27, v27, v48
	s_delay_alu instid0(VALU_DEP_2) | instskip(NEXT) | instid1(VALU_DEP_2)
	v_xor_b32_e32 v39, 1, v39
	v_and_b32_e32 v26, 0x1fffff, v27
	s_delay_alu instid0(VALU_DEP_1) | instskip(NEXT) | instid1(VALU_DEP_3)
	v_add_nc_u32_e32 v27, v26, v48
                                        ; implicit-def: $vgpr26
	v_cmpx_ne_u32_e64 v37, v39
	s_xor_b32 s13, exec_lo, s13
; %bb.1312:                             ;   in Loop: Header=BB6_144 Depth=3
	s_delay_alu instid0(VALU_DEP_2) | instskip(SKIP_2) | instid1(VALU_DEP_2)
	v_cmp_lt_u32_e32 vcc_lo, 0xffffff, v27
	v_sub_nc_u32_e32 v26, v37, v39
	v_cndmask_b32_e64 v37, 0, 1, vcc_lo
	v_add_co_ci_u32_e32 v26, vcc_lo, 0, v26, vcc_lo
	s_delay_alu instid0(VALU_DEP_2)
	v_lshrrev_b32_e32 v27, v37, v27
; %bb.1313:                             ;   in Loop: Header=BB6_144 Depth=3
	s_and_not1_saveexec_b32 s13, s13
; %bb.1314:                             ;   in Loop: Header=BB6_144 Depth=3
	s_delay_alu instid0(VALU_DEP_1)
	v_bfe_u32 v26, v27, 23, 1
; %bb.1315:                             ;   in Loop: Header=BB6_144 Depth=3
	s_or_b32 exec_lo, exec_lo, s13
	v_lshrrev_b32_e32 v27, 21, v27
	s_delay_alu instid0(VALU_DEP_2) | instskip(SKIP_3) | instid1(VALU_DEP_3)
	v_cmp_gt_i32_e32 vcc_lo, 32, v26
	v_lshrrev_b32_e32 v2, 24, v2
	v_min_i32_e32 v37, 31, v26
	v_mov_b32_e32 v51, v128
	v_dual_cndmask_b32 v27, 3, v27 :: v_dual_and_b32 v2, 0x80, v2
	s_delay_alu instid0(VALU_DEP_3) | instskip(NEXT) | instid1(VALU_DEP_2)
	v_lshlrev_b32_e32 v37, 2, v37
	v_or_b32_e32 v26, v26, v27
	s_delay_alu instid0(VALU_DEP_1) | instskip(SKIP_1) | instid1(VALU_DEP_1)
	v_cmp_ne_u32_e32 vcc_lo, 0, v26
	v_and_b32_e32 v39, 3, v27
	v_or3_b32 v2, v37, v2, v39
	s_delay_alu instid0(VALU_DEP_1)
	v_cndmask_b32_e32 v110, 0, v2, vcc_lo
.LBB6_1316:                             ;   in Loop: Header=BB6_144 Depth=3
	s_or_b32 exec_lo, exec_lo, s36
.LBB6_1317:                             ;   in Loop: Header=BB6_144 Depth=3
	s_delay_alu instid0(SALU_CYCLE_1) | instskip(SKIP_3) | instid1(VALU_DEP_1)
	s_or_b32 exec_lo, exec_lo, s35
	v_lshrrev_b16 v2, 8, v8
	s_mov_b32 s13, 0
	s_mov_b32 s36, exec_lo
                                        ; implicit-def: $sgpr35
	v_cmpx_lt_i16_e32 0x7f, v2
	s_xor_b32 s36, exec_lo, s36
	s_cbranch_execnz .LBB6_2075
; %bb.1318:                             ;   in Loop: Header=BB6_144 Depth=3
	s_or_saveexec_b32 s36, s36
	v_mov_b32_e32 v26, s35
	s_xor_b32 exec_lo, exec_lo, s36
	s_cbranch_execnz .LBB6_2078
.LBB6_1319:                             ;   in Loop: Header=BB6_144 Depth=3
	s_or_b32 exec_lo, exec_lo, s36
	s_and_saveexec_b32 s35, s13
	s_cbranch_execz .LBB6_1321
.LBB6_1320:                             ;   in Loop: Header=BB6_144 Depth=3
	v_and_b32_e32 v26, 0xffff, v2
	v_lshlrev_b32_e32 v2, 24, v2
	s_delay_alu instid0(VALU_DEP_2) | instskip(NEXT) | instid1(VALU_DEP_2)
	v_and_b32_e32 v27, 3, v26
	v_and_b32_e32 v2, 0x80000000, v2
	s_delay_alu instid0(VALU_DEP_2) | instskip(NEXT) | instid1(VALU_DEP_1)
	v_clz_i32_u32_e32 v37, v27
	v_min_u32_e32 v37, 32, v37
	s_delay_alu instid0(VALU_DEP_1) | instskip(SKIP_1) | instid1(VALU_DEP_2)
	v_subrev_nc_u32_e32 v39, 29, v37
	v_sub_nc_u32_e32 v37, 30, v37
	v_lshlrev_b32_e32 v39, v39, v26
	v_bfe_u32 v26, v26, 2, 5
	s_delay_alu instid0(VALU_DEP_2) | instskip(NEXT) | instid1(VALU_DEP_2)
	v_and_b32_e32 v39, 3, v39
	v_cmp_eq_u32_e32 vcc_lo, 0, v26
	s_delay_alu instid0(VALU_DEP_2) | instskip(NEXT) | instid1(VALU_DEP_1)
	v_dual_cndmask_b32 v26, v26, v37 :: v_dual_cndmask_b32 v27, v27, v39
	v_lshl_add_u32 v26, v26, 23, 0x37800000
	s_delay_alu instid0(VALU_DEP_2) | instskip(NEXT) | instid1(VALU_DEP_1)
	v_lshlrev_b32_e32 v27, 21, v27
	v_or3_b32 v26, v2, v26, v27
.LBB6_1321:                             ;   in Loop: Header=BB6_144 Depth=3
	s_or_b32 exec_lo, exec_lo, s35
	s_delay_alu instid0(VALU_DEP_1) | instskip(SKIP_1) | instid1(VALU_DEP_1)
	v_dual_mul_f32 v2, s34, v26 :: v_dual_mov_b32 v121, 0x80
	s_mov_b32 s35, exec_lo
	v_and_b32_e32 v26, 0x7f800000, v2
	s_delay_alu instid0(VALU_DEP_1)
	v_cmpx_ne_u32_e32 0x7f800000, v26
	s_cbranch_execz .LBB6_1329
; %bb.1322:                             ;   in Loop: Header=BB6_144 Depth=3
	v_mov_b32_e32 v121, 0
	s_mov_b32 s36, exec_lo
	v_cmpx_ne_u32_e32 0, v2
	s_cbranch_execz .LBB6_1328
; %bb.1323:                             ;   in Loop: Header=BB6_144 Depth=3
	v_bfe_u32 v26, v2, 23, 8
	v_and_b32_e32 v27, 0x7fffff, v2
	s_delay_alu instid0(VALU_DEP_2) | instskip(SKIP_1) | instid1(VALU_DEP_3)
	v_sub_nc_u32_e32 v37, 0x70, v26
	v_cmp_gt_u32_e32 vcc_lo, 0x71, v26
	v_or_b32_e32 v39, 0x800000, v27
	s_delay_alu instid0(VALU_DEP_3) | instskip(SKIP_2) | instid1(VALU_DEP_3)
	v_cndmask_b32_e32 v37, 0, v37, vcc_lo
	v_cmp_eq_u32_e32 vcc_lo, 0, v26
	v_add_nc_u32_e32 v26, 0xffffff91, v26
	v_cndmask_b32_e64 v37, v37, 0x6f, vcc_lo
	v_cndmask_b32_e32 v27, v39, v27, vcc_lo
	s_delay_alu instid0(VALU_DEP_3) | instskip(NEXT) | instid1(VALU_DEP_3)
	v_cndmask_b32_e64 v26, v26, 0xffffff92, vcc_lo
	v_lshl_add_u32 v39, 0x200000, v37, -1
	s_delay_alu instid0(VALU_DEP_3) | instskip(SKIP_1) | instid1(VALU_DEP_4)
	v_lshrrev_b32_e32 v48, v37, v27
	v_lshlrev_b32_e64 v53, v37, 0x100000
	v_add_nc_u32_e32 v37, v37, v26
	s_delay_alu instid0(VALU_DEP_4) | instskip(NEXT) | instid1(VALU_DEP_4)
	v_and_b32_e32 v27, v39, v27
	v_bfe_u32 v49, v48, 21, 1
	s_delay_alu instid0(VALU_DEP_2) | instskip(NEXT) | instid1(VALU_DEP_2)
	v_cmp_eq_u32_e64 s13, v27, v53
	v_add_nc_u32_e32 v39, -1, v49
	s_delay_alu instid0(VALU_DEP_1) | instskip(SKIP_2) | instid1(VALU_DEP_2)
	v_cndmask_b32_e64 v27, 0, v39, s13
	v_lshrrev_b32_e32 v39, 23, v48
	s_mov_b32 s13, exec_lo
	v_add_nc_u32_e32 v27, v27, v48
	s_delay_alu instid0(VALU_DEP_2) | instskip(NEXT) | instid1(VALU_DEP_2)
	v_xor_b32_e32 v39, 1, v39
	v_and_b32_e32 v26, 0x1fffff, v27
	s_delay_alu instid0(VALU_DEP_1) | instskip(NEXT) | instid1(VALU_DEP_3)
	v_add_nc_u32_e32 v27, v26, v48
                                        ; implicit-def: $vgpr26
	v_cmpx_ne_u32_e64 v37, v39
	s_xor_b32 s13, exec_lo, s13
; %bb.1324:                             ;   in Loop: Header=BB6_144 Depth=3
	s_delay_alu instid0(VALU_DEP_2) | instskip(SKIP_2) | instid1(VALU_DEP_2)
	v_cmp_lt_u32_e32 vcc_lo, 0xffffff, v27
	v_sub_nc_u32_e32 v26, v37, v39
	v_cndmask_b32_e64 v37, 0, 1, vcc_lo
	v_add_co_ci_u32_e32 v26, vcc_lo, 0, v26, vcc_lo
	s_delay_alu instid0(VALU_DEP_2)
	v_lshrrev_b32_e32 v27, v37, v27
; %bb.1325:                             ;   in Loop: Header=BB6_144 Depth=3
	s_and_not1_saveexec_b32 s13, s13
; %bb.1326:                             ;   in Loop: Header=BB6_144 Depth=3
	s_delay_alu instid0(VALU_DEP_1)
	v_bfe_u32 v26, v27, 23, 1
; %bb.1327:                             ;   in Loop: Header=BB6_144 Depth=3
	s_or_b32 exec_lo, exec_lo, s13
	v_lshrrev_b32_e32 v27, 21, v27
	s_delay_alu instid0(VALU_DEP_2) | instskip(SKIP_3) | instid1(VALU_DEP_3)
	v_cmp_gt_i32_e32 vcc_lo, 32, v26
	v_lshrrev_b32_e32 v2, 24, v2
	v_min_i32_e32 v37, 31, v26
	v_mov_b32_e32 v51, v128
	v_dual_cndmask_b32 v27, 3, v27 :: v_dual_and_b32 v2, 0x80, v2
	s_delay_alu instid0(VALU_DEP_3) | instskip(NEXT) | instid1(VALU_DEP_2)
	v_lshlrev_b32_e32 v37, 2, v37
	v_and_b32_e32 v39, 3, v27
	v_or_b32_e32 v26, v26, v27
	s_delay_alu instid0(VALU_DEP_2) | instskip(NEXT) | instid1(VALU_DEP_2)
	v_or3_b32 v2, v37, v2, v39
	v_cmp_ne_u32_e32 vcc_lo, 0, v26
	s_delay_alu instid0(VALU_DEP_2)
	v_cndmask_b32_e32 v121, 0, v2, vcc_lo
.LBB6_1328:                             ;   in Loop: Header=BB6_144 Depth=3
	s_or_b32 exec_lo, exec_lo, s36
.LBB6_1329:                             ;   in Loop: Header=BB6_144 Depth=3
	s_delay_alu instid0(SALU_CYCLE_1) | instskip(SKIP_3) | instid1(VALU_DEP_1)
	s_or_b32 exec_lo, exec_lo, s35
	v_lshrrev_b32_e32 v2, 16, v8
	s_mov_b32 s13, 0
	s_mov_b32 s36, exec_lo
                                        ; implicit-def: $sgpr35
	v_and_b32_e32 v27, 0xff, v2
	s_delay_alu instid0(VALU_DEP_1)
	v_cmpx_lt_i16_e32 0x7f, v27
	s_xor_b32 s36, exec_lo, s36
	s_cbranch_execnz .LBB6_2079
; %bb.1330:                             ;   in Loop: Header=BB6_144 Depth=3
	s_or_saveexec_b32 s36, s36
	v_mov_b32_e32 v26, s35
	s_xor_b32 exec_lo, exec_lo, s36
	s_cbranch_execnz .LBB6_2082
.LBB6_1331:                             ;   in Loop: Header=BB6_144 Depth=3
	s_or_b32 exec_lo, exec_lo, s36
	s_and_saveexec_b32 s35, s13
	s_cbranch_execz .LBB6_1333
.LBB6_1332:                             ;   in Loop: Header=BB6_144 Depth=3
	v_bfe_u32 v26, v8, 16, 2
	s_delay_alu instid0(VALU_DEP_1) | instskip(NEXT) | instid1(VALU_DEP_1)
	v_clz_i32_u32_e32 v27, v26
	v_min_u32_e32 v27, 32, v27
	s_delay_alu instid0(VALU_DEP_1) | instskip(SKIP_1) | instid1(VALU_DEP_2)
	v_subrev_nc_u32_e32 v37, 29, v27
	v_sub_nc_u32_e32 v27, 30, v27
	v_lshlrev_b32_e32 v2, v37, v2
	v_bfe_u32 v37, v8, 18, 5
	s_delay_alu instid0(VALU_DEP_1) | instskip(NEXT) | instid1(VALU_DEP_3)
	v_cmp_eq_u32_e32 vcc_lo, 0, v37
	v_dual_cndmask_b32 v27, v37, v27 :: v_dual_and_b32 v2, 3, v2
	s_delay_alu instid0(VALU_DEP_1) | instskip(NEXT) | instid1(VALU_DEP_2)
	v_dual_cndmask_b32 v2, v26, v2 :: v_dual_lshlrev_b32 v39, 8, v8
	v_lshl_add_u32 v27, v27, 23, 0x37800000
	s_delay_alu instid0(VALU_DEP_2) | instskip(NEXT) | instid1(VALU_DEP_3)
	v_and_b32_e32 v26, 0x80000000, v39
	v_lshlrev_b32_e32 v2, 21, v2
	s_delay_alu instid0(VALU_DEP_1)
	v_or3_b32 v26, v26, v27, v2
.LBB6_1333:                             ;   in Loop: Header=BB6_144 Depth=3
	s_or_b32 exec_lo, exec_lo, s35
	s_delay_alu instid0(VALU_DEP_1) | instskip(SKIP_2) | instid1(VALU_DEP_2)
	v_mul_f32_e32 v2, s34, v26
	v_mov_b32_e32 v122, 0x80
	s_mov_b32 s35, exec_lo
	v_and_b32_e32 v26, 0x7f800000, v2
	s_delay_alu instid0(VALU_DEP_1)
	v_cmpx_ne_u32_e32 0x7f800000, v26
	s_cbranch_execz .LBB6_1341
; %bb.1334:                             ;   in Loop: Header=BB6_144 Depth=3
	v_mov_b32_e32 v122, 0
	s_mov_b32 s36, exec_lo
	v_cmpx_ne_u32_e32 0, v2
	s_cbranch_execz .LBB6_1340
; %bb.1335:                             ;   in Loop: Header=BB6_144 Depth=3
	v_bfe_u32 v26, v2, 23, 8
	v_and_b32_e32 v27, 0x7fffff, v2
	s_delay_alu instid0(VALU_DEP_2) | instskip(SKIP_1) | instid1(VALU_DEP_3)
	v_sub_nc_u32_e32 v37, 0x70, v26
	v_cmp_gt_u32_e32 vcc_lo, 0x71, v26
	v_or_b32_e32 v39, 0x800000, v27
	s_delay_alu instid0(VALU_DEP_3) | instskip(SKIP_2) | instid1(VALU_DEP_3)
	v_cndmask_b32_e32 v37, 0, v37, vcc_lo
	v_cmp_eq_u32_e32 vcc_lo, 0, v26
	v_add_nc_u32_e32 v26, 0xffffff91, v26
	v_cndmask_b32_e64 v37, v37, 0x6f, vcc_lo
	v_cndmask_b32_e32 v27, v39, v27, vcc_lo
	s_delay_alu instid0(VALU_DEP_3) | instskip(NEXT) | instid1(VALU_DEP_3)
	v_cndmask_b32_e64 v26, v26, 0xffffff92, vcc_lo
	v_lshl_add_u32 v39, 0x200000, v37, -1
	s_delay_alu instid0(VALU_DEP_3) | instskip(SKIP_1) | instid1(VALU_DEP_4)
	v_lshrrev_b32_e32 v48, v37, v27
	v_lshlrev_b32_e64 v53, v37, 0x100000
	v_add_nc_u32_e32 v37, v37, v26
	s_delay_alu instid0(VALU_DEP_4) | instskip(NEXT) | instid1(VALU_DEP_4)
	v_and_b32_e32 v27, v39, v27
	v_bfe_u32 v49, v48, 21, 1
	s_delay_alu instid0(VALU_DEP_2) | instskip(NEXT) | instid1(VALU_DEP_2)
	v_cmp_eq_u32_e64 s13, v27, v53
	v_add_nc_u32_e32 v39, -1, v49
	s_delay_alu instid0(VALU_DEP_1) | instskip(SKIP_2) | instid1(VALU_DEP_2)
	v_cndmask_b32_e64 v27, 0, v39, s13
	v_lshrrev_b32_e32 v39, 23, v48
	s_mov_b32 s13, exec_lo
	v_add_nc_u32_e32 v27, v27, v48
	s_delay_alu instid0(VALU_DEP_2) | instskip(NEXT) | instid1(VALU_DEP_2)
	v_xor_b32_e32 v39, 1, v39
	v_and_b32_e32 v26, 0x1fffff, v27
	s_delay_alu instid0(VALU_DEP_1) | instskip(NEXT) | instid1(VALU_DEP_3)
	v_add_nc_u32_e32 v27, v26, v48
                                        ; implicit-def: $vgpr26
	v_cmpx_ne_u32_e64 v37, v39
	s_xor_b32 s13, exec_lo, s13
; %bb.1336:                             ;   in Loop: Header=BB6_144 Depth=3
	s_delay_alu instid0(VALU_DEP_2) | instskip(SKIP_2) | instid1(VALU_DEP_2)
	v_cmp_lt_u32_e32 vcc_lo, 0xffffff, v27
	v_sub_nc_u32_e32 v26, v37, v39
	v_cndmask_b32_e64 v37, 0, 1, vcc_lo
	v_add_co_ci_u32_e32 v26, vcc_lo, 0, v26, vcc_lo
	s_delay_alu instid0(VALU_DEP_2)
	v_lshrrev_b32_e32 v27, v37, v27
; %bb.1337:                             ;   in Loop: Header=BB6_144 Depth=3
	s_and_not1_saveexec_b32 s13, s13
; %bb.1338:                             ;   in Loop: Header=BB6_144 Depth=3
	s_delay_alu instid0(VALU_DEP_1)
	v_bfe_u32 v26, v27, 23, 1
; %bb.1339:                             ;   in Loop: Header=BB6_144 Depth=3
	s_or_b32 exec_lo, exec_lo, s13
	v_lshrrev_b32_e32 v27, 21, v27
	s_delay_alu instid0(VALU_DEP_2) | instskip(SKIP_3) | instid1(VALU_DEP_3)
	v_cmp_gt_i32_e32 vcc_lo, 32, v26
	v_lshrrev_b32_e32 v2, 24, v2
	v_min_i32_e32 v37, 31, v26
	v_mov_b32_e32 v51, v128
	v_dual_cndmask_b32 v27, 3, v27 :: v_dual_and_b32 v2, 0x80, v2
	s_delay_alu instid0(VALU_DEP_3) | instskip(NEXT) | instid1(VALU_DEP_2)
	v_lshlrev_b32_e32 v37, 2, v37
	v_or_b32_e32 v26, v26, v27
	s_delay_alu instid0(VALU_DEP_1) | instskip(SKIP_1) | instid1(VALU_DEP_1)
	v_cmp_ne_u32_e32 vcc_lo, 0, v26
	v_and_b32_e32 v39, 3, v27
	v_or3_b32 v2, v37, v2, v39
	s_delay_alu instid0(VALU_DEP_1)
	v_cndmask_b32_e32 v122, 0, v2, vcc_lo
.LBB6_1340:                             ;   in Loop: Header=BB6_144 Depth=3
	s_or_b32 exec_lo, exec_lo, s36
.LBB6_1341:                             ;   in Loop: Header=BB6_144 Depth=3
	s_delay_alu instid0(SALU_CYCLE_1) | instskip(SKIP_3) | instid1(VALU_DEP_1)
	s_or_b32 exec_lo, exec_lo, s35
	v_lshrrev_b32_e32 v2, 24, v8
	s_mov_b32 s13, 0
	s_mov_b32 s36, exec_lo
                                        ; implicit-def: $sgpr35
	v_cmpx_lt_i16_e32 0x7f, v2
	s_xor_b32 s36, exec_lo, s36
	s_cbranch_execnz .LBB6_2083
; %bb.1342:                             ;   in Loop: Header=BB6_144 Depth=3
	s_or_saveexec_b32 s36, s36
	v_mov_b32_e32 v26, s35
	s_xor_b32 exec_lo, exec_lo, s36
	s_cbranch_execnz .LBB6_2086
.LBB6_1343:                             ;   in Loop: Header=BB6_144 Depth=3
	s_or_b32 exec_lo, exec_lo, s36
	s_and_saveexec_b32 s35, s13
	s_cbranch_execz .LBB6_1345
.LBB6_1344:                             ;   in Loop: Header=BB6_144 Depth=3
	v_bfe_u32 v26, v8, 24, 2
	s_delay_alu instid0(VALU_DEP_1) | instskip(NEXT) | instid1(VALU_DEP_1)
	v_clz_i32_u32_e32 v27, v26
	v_min_u32_e32 v27, 32, v27
	s_delay_alu instid0(VALU_DEP_1) | instskip(SKIP_1) | instid1(VALU_DEP_2)
	v_subrev_nc_u32_e32 v37, 29, v27
	v_sub_nc_u32_e32 v27, 30, v27
	v_lshlrev_b32_e32 v2, v37, v2
	v_bfe_u32 v37, v8, 26, 5
	v_and_b32_e32 v8, 0x80000000, v8
	s_delay_alu instid0(VALU_DEP_2) | instskip(NEXT) | instid1(VALU_DEP_4)
	v_cmp_eq_u32_e32 vcc_lo, 0, v37
	v_dual_cndmask_b32 v27, v37, v27 :: v_dual_and_b32 v2, 3, v2
	s_delay_alu instid0(VALU_DEP_1) | instskip(NEXT) | instid1(VALU_DEP_2)
	v_cndmask_b32_e32 v2, v26, v2, vcc_lo
	v_lshl_add_u32 v26, v27, 23, 0x37800000
	s_delay_alu instid0(VALU_DEP_2) | instskip(NEXT) | instid1(VALU_DEP_1)
	v_lshlrev_b32_e32 v2, 21, v2
	v_or3_b32 v26, v8, v26, v2
.LBB6_1345:                             ;   in Loop: Header=BB6_144 Depth=3
	s_or_b32 exec_lo, exec_lo, s35
	s_delay_alu instid0(VALU_DEP_1) | instskip(SKIP_2) | instid1(VALU_DEP_2)
	v_mul_f32_e32 v2, s34, v26
	v_mov_b32_e32 v26, 0x80
	s_mov_b32 s35, exec_lo
	v_and_b32_e32 v8, 0x7f800000, v2
	s_delay_alu instid0(VALU_DEP_1)
	v_cmpx_ne_u32_e32 0x7f800000, v8
	s_cbranch_execz .LBB6_1353
; %bb.1346:                             ;   in Loop: Header=BB6_144 Depth=3
	v_mov_b32_e32 v26, 0
	s_mov_b32 s36, exec_lo
	v_cmpx_ne_u32_e32 0, v2
	s_cbranch_execz .LBB6_1352
; %bb.1347:                             ;   in Loop: Header=BB6_144 Depth=3
	v_bfe_u32 v8, v2, 23, 8
	s_delay_alu instid0(VALU_DEP_1) | instskip(SKIP_1) | instid1(VALU_DEP_2)
	v_sub_nc_u32_e32 v27, 0x70, v8
	v_cmp_gt_u32_e32 vcc_lo, 0x71, v8
	v_dual_cndmask_b32 v27, 0, v27 :: v_dual_and_b32 v26, 0x7fffff, v2
	s_delay_alu instid0(VALU_DEP_1) | instskip(SKIP_2) | instid1(VALU_DEP_4)
	v_or_b32_e32 v37, 0x800000, v26
	v_cmp_eq_u32_e32 vcc_lo, 0, v8
	v_add_nc_u32_e32 v8, 0xffffff91, v8
	v_cndmask_b32_e64 v27, v27, 0x6f, vcc_lo
	s_delay_alu instid0(VALU_DEP_4) | instskip(NEXT) | instid1(VALU_DEP_3)
	v_cndmask_b32_e32 v26, v37, v26, vcc_lo
	v_cndmask_b32_e64 v8, v8, 0xffffff92, vcc_lo
	s_delay_alu instid0(VALU_DEP_3) | instskip(NEXT) | instid1(VALU_DEP_3)
	v_lshl_add_u32 v37, 0x200000, v27, -1
	v_lshrrev_b32_e32 v39, v27, v26
	v_lshlrev_b32_e64 v49, v27, 0x100000
	s_delay_alu instid0(VALU_DEP_4) | instskip(NEXT) | instid1(VALU_DEP_4)
	v_add_nc_u32_e32 v27, v27, v8
	v_and_b32_e32 v26, v37, v26
	s_delay_alu instid0(VALU_DEP_4) | instskip(NEXT) | instid1(VALU_DEP_2)
	v_bfe_u32 v48, v39, 21, 1
	v_cmp_eq_u32_e64 s13, v26, v49
	s_delay_alu instid0(VALU_DEP_2) | instskip(NEXT) | instid1(VALU_DEP_1)
	v_add_nc_u32_e32 v37, -1, v48
	v_cndmask_b32_e64 v26, 0, v37, s13
	v_lshrrev_b32_e32 v37, 23, v39
	s_mov_b32 s13, exec_lo
	s_delay_alu instid0(VALU_DEP_2) | instskip(NEXT) | instid1(VALU_DEP_2)
	v_add_nc_u32_e32 v26, v26, v39
	v_xor_b32_e32 v37, 1, v37
	s_delay_alu instid0(VALU_DEP_2) | instskip(NEXT) | instid1(VALU_DEP_1)
	v_and_b32_e32 v8, 0x1fffff, v26
	v_add_nc_u32_e32 v26, v8, v39
                                        ; implicit-def: $vgpr8
	s_delay_alu instid0(VALU_DEP_3)
	v_cmpx_ne_u32_e64 v27, v37
	s_xor_b32 s13, exec_lo, s13
; %bb.1348:                             ;   in Loop: Header=BB6_144 Depth=3
	s_delay_alu instid0(VALU_DEP_2) | instskip(SKIP_2) | instid1(VALU_DEP_2)
	v_cmp_lt_u32_e32 vcc_lo, 0xffffff, v26
	v_sub_nc_u32_e32 v8, v27, v37
	v_cndmask_b32_e64 v27, 0, 1, vcc_lo
	v_add_co_ci_u32_e32 v8, vcc_lo, 0, v8, vcc_lo
	s_delay_alu instid0(VALU_DEP_2)
	v_lshrrev_b32_e32 v26, v27, v26
; %bb.1349:                             ;   in Loop: Header=BB6_144 Depth=3
	s_and_not1_saveexec_b32 s13, s13
; %bb.1350:                             ;   in Loop: Header=BB6_144 Depth=3
	s_delay_alu instid0(VALU_DEP_1)
	v_bfe_u32 v8, v26, 23, 1
; %bb.1351:                             ;   in Loop: Header=BB6_144 Depth=3
	s_or_b32 exec_lo, exec_lo, s13
	v_lshrrev_b32_e32 v26, 21, v26
	s_delay_alu instid0(VALU_DEP_2) | instskip(SKIP_2) | instid1(VALU_DEP_4)
	v_cmp_gt_i32_e32 vcc_lo, 32, v8
	v_lshrrev_b32_e32 v2, 24, v2
	v_min_i32_e32 v27, 31, v8
	v_dual_mov_b32 v51, v128 :: v_dual_cndmask_b32 v26, 3, v26
	s_delay_alu instid0(VALU_DEP_3) | instskip(NEXT) | instid1(VALU_DEP_3)
	v_and_b32_e32 v2, 0x80, v2
	v_lshlrev_b32_e32 v27, 2, v27
	s_delay_alu instid0(VALU_DEP_3) | instskip(SKIP_1) | instid1(VALU_DEP_2)
	v_and_b32_e32 v37, 3, v26
	v_or_b32_e32 v8, v8, v26
	v_or3_b32 v2, v27, v2, v37
	s_delay_alu instid0(VALU_DEP_2) | instskip(NEXT) | instid1(VALU_DEP_2)
	v_cmp_ne_u32_e32 vcc_lo, 0, v8
	v_cndmask_b32_e32 v26, 0, v2, vcc_lo
.LBB6_1352:                             ;   in Loop: Header=BB6_144 Depth=3
	s_or_b32 exec_lo, exec_lo, s36
.LBB6_1353:                             ;   in Loop: Header=BB6_144 Depth=3
	s_delay_alu instid0(SALU_CYCLE_1) | instskip(SKIP_3) | instid1(VALU_DEP_1)
	s_or_b32 exec_lo, exec_lo, s35
	v_and_b32_e32 v8, 0xff, v9
	s_mov_b32 s13, 0
	s_mov_b32 s36, exec_lo
                                        ; implicit-def: $sgpr35
	v_cmpx_lt_i16_e32 0x7f, v8
	s_xor_b32 s36, exec_lo, s36
	s_cbranch_execnz .LBB6_2087
; %bb.1354:                             ;   in Loop: Header=BB6_144 Depth=3
	s_or_saveexec_b32 s36, s36
	v_mov_b32_e32 v2, s35
	s_xor_b32 exec_lo, exec_lo, s36
	s_cbranch_execnz .LBB6_2090
.LBB6_1355:                             ;   in Loop: Header=BB6_144 Depth=3
	s_or_b32 exec_lo, exec_lo, s36
	s_and_saveexec_b32 s35, s13
	s_cbranch_execz .LBB6_1357
.LBB6_1356:                             ;   in Loop: Header=BB6_144 Depth=3
	v_and_b32_e32 v2, 3, v9
	v_bfe_u32 v37, v9, 2, 5
	s_delay_alu instid0(VALU_DEP_2) | instskip(NEXT) | instid1(VALU_DEP_2)
	v_clz_i32_u32_e32 v8, v2
	v_cmp_eq_u32_e32 vcc_lo, 0, v37
	s_delay_alu instid0(VALU_DEP_2) | instskip(NEXT) | instid1(VALU_DEP_1)
	v_min_u32_e32 v8, 32, v8
	v_subrev_nc_u32_e32 v27, 29, v8
	v_sub_nc_u32_e32 v8, 30, v8
	s_delay_alu instid0(VALU_DEP_1) | instskip(NEXT) | instid1(VALU_DEP_1)
	v_dual_cndmask_b32 v8, v37, v8 :: v_dual_lshlrev_b32 v27, v27, v9
	v_and_b32_e32 v27, 3, v27
	v_lshlrev_b32_e32 v39, 24, v9
	s_delay_alu instid0(VALU_DEP_3) | instskip(NEXT) | instid1(VALU_DEP_3)
	v_lshl_add_u32 v8, v8, 23, 0x37800000
	v_cndmask_b32_e32 v2, v2, v27, vcc_lo
	s_delay_alu instid0(VALU_DEP_3) | instskip(NEXT) | instid1(VALU_DEP_2)
	v_and_b32_e32 v27, 0x80000000, v39
	v_lshlrev_b32_e32 v2, 21, v2
	s_delay_alu instid0(VALU_DEP_1)
	v_or3_b32 v2, v27, v8, v2
.LBB6_1357:                             ;   in Loop: Header=BB6_144 Depth=3
	s_or_b32 exec_lo, exec_lo, s35
	s_delay_alu instid0(VALU_DEP_1) | instskip(SKIP_2) | instid1(VALU_DEP_2)
	v_mul_f32_e32 v2, s34, v2
	v_mov_b32_e32 v174, 0x80
	s_mov_b32 s35, exec_lo
	v_and_b32_e32 v8, 0x7f800000, v2
	s_delay_alu instid0(VALU_DEP_1)
	v_cmpx_ne_u32_e32 0x7f800000, v8
	s_cbranch_execz .LBB6_1365
; %bb.1358:                             ;   in Loop: Header=BB6_144 Depth=3
	v_mov_b32_e32 v174, 0
	s_mov_b32 s36, exec_lo
	v_cmpx_ne_u32_e32 0, v2
	s_cbranch_execz .LBB6_1364
; %bb.1359:                             ;   in Loop: Header=BB6_144 Depth=3
	v_bfe_u32 v8, v2, 23, 8
	v_and_b32_e32 v27, 0x7fffff, v2
	s_delay_alu instid0(VALU_DEP_2) | instskip(SKIP_1) | instid1(VALU_DEP_3)
	v_sub_nc_u32_e32 v37, 0x70, v8
	v_cmp_gt_u32_e32 vcc_lo, 0x71, v8
	v_or_b32_e32 v39, 0x800000, v27
	s_delay_alu instid0(VALU_DEP_3) | instskip(SKIP_2) | instid1(VALU_DEP_3)
	v_cndmask_b32_e32 v37, 0, v37, vcc_lo
	v_cmp_eq_u32_e32 vcc_lo, 0, v8
	v_add_nc_u32_e32 v8, 0xffffff91, v8
	v_cndmask_b32_e64 v37, v37, 0x6f, vcc_lo
	v_cndmask_b32_e32 v27, v39, v27, vcc_lo
	s_delay_alu instid0(VALU_DEP_3) | instskip(NEXT) | instid1(VALU_DEP_3)
	v_cndmask_b32_e64 v8, v8, 0xffffff92, vcc_lo
	v_lshl_add_u32 v39, 0x200000, v37, -1
	s_delay_alu instid0(VALU_DEP_3) | instskip(SKIP_1) | instid1(VALU_DEP_4)
	v_lshrrev_b32_e32 v48, v37, v27
	v_lshlrev_b32_e64 v53, v37, 0x100000
	v_add_nc_u32_e32 v37, v37, v8
	s_delay_alu instid0(VALU_DEP_4) | instskip(NEXT) | instid1(VALU_DEP_4)
	v_and_b32_e32 v27, v39, v27
	v_bfe_u32 v49, v48, 21, 1
	s_delay_alu instid0(VALU_DEP_2) | instskip(NEXT) | instid1(VALU_DEP_2)
	v_cmp_eq_u32_e64 s13, v27, v53
	v_add_nc_u32_e32 v39, -1, v49
	s_delay_alu instid0(VALU_DEP_1) | instskip(SKIP_2) | instid1(VALU_DEP_2)
	v_cndmask_b32_e64 v27, 0, v39, s13
	v_lshrrev_b32_e32 v39, 23, v48
	s_mov_b32 s13, exec_lo
	v_add_nc_u32_e32 v27, v27, v48
	s_delay_alu instid0(VALU_DEP_2) | instskip(NEXT) | instid1(VALU_DEP_2)
	v_xor_b32_e32 v39, 1, v39
	v_and_b32_e32 v8, 0x1fffff, v27
	s_delay_alu instid0(VALU_DEP_1) | instskip(NEXT) | instid1(VALU_DEP_3)
	v_add_nc_u32_e32 v27, v8, v48
                                        ; implicit-def: $vgpr8
	v_cmpx_ne_u32_e64 v37, v39
	s_xor_b32 s13, exec_lo, s13
; %bb.1360:                             ;   in Loop: Header=BB6_144 Depth=3
	s_delay_alu instid0(VALU_DEP_2) | instskip(SKIP_2) | instid1(VALU_DEP_2)
	v_cmp_lt_u32_e32 vcc_lo, 0xffffff, v27
	v_sub_nc_u32_e32 v8, v37, v39
	v_cndmask_b32_e64 v37, 0, 1, vcc_lo
	v_add_co_ci_u32_e32 v8, vcc_lo, 0, v8, vcc_lo
	s_delay_alu instid0(VALU_DEP_2)
	v_lshrrev_b32_e32 v27, v37, v27
; %bb.1361:                             ;   in Loop: Header=BB6_144 Depth=3
	s_and_not1_saveexec_b32 s13, s13
; %bb.1362:                             ;   in Loop: Header=BB6_144 Depth=3
	s_delay_alu instid0(VALU_DEP_1)
	v_bfe_u32 v8, v27, 23, 1
; %bb.1363:                             ;   in Loop: Header=BB6_144 Depth=3
	s_or_b32 exec_lo, exec_lo, s13
	v_lshrrev_b32_e32 v27, 21, v27
	s_delay_alu instid0(VALU_DEP_2) | instskip(SKIP_3) | instid1(VALU_DEP_3)
	v_cmp_gt_i32_e32 vcc_lo, 32, v8
	v_lshrrev_b32_e32 v2, 24, v2
	v_min_i32_e32 v37, 31, v8
	v_mov_b32_e32 v51, v128
	v_dual_cndmask_b32 v27, 3, v27 :: v_dual_and_b32 v2, 0x80, v2
	s_delay_alu instid0(VALU_DEP_1) | instskip(SKIP_1) | instid1(VALU_DEP_2)
	v_or_b32_e32 v8, v8, v27
	v_and_b32_e32 v39, 3, v27
	v_cmp_ne_u32_e32 vcc_lo, 0, v8
	v_lshlrev_b32_e32 v37, 2, v37
	s_delay_alu instid0(VALU_DEP_1) | instskip(NEXT) | instid1(VALU_DEP_1)
	v_and_b32_e32 v37, 0xfc, v37
	v_or3_b32 v2, v37, v2, v39
	s_delay_alu instid0(VALU_DEP_1)
	v_cndmask_b32_e32 v174, 0, v2, vcc_lo
.LBB6_1364:                             ;   in Loop: Header=BB6_144 Depth=3
	s_or_b32 exec_lo, exec_lo, s36
.LBB6_1365:                             ;   in Loop: Header=BB6_144 Depth=3
	s_delay_alu instid0(SALU_CYCLE_1) | instskip(SKIP_3) | instid1(VALU_DEP_1)
	s_or_b32 exec_lo, exec_lo, s35
	v_lshrrev_b16 v2, 8, v9
	s_mov_b32 s13, 0
	s_mov_b32 s36, exec_lo
                                        ; implicit-def: $sgpr35
	v_cmpx_lt_i16_e32 0x7f, v2
	s_xor_b32 s36, exec_lo, s36
	s_cbranch_execnz .LBB6_2091
; %bb.1366:                             ;   in Loop: Header=BB6_144 Depth=3
	s_or_saveexec_b32 s36, s36
	v_mov_b32_e32 v8, s35
	s_xor_b32 exec_lo, exec_lo, s36
	s_cbranch_execnz .LBB6_2094
.LBB6_1367:                             ;   in Loop: Header=BB6_144 Depth=3
	s_or_b32 exec_lo, exec_lo, s36
	s_and_saveexec_b32 s35, s13
	s_cbranch_execz .LBB6_1369
.LBB6_1368:                             ;   in Loop: Header=BB6_144 Depth=3
	v_and_b32_e32 v8, 0xffff, v2
	v_lshlrev_b32_e32 v2, 24, v2
	s_delay_alu instid0(VALU_DEP_2) | instskip(NEXT) | instid1(VALU_DEP_2)
	v_and_b32_e32 v27, 3, v8
	v_and_b32_e32 v2, 0x80000000, v2
	s_delay_alu instid0(VALU_DEP_2) | instskip(NEXT) | instid1(VALU_DEP_1)
	v_clz_i32_u32_e32 v37, v27
	v_min_u32_e32 v37, 32, v37
	s_delay_alu instid0(VALU_DEP_1) | instskip(SKIP_1) | instid1(VALU_DEP_2)
	v_subrev_nc_u32_e32 v39, 29, v37
	v_sub_nc_u32_e32 v37, 30, v37
	v_lshlrev_b32_e32 v39, v39, v8
	v_bfe_u32 v8, v8, 2, 5
	s_delay_alu instid0(VALU_DEP_2) | instskip(NEXT) | instid1(VALU_DEP_2)
	v_and_b32_e32 v39, 3, v39
	v_cmp_eq_u32_e32 vcc_lo, 0, v8
	s_delay_alu instid0(VALU_DEP_2) | instskip(NEXT) | instid1(VALU_DEP_1)
	v_dual_cndmask_b32 v8, v8, v37 :: v_dual_cndmask_b32 v27, v27, v39
	v_lshl_add_u32 v8, v8, 23, 0x37800000
	s_delay_alu instid0(VALU_DEP_2) | instskip(NEXT) | instid1(VALU_DEP_1)
	v_lshlrev_b32_e32 v27, 21, v27
	v_or3_b32 v8, v2, v8, v27
.LBB6_1369:                             ;   in Loop: Header=BB6_144 Depth=3
	s_or_b32 exec_lo, exec_lo, s35
	s_delay_alu instid0(VALU_DEP_1) | instskip(SKIP_1) | instid1(VALU_DEP_1)
	v_dual_mul_f32 v2, s34, v8 :: v_dual_mov_b32 v123, 0x8000
	s_mov_b32 s35, exec_lo
	v_and_b32_e32 v8, 0x7f800000, v2
	s_delay_alu instid0(VALU_DEP_1)
	v_cmpx_ne_u32_e32 0x7f800000, v8
	s_cbranch_execz .LBB6_1377
; %bb.1370:                             ;   in Loop: Header=BB6_144 Depth=3
	v_mov_b32_e32 v123, 0
	s_mov_b32 s36, exec_lo
	v_cmpx_ne_u32_e32 0, v2
	s_cbranch_execz .LBB6_1376
; %bb.1371:                             ;   in Loop: Header=BB6_144 Depth=3
	v_bfe_u32 v8, v2, 23, 8
	v_and_b32_e32 v27, 0x7fffff, v2
	s_delay_alu instid0(VALU_DEP_2) | instskip(SKIP_1) | instid1(VALU_DEP_3)
	v_sub_nc_u32_e32 v37, 0x70, v8
	v_cmp_gt_u32_e32 vcc_lo, 0x71, v8
	v_or_b32_e32 v39, 0x800000, v27
	s_delay_alu instid0(VALU_DEP_3) | instskip(SKIP_2) | instid1(VALU_DEP_3)
	v_cndmask_b32_e32 v37, 0, v37, vcc_lo
	v_cmp_eq_u32_e32 vcc_lo, 0, v8
	v_add_nc_u32_e32 v8, 0xffffff91, v8
	v_cndmask_b32_e64 v37, v37, 0x6f, vcc_lo
	v_cndmask_b32_e32 v27, v39, v27, vcc_lo
	s_delay_alu instid0(VALU_DEP_3) | instskip(NEXT) | instid1(VALU_DEP_3)
	v_cndmask_b32_e64 v8, v8, 0xffffff92, vcc_lo
	v_lshl_add_u32 v39, 0x200000, v37, -1
	s_delay_alu instid0(VALU_DEP_3) | instskip(SKIP_1) | instid1(VALU_DEP_4)
	v_lshrrev_b32_e32 v48, v37, v27
	v_lshlrev_b32_e64 v53, v37, 0x100000
	v_add_nc_u32_e32 v37, v37, v8
	s_delay_alu instid0(VALU_DEP_4) | instskip(NEXT) | instid1(VALU_DEP_4)
	v_and_b32_e32 v27, v39, v27
	v_bfe_u32 v49, v48, 21, 1
	s_delay_alu instid0(VALU_DEP_2) | instskip(NEXT) | instid1(VALU_DEP_2)
	v_cmp_eq_u32_e64 s13, v27, v53
	v_add_nc_u32_e32 v39, -1, v49
	s_delay_alu instid0(VALU_DEP_1) | instskip(SKIP_2) | instid1(VALU_DEP_2)
	v_cndmask_b32_e64 v27, 0, v39, s13
	v_lshrrev_b32_e32 v39, 23, v48
	s_mov_b32 s13, exec_lo
	v_add_nc_u32_e32 v27, v27, v48
	s_delay_alu instid0(VALU_DEP_2) | instskip(NEXT) | instid1(VALU_DEP_2)
	v_xor_b32_e32 v39, 1, v39
	v_and_b32_e32 v8, 0x1fffff, v27
	s_delay_alu instid0(VALU_DEP_1) | instskip(NEXT) | instid1(VALU_DEP_3)
	v_add_nc_u32_e32 v27, v8, v48
                                        ; implicit-def: $vgpr8
	v_cmpx_ne_u32_e64 v37, v39
	s_xor_b32 s13, exec_lo, s13
; %bb.1372:                             ;   in Loop: Header=BB6_144 Depth=3
	s_delay_alu instid0(VALU_DEP_2) | instskip(SKIP_2) | instid1(VALU_DEP_2)
	v_cmp_lt_u32_e32 vcc_lo, 0xffffff, v27
	v_sub_nc_u32_e32 v8, v37, v39
	v_cndmask_b32_e64 v37, 0, 1, vcc_lo
	v_add_co_ci_u32_e32 v8, vcc_lo, 0, v8, vcc_lo
	s_delay_alu instid0(VALU_DEP_2)
	v_lshrrev_b32_e32 v27, v37, v27
; %bb.1373:                             ;   in Loop: Header=BB6_144 Depth=3
	s_and_not1_saveexec_b32 s13, s13
; %bb.1374:                             ;   in Loop: Header=BB6_144 Depth=3
	s_delay_alu instid0(VALU_DEP_1)
	v_bfe_u32 v8, v27, 23, 1
; %bb.1375:                             ;   in Loop: Header=BB6_144 Depth=3
	s_or_b32 exec_lo, exec_lo, s13
	v_lshrrev_b32_e32 v27, 21, v27
	s_delay_alu instid0(VALU_DEP_2) | instskip(SKIP_3) | instid1(VALU_DEP_4)
	v_min_i32_e32 v37, 31, v8
	v_cmp_gt_i32_e32 vcc_lo, 32, v8
	v_lshrrev_b32_e32 v2, 24, v2
	v_mov_b32_e32 v51, v128
	v_lshlrev_b32_e32 v37, 2, v37
	s_delay_alu instid0(VALU_DEP_3) | instskip(NEXT) | instid1(VALU_DEP_2)
	v_dual_cndmask_b32 v27, 3, v27 :: v_dual_and_b32 v2, 0x80, v2
	v_and_b32_e32 v37, 0xfc, v37
	s_delay_alu instid0(VALU_DEP_2) | instskip(SKIP_1) | instid1(VALU_DEP_2)
	v_and_b32_e32 v39, 3, v27
	v_or_b32_e32 v8, v8, v27
	v_or3_b32 v2, v2, v37, v39
	s_delay_alu instid0(VALU_DEP_2) | instskip(NEXT) | instid1(VALU_DEP_2)
	v_cmp_ne_u32_e32 vcc_lo, 0, v8
	v_lshlrev_b32_e32 v2, 8, v2
	s_delay_alu instid0(VALU_DEP_1)
	v_cndmask_b32_e32 v123, 0, v2, vcc_lo
.LBB6_1376:                             ;   in Loop: Header=BB6_144 Depth=3
	s_or_b32 exec_lo, exec_lo, s36
.LBB6_1377:                             ;   in Loop: Header=BB6_144 Depth=3
	s_delay_alu instid0(SALU_CYCLE_1) | instskip(SKIP_3) | instid1(VALU_DEP_1)
	s_or_b32 exec_lo, exec_lo, s35
	v_lshrrev_b32_e32 v2, 16, v9
	s_mov_b32 s13, 0
	s_mov_b32 s36, exec_lo
                                        ; implicit-def: $sgpr35
	v_and_b32_e32 v27, 0xff, v2
	s_delay_alu instid0(VALU_DEP_1)
	v_cmpx_lt_i16_e32 0x7f, v27
	s_xor_b32 s36, exec_lo, s36
	s_cbranch_execnz .LBB6_2095
; %bb.1378:                             ;   in Loop: Header=BB6_144 Depth=3
	s_or_saveexec_b32 s36, s36
	v_mov_b32_e32 v8, s35
	s_xor_b32 exec_lo, exec_lo, s36
	s_cbranch_execnz .LBB6_2098
.LBB6_1379:                             ;   in Loop: Header=BB6_144 Depth=3
	s_or_b32 exec_lo, exec_lo, s36
	s_and_saveexec_b32 s35, s13
	s_cbranch_execz .LBB6_1381
.LBB6_1380:                             ;   in Loop: Header=BB6_144 Depth=3
	v_bfe_u32 v8, v9, 16, 2
	s_delay_alu instid0(VALU_DEP_1) | instskip(NEXT) | instid1(VALU_DEP_1)
	v_clz_i32_u32_e32 v27, v8
	v_min_u32_e32 v27, 32, v27
	s_delay_alu instid0(VALU_DEP_1) | instskip(SKIP_1) | instid1(VALU_DEP_2)
	v_subrev_nc_u32_e32 v37, 29, v27
	v_sub_nc_u32_e32 v27, 30, v27
	v_lshlrev_b32_e32 v2, v37, v2
	v_bfe_u32 v37, v9, 18, 5
	s_delay_alu instid0(VALU_DEP_1) | instskip(NEXT) | instid1(VALU_DEP_3)
	v_cmp_eq_u32_e32 vcc_lo, 0, v37
	v_dual_cndmask_b32 v27, v37, v27 :: v_dual_and_b32 v2, 3, v2
	s_delay_alu instid0(VALU_DEP_1) | instskip(NEXT) | instid1(VALU_DEP_2)
	v_dual_cndmask_b32 v2, v8, v2 :: v_dual_lshlrev_b32 v39, 8, v9
	v_lshl_add_u32 v27, v27, 23, 0x37800000
	s_delay_alu instid0(VALU_DEP_2) | instskip(NEXT) | instid1(VALU_DEP_3)
	v_and_b32_e32 v8, 0x80000000, v39
	v_lshlrev_b32_e32 v2, 21, v2
	s_delay_alu instid0(VALU_DEP_1)
	v_or3_b32 v8, v8, v27, v2
.LBB6_1381:                             ;   in Loop: Header=BB6_144 Depth=3
	s_or_b32 exec_lo, exec_lo, s35
	s_delay_alu instid0(VALU_DEP_1) | instskip(SKIP_2) | instid1(VALU_DEP_2)
	v_mul_f32_e32 v2, s34, v8
	v_mov_b32_e32 v124, 0x80
	s_mov_b32 s35, exec_lo
	v_and_b32_e32 v8, 0x7f800000, v2
	s_delay_alu instid0(VALU_DEP_1)
	v_cmpx_ne_u32_e32 0x7f800000, v8
	s_cbranch_execz .LBB6_1389
; %bb.1382:                             ;   in Loop: Header=BB6_144 Depth=3
	v_mov_b32_e32 v124, 0
	s_mov_b32 s36, exec_lo
	v_cmpx_ne_u32_e32 0, v2
	s_cbranch_execz .LBB6_1388
; %bb.1383:                             ;   in Loop: Header=BB6_144 Depth=3
	v_bfe_u32 v27, v2, 23, 8
	v_and_b32_e32 v8, 0x7fffff, v2
	s_delay_alu instid0(VALU_DEP_2) | instskip(SKIP_2) | instid1(VALU_DEP_4)
	v_cmp_gt_u32_e64 s13, 0x71, v27
	v_sub_nc_u32_e32 v37, 0x70, v27
	v_cmp_eq_u32_e32 vcc_lo, 0, v27
	v_or_b32_e32 v39, 0x800000, v8
	v_add_nc_u32_e32 v27, 0xffffff91, v27
	s_delay_alu instid0(VALU_DEP_4) | instskip(NEXT) | instid1(VALU_DEP_3)
	v_cndmask_b32_e64 v37, 0, v37, s13
	v_cndmask_b32_e32 v8, v39, v8, vcc_lo
	s_delay_alu instid0(VALU_DEP_2) | instskip(NEXT) | instid1(VALU_DEP_1)
	v_cndmask_b32_e64 v37, v37, 0x6f, vcc_lo
	v_lshl_add_u32 v39, 0x200000, v37, -1
	v_lshlrev_b32_e64 v48, v37, 0x100000
	s_delay_alu instid0(VALU_DEP_2) | instskip(NEXT) | instid1(VALU_DEP_1)
	v_and_b32_e32 v39, v39, v8
	v_cmp_eq_u32_e64 s13, v39, v48
	v_lshrrev_b32_e32 v39, v37, v8
	v_cndmask_b32_e64 v8, v27, 0xffffff92, vcc_lo
	s_delay_alu instid0(VALU_DEP_2) | instskip(NEXT) | instid1(VALU_DEP_2)
	v_lshrrev_b32_e32 v27, 23, v39
	v_add_nc_u32_e32 v8, v37, v8
	v_bfe_u32 v37, v39, 21, 1
	s_delay_alu instid0(VALU_DEP_3) | instskip(NEXT) | instid1(VALU_DEP_2)
	v_xor_b32_e32 v27, 1, v27
	v_add_nc_u32_e32 v37, -1, v37
	s_delay_alu instid0(VALU_DEP_1) | instskip(SKIP_1) | instid1(VALU_DEP_1)
	v_cndmask_b32_e64 v37, 0, v37, s13
	s_mov_b32 s13, exec_lo
	v_add_nc_u32_e32 v37, v37, v39
	s_delay_alu instid0(VALU_DEP_1) | instskip(NEXT) | instid1(VALU_DEP_1)
	v_and_b32_e32 v37, 0x1fffff, v37
	v_add_nc_u32_e32 v39, v37, v39
                                        ; implicit-def: $vgpr37
	v_cmpx_ne_u32_e64 v8, v27
	s_xor_b32 s13, exec_lo, s13
; %bb.1384:                             ;   in Loop: Header=BB6_144 Depth=3
	s_delay_alu instid0(VALU_DEP_2) | instskip(SKIP_2) | instid1(VALU_DEP_2)
	v_cmp_lt_u32_e32 vcc_lo, 0xffffff, v39
	v_sub_nc_u32_e32 v8, v8, v27
	v_cndmask_b32_e64 v27, 0, 1, vcc_lo
	v_add_co_ci_u32_e32 v37, vcc_lo, 0, v8, vcc_lo
	s_delay_alu instid0(VALU_DEP_2)
	v_lshrrev_b32_e32 v39, v27, v39
; %bb.1385:                             ;   in Loop: Header=BB6_144 Depth=3
	s_and_not1_saveexec_b32 s13, s13
; %bb.1386:                             ;   in Loop: Header=BB6_144 Depth=3
	s_delay_alu instid0(VALU_DEP_1)
	v_bfe_u32 v37, v39, 23, 1
; %bb.1387:                             ;   in Loop: Header=BB6_144 Depth=3
	s_or_b32 exec_lo, exec_lo, s13
	v_lshrrev_b32_e32 v8, 21, v39
	s_delay_alu instid0(VALU_DEP_2) | instskip(SKIP_3) | instid1(VALU_DEP_4)
	v_min_i32_e32 v27, 31, v37
	v_cmp_gt_i32_e32 vcc_lo, 32, v37
	v_lshrrev_b32_e32 v2, 24, v2
	v_mov_b32_e32 v51, v128
	v_dual_cndmask_b32 v8, 3, v8 :: v_dual_lshlrev_b32 v27, 2, v27
	s_delay_alu instid0(VALU_DEP_3) | instskip(NEXT) | instid1(VALU_DEP_2)
	v_and_b32_e32 v2, 0x80, v2
	v_and_b32_e32 v27, 0xfc, v27
	s_delay_alu instid0(VALU_DEP_3) | instskip(SKIP_1) | instid1(VALU_DEP_2)
	v_and_b32_e32 v39, 3, v8
	v_or_b32_e32 v8, v37, v8
	v_or3_b32 v2, v27, v2, v39
	s_delay_alu instid0(VALU_DEP_2) | instskip(NEXT) | instid1(VALU_DEP_2)
	v_cmp_ne_u32_e32 vcc_lo, 0, v8
	v_cndmask_b32_e32 v124, 0, v2, vcc_lo
.LBB6_1388:                             ;   in Loop: Header=BB6_144 Depth=3
	s_or_b32 exec_lo, exec_lo, s36
.LBB6_1389:                             ;   in Loop: Header=BB6_144 Depth=3
	s_delay_alu instid0(SALU_CYCLE_1) | instskip(SKIP_3) | instid1(VALU_DEP_1)
	s_or_b32 exec_lo, exec_lo, s35
	v_lshrrev_b32_e32 v2, 24, v9
	s_mov_b32 s13, 0
	s_mov_b32 s36, exec_lo
                                        ; implicit-def: $sgpr35
	v_cmpx_lt_i16_e32 0x7f, v2
	s_xor_b32 s36, exec_lo, s36
	s_cbranch_execnz .LBB6_2099
; %bb.1390:                             ;   in Loop: Header=BB6_144 Depth=3
	s_or_saveexec_b32 s36, s36
	v_mov_b32_e32 v8, s35
	s_xor_b32 exec_lo, exec_lo, s36
	s_cbranch_execnz .LBB6_2102
.LBB6_1391:                             ;   in Loop: Header=BB6_144 Depth=3
	s_or_b32 exec_lo, exec_lo, s36
	s_and_saveexec_b32 s35, s13
	s_cbranch_execz .LBB6_1393
.LBB6_1392:                             ;   in Loop: Header=BB6_144 Depth=3
	v_bfe_u32 v8, v9, 24, 2
	s_delay_alu instid0(VALU_DEP_1) | instskip(NEXT) | instid1(VALU_DEP_1)
	v_clz_i32_u32_e32 v27, v8
	v_min_u32_e32 v27, 32, v27
	s_delay_alu instid0(VALU_DEP_1) | instskip(SKIP_1) | instid1(VALU_DEP_2)
	v_subrev_nc_u32_e32 v37, 29, v27
	v_sub_nc_u32_e32 v27, 30, v27
	v_lshlrev_b32_e32 v2, v37, v2
	v_bfe_u32 v37, v9, 26, 5
	s_delay_alu instid0(VALU_DEP_1) | instskip(NEXT) | instid1(VALU_DEP_3)
	v_cmp_eq_u32_e32 vcc_lo, 0, v37
	v_dual_cndmask_b32 v27, v37, v27 :: v_dual_and_b32 v2, 3, v2
	s_delay_alu instid0(VALU_DEP_1) | instskip(SKIP_1) | instid1(VALU_DEP_3)
	v_cndmask_b32_e32 v2, v8, v2, vcc_lo
	v_and_b32_e32 v8, 0x80000000, v9
	v_lshl_add_u32 v9, v27, 23, 0x37800000
	s_delay_alu instid0(VALU_DEP_3) | instskip(NEXT) | instid1(VALU_DEP_1)
	v_lshlrev_b32_e32 v2, 21, v2
	v_or3_b32 v8, v8, v9, v2
.LBB6_1393:                             ;   in Loop: Header=BB6_144 Depth=3
	s_or_b32 exec_lo, exec_lo, s35
	s_delay_alu instid0(VALU_DEP_1) | instskip(SKIP_2) | instid1(VALU_DEP_2)
	v_mul_f32_e32 v2, s34, v8
	v_mov_b32_e32 v126, 0x8000
	s_mov_b32 s35, exec_lo
	v_and_b32_e32 v8, 0x7f800000, v2
	s_delay_alu instid0(VALU_DEP_1)
	v_cmpx_ne_u32_e32 0x7f800000, v8
	s_cbranch_execz .LBB6_1401
; %bb.1394:                             ;   in Loop: Header=BB6_144 Depth=3
	v_mov_b32_e32 v126, 0
	s_mov_b32 s36, exec_lo
	v_cmpx_ne_u32_e32 0, v2
	s_cbranch_execz .LBB6_1400
; %bb.1395:                             ;   in Loop: Header=BB6_144 Depth=3
	v_bfe_u32 v9, v2, 23, 8
	v_and_b32_e32 v8, 0x7fffff, v2
	s_delay_alu instid0(VALU_DEP_2) | instskip(SKIP_2) | instid1(VALU_DEP_4)
	v_cmp_gt_u32_e64 s13, 0x71, v9
	v_sub_nc_u32_e32 v27, 0x70, v9
	v_cmp_eq_u32_e32 vcc_lo, 0, v9
	v_or_b32_e32 v37, 0x800000, v8
	v_add_nc_u32_e32 v9, 0xffffff91, v9
	s_delay_alu instid0(VALU_DEP_4) | instskip(NEXT) | instid1(VALU_DEP_3)
	v_cndmask_b32_e64 v27, 0, v27, s13
	v_cndmask_b32_e32 v8, v37, v8, vcc_lo
	s_delay_alu instid0(VALU_DEP_2) | instskip(NEXT) | instid1(VALU_DEP_1)
	v_cndmask_b32_e64 v27, v27, 0x6f, vcc_lo
	v_lshl_add_u32 v37, 0x200000, v27, -1
	v_lshlrev_b32_e64 v39, v27, 0x100000
	s_delay_alu instid0(VALU_DEP_2) | instskip(NEXT) | instid1(VALU_DEP_1)
	v_and_b32_e32 v37, v37, v8
	v_cmp_eq_u32_e64 s13, v37, v39
	v_lshrrev_b32_e32 v37, v27, v8
	v_cndmask_b32_e64 v8, v9, 0xffffff92, vcc_lo
	s_delay_alu instid0(VALU_DEP_2) | instskip(NEXT) | instid1(VALU_DEP_2)
	v_lshrrev_b32_e32 v9, 23, v37
	v_add_nc_u32_e32 v8, v27, v8
	v_bfe_u32 v27, v37, 21, 1
	s_delay_alu instid0(VALU_DEP_3) | instskip(NEXT) | instid1(VALU_DEP_2)
	v_xor_b32_e32 v9, 1, v9
	v_add_nc_u32_e32 v27, -1, v27
	s_delay_alu instid0(VALU_DEP_1) | instskip(SKIP_1) | instid1(VALU_DEP_1)
	v_cndmask_b32_e64 v27, 0, v27, s13
	s_mov_b32 s13, exec_lo
	v_add_nc_u32_e32 v27, v27, v37
	s_delay_alu instid0(VALU_DEP_1) | instskip(NEXT) | instid1(VALU_DEP_1)
	v_and_b32_e32 v27, 0x1fffff, v27
	v_add_nc_u32_e32 v37, v27, v37
                                        ; implicit-def: $vgpr27
	v_cmpx_ne_u32_e64 v8, v9
	s_xor_b32 s13, exec_lo, s13
; %bb.1396:                             ;   in Loop: Header=BB6_144 Depth=3
	s_delay_alu instid0(VALU_DEP_2) | instskip(SKIP_2) | instid1(VALU_DEP_2)
	v_cmp_lt_u32_e32 vcc_lo, 0xffffff, v37
	v_sub_nc_u32_e32 v8, v8, v9
	v_cndmask_b32_e64 v9, 0, 1, vcc_lo
	v_add_co_ci_u32_e32 v27, vcc_lo, 0, v8, vcc_lo
	s_delay_alu instid0(VALU_DEP_2)
	v_lshrrev_b32_e32 v37, v9, v37
; %bb.1397:                             ;   in Loop: Header=BB6_144 Depth=3
	s_and_not1_saveexec_b32 s13, s13
; %bb.1398:                             ;   in Loop: Header=BB6_144 Depth=3
	s_delay_alu instid0(VALU_DEP_1)
	v_bfe_u32 v27, v37, 23, 1
; %bb.1399:                             ;   in Loop: Header=BB6_144 Depth=3
	s_or_b32 exec_lo, exec_lo, s13
	v_lshrrev_b32_e32 v8, 21, v37
	s_delay_alu instid0(VALU_DEP_2) | instskip(SKIP_3) | instid1(VALU_DEP_4)
	v_min_i32_e32 v9, 31, v27
	v_cmp_gt_i32_e32 vcc_lo, 32, v27
	v_lshrrev_b32_e32 v2, 24, v2
	v_mov_b32_e32 v51, v128
	v_dual_cndmask_b32 v8, 3, v8 :: v_dual_lshlrev_b32 v9, 2, v9
	s_delay_alu instid0(VALU_DEP_3) | instskip(NEXT) | instid1(VALU_DEP_2)
	v_and_b32_e32 v2, 0x80, v2
	v_and_b32_e32 v9, 0xfc, v9
	s_delay_alu instid0(VALU_DEP_3) | instskip(SKIP_1) | instid1(VALU_DEP_2)
	v_and_b32_e32 v37, 3, v8
	v_or_b32_e32 v8, v27, v8
	v_or3_b32 v2, v2, v9, v37
	s_delay_alu instid0(VALU_DEP_2) | instskip(NEXT) | instid1(VALU_DEP_2)
	v_cmp_ne_u32_e32 vcc_lo, 0, v8
	v_lshlrev_b32_e32 v2, 8, v2
	s_delay_alu instid0(VALU_DEP_1)
	v_cndmask_b32_e32 v126, 0, v2, vcc_lo
.LBB6_1400:                             ;   in Loop: Header=BB6_144 Depth=3
	s_or_b32 exec_lo, exec_lo, s36
.LBB6_1401:                             ;   in Loop: Header=BB6_144 Depth=3
	s_delay_alu instid0(SALU_CYCLE_1) | instskip(SKIP_3) | instid1(VALU_DEP_1)
	s_or_b32 exec_lo, exec_lo, s35
	v_and_b32_e32 v8, 0xff, v10
	s_mov_b32 s13, 0
	s_mov_b32 s36, exec_lo
                                        ; implicit-def: $sgpr35
	v_cmpx_lt_i16_e32 0x7f, v8
	s_xor_b32 s36, exec_lo, s36
	s_cbranch_execnz .LBB6_2103
; %bb.1402:                             ;   in Loop: Header=BB6_144 Depth=3
	s_or_saveexec_b32 s36, s36
	v_mov_b32_e32 v2, s35
	s_xor_b32 exec_lo, exec_lo, s36
	s_cbranch_execnz .LBB6_2106
.LBB6_1403:                             ;   in Loop: Header=BB6_144 Depth=3
	s_or_b32 exec_lo, exec_lo, s36
	s_and_saveexec_b32 s35, s13
	s_cbranch_execz .LBB6_1405
.LBB6_1404:                             ;   in Loop: Header=BB6_144 Depth=3
	v_and_b32_e32 v2, 3, v10
	v_bfe_u32 v27, v10, 2, 5
	s_delay_alu instid0(VALU_DEP_2) | instskip(NEXT) | instid1(VALU_DEP_2)
	v_clz_i32_u32_e32 v8, v2
	v_cmp_eq_u32_e32 vcc_lo, 0, v27
	s_delay_alu instid0(VALU_DEP_2) | instskip(NEXT) | instid1(VALU_DEP_1)
	v_min_u32_e32 v8, 32, v8
	v_subrev_nc_u32_e32 v9, 29, v8
	v_sub_nc_u32_e32 v8, 30, v8
	s_delay_alu instid0(VALU_DEP_1) | instskip(NEXT) | instid1(VALU_DEP_1)
	v_dual_cndmask_b32 v8, v27, v8 :: v_dual_lshlrev_b32 v9, v9, v10
	v_and_b32_e32 v9, 3, v9
	v_lshlrev_b32_e32 v37, 24, v10
	s_delay_alu instid0(VALU_DEP_3) | instskip(NEXT) | instid1(VALU_DEP_3)
	v_lshl_add_u32 v8, v8, 23, 0x37800000
	v_cndmask_b32_e32 v2, v2, v9, vcc_lo
	s_delay_alu instid0(VALU_DEP_3) | instskip(NEXT) | instid1(VALU_DEP_2)
	v_and_b32_e32 v9, 0x80000000, v37
	v_lshlrev_b32_e32 v2, 21, v2
	s_delay_alu instid0(VALU_DEP_1)
	v_or3_b32 v2, v9, v8, v2
.LBB6_1405:                             ;   in Loop: Header=BB6_144 Depth=3
	s_or_b32 exec_lo, exec_lo, s35
	s_delay_alu instid0(VALU_DEP_1) | instskip(SKIP_1) | instid1(VALU_DEP_1)
	v_dual_mul_f32 v2, s34, v2 :: v_dual_mov_b32 v125, 0x80
	s_mov_b32 s35, exec_lo
	v_and_b32_e32 v8, 0x7f800000, v2
	s_delay_alu instid0(VALU_DEP_1)
	v_cmpx_ne_u32_e32 0x7f800000, v8
	s_cbranch_execz .LBB6_1413
; %bb.1406:                             ;   in Loop: Header=BB6_144 Depth=3
	v_mov_b32_e32 v125, 0
	s_mov_b32 s36, exec_lo
	v_cmpx_ne_u32_e32 0, v2
	s_cbranch_execz .LBB6_1412
; %bb.1407:                             ;   in Loop: Header=BB6_144 Depth=3
	v_bfe_u32 v9, v2, 23, 8
	v_and_b32_e32 v8, 0x7fffff, v2
	s_delay_alu instid0(VALU_DEP_2) | instskip(SKIP_2) | instid1(VALU_DEP_4)
	v_cmp_gt_u32_e64 s13, 0x71, v9
	v_sub_nc_u32_e32 v27, 0x70, v9
	v_cmp_eq_u32_e32 vcc_lo, 0, v9
	v_or_b32_e32 v37, 0x800000, v8
	v_add_nc_u32_e32 v9, 0xffffff91, v9
	s_delay_alu instid0(VALU_DEP_4) | instskip(NEXT) | instid1(VALU_DEP_3)
	v_cndmask_b32_e64 v27, 0, v27, s13
	v_cndmask_b32_e32 v8, v37, v8, vcc_lo
	s_delay_alu instid0(VALU_DEP_2) | instskip(NEXT) | instid1(VALU_DEP_1)
	v_cndmask_b32_e64 v27, v27, 0x6f, vcc_lo
	v_lshl_add_u32 v37, 0x200000, v27, -1
	v_lshlrev_b32_e64 v39, v27, 0x100000
	s_delay_alu instid0(VALU_DEP_2) | instskip(NEXT) | instid1(VALU_DEP_1)
	v_and_b32_e32 v37, v37, v8
	v_cmp_eq_u32_e64 s13, v37, v39
	v_lshrrev_b32_e32 v37, v27, v8
	v_cndmask_b32_e64 v8, v9, 0xffffff92, vcc_lo
	s_delay_alu instid0(VALU_DEP_2) | instskip(NEXT) | instid1(VALU_DEP_2)
	v_lshrrev_b32_e32 v9, 23, v37
	v_add_nc_u32_e32 v8, v27, v8
	v_bfe_u32 v27, v37, 21, 1
	s_delay_alu instid0(VALU_DEP_3) | instskip(NEXT) | instid1(VALU_DEP_2)
	v_xor_b32_e32 v9, 1, v9
	v_add_nc_u32_e32 v27, -1, v27
	s_delay_alu instid0(VALU_DEP_1) | instskip(SKIP_1) | instid1(VALU_DEP_1)
	v_cndmask_b32_e64 v27, 0, v27, s13
	s_mov_b32 s13, exec_lo
	v_add_nc_u32_e32 v27, v27, v37
	s_delay_alu instid0(VALU_DEP_1) | instskip(NEXT) | instid1(VALU_DEP_1)
	v_and_b32_e32 v27, 0x1fffff, v27
	v_add_nc_u32_e32 v37, v27, v37
                                        ; implicit-def: $vgpr27
	v_cmpx_ne_u32_e64 v8, v9
	s_xor_b32 s13, exec_lo, s13
; %bb.1408:                             ;   in Loop: Header=BB6_144 Depth=3
	s_delay_alu instid0(VALU_DEP_2) | instskip(SKIP_2) | instid1(VALU_DEP_2)
	v_cmp_lt_u32_e32 vcc_lo, 0xffffff, v37
	v_sub_nc_u32_e32 v8, v8, v9
	v_cndmask_b32_e64 v9, 0, 1, vcc_lo
	v_add_co_ci_u32_e32 v27, vcc_lo, 0, v8, vcc_lo
	s_delay_alu instid0(VALU_DEP_2)
	v_lshrrev_b32_e32 v37, v9, v37
; %bb.1409:                             ;   in Loop: Header=BB6_144 Depth=3
	s_and_not1_saveexec_b32 s13, s13
; %bb.1410:                             ;   in Loop: Header=BB6_144 Depth=3
	s_delay_alu instid0(VALU_DEP_1)
	v_bfe_u32 v27, v37, 23, 1
; %bb.1411:                             ;   in Loop: Header=BB6_144 Depth=3
	s_or_b32 exec_lo, exec_lo, s13
	v_lshrrev_b32_e32 v8, 21, v37
	s_delay_alu instid0(VALU_DEP_2) | instskip(SKIP_2) | instid1(VALU_DEP_4)
	v_cmp_gt_i32_e32 vcc_lo, 32, v27
	v_lshrrev_b32_e32 v2, 24, v2
	v_min_i32_e32 v9, 31, v27
	v_dual_mov_b32 v51, v128 :: v_dual_cndmask_b32 v8, 3, v8
	s_delay_alu instid0(VALU_DEP_3) | instskip(NEXT) | instid1(VALU_DEP_3)
	v_and_b32_e32 v2, 0x80, v2
	v_lshlrev_b32_e32 v9, 2, v9
	s_delay_alu instid0(VALU_DEP_3) | instskip(SKIP_1) | instid1(VALU_DEP_2)
	v_and_b32_e32 v37, 3, v8
	v_or_b32_e32 v8, v27, v8
	v_or3_b32 v2, v9, v2, v37
	s_delay_alu instid0(VALU_DEP_2) | instskip(NEXT) | instid1(VALU_DEP_2)
	v_cmp_ne_u32_e32 vcc_lo, 0, v8
	v_cndmask_b32_e32 v125, 0, v2, vcc_lo
.LBB6_1412:                             ;   in Loop: Header=BB6_144 Depth=3
	s_or_b32 exec_lo, exec_lo, s36
.LBB6_1413:                             ;   in Loop: Header=BB6_144 Depth=3
	s_delay_alu instid0(SALU_CYCLE_1) | instskip(SKIP_3) | instid1(VALU_DEP_1)
	s_or_b32 exec_lo, exec_lo, s35
	v_lshrrev_b16 v2, 8, v10
	s_mov_b32 s13, 0
	s_mov_b32 s36, exec_lo
                                        ; implicit-def: $sgpr35
	v_cmpx_lt_i16_e32 0x7f, v2
	s_xor_b32 s36, exec_lo, s36
	s_cbranch_execnz .LBB6_2107
; %bb.1414:                             ;   in Loop: Header=BB6_144 Depth=3
	s_or_saveexec_b32 s36, s36
	v_mov_b32_e32 v8, s35
	s_xor_b32 exec_lo, exec_lo, s36
	s_cbranch_execnz .LBB6_2110
.LBB6_1415:                             ;   in Loop: Header=BB6_144 Depth=3
	s_or_b32 exec_lo, exec_lo, s36
	s_and_saveexec_b32 s35, s13
	s_cbranch_execz .LBB6_1417
.LBB6_1416:                             ;   in Loop: Header=BB6_144 Depth=3
	v_and_b32_e32 v8, 0xffff, v2
	v_lshlrev_b32_e32 v2, 24, v2
	s_delay_alu instid0(VALU_DEP_2) | instskip(NEXT) | instid1(VALU_DEP_2)
	v_and_b32_e32 v9, 3, v8
	v_and_b32_e32 v2, 0x80000000, v2
	s_delay_alu instid0(VALU_DEP_2) | instskip(NEXT) | instid1(VALU_DEP_1)
	v_clz_i32_u32_e32 v27, v9
	v_min_u32_e32 v27, 32, v27
	s_delay_alu instid0(VALU_DEP_1) | instskip(SKIP_1) | instid1(VALU_DEP_2)
	v_subrev_nc_u32_e32 v37, 29, v27
	v_sub_nc_u32_e32 v27, 30, v27
	v_lshlrev_b32_e32 v37, v37, v8
	v_bfe_u32 v8, v8, 2, 5
	s_delay_alu instid0(VALU_DEP_2) | instskip(NEXT) | instid1(VALU_DEP_2)
	v_and_b32_e32 v37, 3, v37
	v_cmp_eq_u32_e32 vcc_lo, 0, v8
	s_delay_alu instid0(VALU_DEP_2) | instskip(NEXT) | instid1(VALU_DEP_1)
	v_dual_cndmask_b32 v8, v8, v27 :: v_dual_cndmask_b32 v9, v9, v37
	v_lshl_add_u32 v8, v8, 23, 0x37800000
	s_delay_alu instid0(VALU_DEP_2) | instskip(NEXT) | instid1(VALU_DEP_1)
	v_lshlrev_b32_e32 v9, 21, v9
	v_or3_b32 v8, v2, v8, v9
.LBB6_1417:                             ;   in Loop: Header=BB6_144 Depth=3
	s_or_b32 exec_lo, exec_lo, s35
	s_delay_alu instid0(VALU_DEP_1) | instskip(SKIP_1) | instid1(VALU_DEP_1)
	v_dual_mul_f32 v2, s34, v8 :: v_dual_mov_b32 v127, 0x80
	s_mov_b32 s35, exec_lo
	v_and_b32_e32 v8, 0x7f800000, v2
	s_delay_alu instid0(VALU_DEP_1)
	v_cmpx_ne_u32_e32 0x7f800000, v8
	s_cbranch_execz .LBB6_1425
; %bb.1418:                             ;   in Loop: Header=BB6_144 Depth=3
	v_mov_b32_e32 v127, 0
	s_mov_b32 s36, exec_lo
	v_cmpx_ne_u32_e32 0, v2
	s_cbranch_execz .LBB6_1424
; %bb.1419:                             ;   in Loop: Header=BB6_144 Depth=3
	v_bfe_u32 v9, v2, 23, 8
	v_and_b32_e32 v8, 0x7fffff, v2
	s_delay_alu instid0(VALU_DEP_2) | instskip(SKIP_2) | instid1(VALU_DEP_4)
	v_cmp_gt_u32_e64 s13, 0x71, v9
	v_sub_nc_u32_e32 v27, 0x70, v9
	v_cmp_eq_u32_e32 vcc_lo, 0, v9
	v_or_b32_e32 v37, 0x800000, v8
	v_add_nc_u32_e32 v9, 0xffffff91, v9
	s_delay_alu instid0(VALU_DEP_4) | instskip(NEXT) | instid1(VALU_DEP_3)
	v_cndmask_b32_e64 v27, 0, v27, s13
	v_cndmask_b32_e32 v8, v37, v8, vcc_lo
	s_delay_alu instid0(VALU_DEP_2) | instskip(NEXT) | instid1(VALU_DEP_1)
	v_cndmask_b32_e64 v27, v27, 0x6f, vcc_lo
	v_lshl_add_u32 v37, 0x200000, v27, -1
	v_lshlrev_b32_e64 v39, v27, 0x100000
	s_delay_alu instid0(VALU_DEP_2) | instskip(NEXT) | instid1(VALU_DEP_1)
	v_and_b32_e32 v37, v37, v8
	v_cmp_eq_u32_e64 s13, v37, v39
	v_lshrrev_b32_e32 v37, v27, v8
	v_cndmask_b32_e64 v8, v9, 0xffffff92, vcc_lo
	s_delay_alu instid0(VALU_DEP_2) | instskip(NEXT) | instid1(VALU_DEP_2)
	v_lshrrev_b32_e32 v9, 23, v37
	v_add_nc_u32_e32 v8, v27, v8
	v_bfe_u32 v27, v37, 21, 1
	s_delay_alu instid0(VALU_DEP_3) | instskip(NEXT) | instid1(VALU_DEP_2)
	v_xor_b32_e32 v9, 1, v9
	v_add_nc_u32_e32 v27, -1, v27
	s_delay_alu instid0(VALU_DEP_1) | instskip(SKIP_1) | instid1(VALU_DEP_1)
	v_cndmask_b32_e64 v27, 0, v27, s13
	s_mov_b32 s13, exec_lo
	v_add_nc_u32_e32 v27, v27, v37
	s_delay_alu instid0(VALU_DEP_1) | instskip(NEXT) | instid1(VALU_DEP_1)
	v_and_b32_e32 v27, 0x1fffff, v27
	v_add_nc_u32_e32 v37, v27, v37
                                        ; implicit-def: $vgpr27
	v_cmpx_ne_u32_e64 v8, v9
	s_xor_b32 s13, exec_lo, s13
; %bb.1420:                             ;   in Loop: Header=BB6_144 Depth=3
	s_delay_alu instid0(VALU_DEP_2) | instskip(SKIP_2) | instid1(VALU_DEP_2)
	v_cmp_lt_u32_e32 vcc_lo, 0xffffff, v37
	v_sub_nc_u32_e32 v8, v8, v9
	v_cndmask_b32_e64 v9, 0, 1, vcc_lo
	v_add_co_ci_u32_e32 v27, vcc_lo, 0, v8, vcc_lo
	s_delay_alu instid0(VALU_DEP_2)
	v_lshrrev_b32_e32 v37, v9, v37
; %bb.1421:                             ;   in Loop: Header=BB6_144 Depth=3
	s_and_not1_saveexec_b32 s13, s13
; %bb.1422:                             ;   in Loop: Header=BB6_144 Depth=3
	s_delay_alu instid0(VALU_DEP_1)
	v_bfe_u32 v27, v37, 23, 1
; %bb.1423:                             ;   in Loop: Header=BB6_144 Depth=3
	s_or_b32 exec_lo, exec_lo, s13
	v_lshrrev_b32_e32 v8, 21, v37
	s_delay_alu instid0(VALU_DEP_2) | instskip(SKIP_2) | instid1(VALU_DEP_4)
	v_cmp_gt_i32_e32 vcc_lo, 32, v27
	v_lshrrev_b32_e32 v2, 24, v2
	v_min_i32_e32 v9, 31, v27
	v_dual_mov_b32 v51, v128 :: v_dual_cndmask_b32 v8, 3, v8
	s_delay_alu instid0(VALU_DEP_3) | instskip(NEXT) | instid1(VALU_DEP_3)
	v_and_b32_e32 v2, 0x80, v2
	v_lshlrev_b32_e32 v9, 2, v9
	s_delay_alu instid0(VALU_DEP_3) | instskip(SKIP_1) | instid1(VALU_DEP_2)
	v_and_b32_e32 v37, 3, v8
	v_or_b32_e32 v8, v27, v8
	v_or3_b32 v2, v9, v2, v37
	s_delay_alu instid0(VALU_DEP_2) | instskip(NEXT) | instid1(VALU_DEP_2)
	v_cmp_ne_u32_e32 vcc_lo, 0, v8
	v_cndmask_b32_e32 v127, 0, v2, vcc_lo
.LBB6_1424:                             ;   in Loop: Header=BB6_144 Depth=3
	s_or_b32 exec_lo, exec_lo, s36
.LBB6_1425:                             ;   in Loop: Header=BB6_144 Depth=3
	s_delay_alu instid0(SALU_CYCLE_1) | instskip(SKIP_3) | instid1(VALU_DEP_1)
	s_or_b32 exec_lo, exec_lo, s35
	v_lshrrev_b32_e32 v2, 16, v10
	s_mov_b32 s13, 0
	s_mov_b32 s36, exec_lo
                                        ; implicit-def: $sgpr35
	v_and_b32_e32 v9, 0xff, v2
	s_delay_alu instid0(VALU_DEP_1)
	v_cmpx_lt_i16_e32 0x7f, v9
	s_xor_b32 s36, exec_lo, s36
	s_cbranch_execnz .LBB6_2111
; %bb.1426:                             ;   in Loop: Header=BB6_144 Depth=3
	s_or_saveexec_b32 s36, s36
	v_mov_b32_e32 v8, s35
	s_xor_b32 exec_lo, exec_lo, s36
	s_cbranch_execnz .LBB6_2114
.LBB6_1427:                             ;   in Loop: Header=BB6_144 Depth=3
	s_or_b32 exec_lo, exec_lo, s36
	s_and_saveexec_b32 s35, s13
	s_cbranch_execz .LBB6_1429
.LBB6_1428:                             ;   in Loop: Header=BB6_144 Depth=3
	v_bfe_u32 v8, v10, 16, 2
	v_lshlrev_b32_e32 v37, 8, v10
	s_delay_alu instid0(VALU_DEP_2) | instskip(NEXT) | instid1(VALU_DEP_1)
	v_clz_i32_u32_e32 v9, v8
	v_min_u32_e32 v9, 32, v9
	s_delay_alu instid0(VALU_DEP_1) | instskip(SKIP_1) | instid1(VALU_DEP_2)
	v_subrev_nc_u32_e32 v27, 29, v9
	v_sub_nc_u32_e32 v9, 30, v9
	v_lshlrev_b32_e32 v2, v27, v2
	v_bfe_u32 v27, v10, 18, 5
	s_delay_alu instid0(VALU_DEP_1) | instskip(NEXT) | instid1(VALU_DEP_3)
	v_cmp_eq_u32_e32 vcc_lo, 0, v27
	v_dual_cndmask_b32 v9, v27, v9 :: v_dual_and_b32 v2, 3, v2
	s_delay_alu instid0(VALU_DEP_1) | instskip(SKIP_1) | instid1(VALU_DEP_3)
	v_cndmask_b32_e32 v2, v8, v2, vcc_lo
	v_and_b32_e32 v8, 0x80000000, v37
	v_lshl_add_u32 v9, v9, 23, 0x37800000
	s_delay_alu instid0(VALU_DEP_3) | instskip(NEXT) | instid1(VALU_DEP_1)
	v_lshlrev_b32_e32 v2, 21, v2
	v_or3_b32 v8, v8, v9, v2
.LBB6_1429:                             ;   in Loop: Header=BB6_144 Depth=3
	s_or_b32 exec_lo, exec_lo, s35
	s_delay_alu instid0(VALU_DEP_1) | instskip(SKIP_2) | instid1(VALU_DEP_2)
	v_mul_f32_e32 v2, s34, v8
	v_mov_b32_e32 v136, 0x80
	s_mov_b32 s35, exec_lo
	v_and_b32_e32 v8, 0x7f800000, v2
	s_delay_alu instid0(VALU_DEP_1)
	v_cmpx_ne_u32_e32 0x7f800000, v8
	s_cbranch_execz .LBB6_1437
; %bb.1430:                             ;   in Loop: Header=BB6_144 Depth=3
	v_mov_b32_e32 v136, 0
	s_mov_b32 s36, exec_lo
	v_cmpx_ne_u32_e32 0, v2
	s_cbranch_execz .LBB6_1436
; %bb.1431:                             ;   in Loop: Header=BB6_144 Depth=3
	v_bfe_u32 v9, v2, 23, 8
	v_and_b32_e32 v8, 0x7fffff, v2
	s_delay_alu instid0(VALU_DEP_2) | instskip(SKIP_2) | instid1(VALU_DEP_4)
	v_cmp_gt_u32_e64 s13, 0x71, v9
	v_sub_nc_u32_e32 v27, 0x70, v9
	v_cmp_eq_u32_e32 vcc_lo, 0, v9
	v_or_b32_e32 v37, 0x800000, v8
	v_add_nc_u32_e32 v9, 0xffffff91, v9
	s_delay_alu instid0(VALU_DEP_4) | instskip(NEXT) | instid1(VALU_DEP_3)
	v_cndmask_b32_e64 v27, 0, v27, s13
	v_cndmask_b32_e32 v8, v37, v8, vcc_lo
	s_delay_alu instid0(VALU_DEP_2) | instskip(NEXT) | instid1(VALU_DEP_1)
	v_cndmask_b32_e64 v27, v27, 0x6f, vcc_lo
	v_lshl_add_u32 v37, 0x200000, v27, -1
	v_lshlrev_b32_e64 v39, v27, 0x100000
	s_delay_alu instid0(VALU_DEP_2) | instskip(NEXT) | instid1(VALU_DEP_1)
	v_and_b32_e32 v37, v37, v8
	v_cmp_eq_u32_e64 s13, v37, v39
	v_lshrrev_b32_e32 v37, v27, v8
	v_cndmask_b32_e64 v8, v9, 0xffffff92, vcc_lo
	s_delay_alu instid0(VALU_DEP_2) | instskip(NEXT) | instid1(VALU_DEP_2)
	v_lshrrev_b32_e32 v9, 23, v37
	v_add_nc_u32_e32 v8, v27, v8
	v_bfe_u32 v27, v37, 21, 1
	s_delay_alu instid0(VALU_DEP_3) | instskip(NEXT) | instid1(VALU_DEP_2)
	v_xor_b32_e32 v9, 1, v9
	v_add_nc_u32_e32 v27, -1, v27
	s_delay_alu instid0(VALU_DEP_1) | instskip(SKIP_1) | instid1(VALU_DEP_1)
	v_cndmask_b32_e64 v27, 0, v27, s13
	s_mov_b32 s13, exec_lo
	v_add_nc_u32_e32 v27, v27, v37
	s_delay_alu instid0(VALU_DEP_1) | instskip(NEXT) | instid1(VALU_DEP_1)
	v_and_b32_e32 v27, 0x1fffff, v27
	v_add_nc_u32_e32 v37, v27, v37
                                        ; implicit-def: $vgpr27
	v_cmpx_ne_u32_e64 v8, v9
	s_xor_b32 s13, exec_lo, s13
; %bb.1432:                             ;   in Loop: Header=BB6_144 Depth=3
	s_delay_alu instid0(VALU_DEP_2) | instskip(SKIP_2) | instid1(VALU_DEP_2)
	v_cmp_lt_u32_e32 vcc_lo, 0xffffff, v37
	v_sub_nc_u32_e32 v8, v8, v9
	v_cndmask_b32_e64 v9, 0, 1, vcc_lo
	v_add_co_ci_u32_e32 v27, vcc_lo, 0, v8, vcc_lo
	s_delay_alu instid0(VALU_DEP_2)
	v_lshrrev_b32_e32 v37, v9, v37
; %bb.1433:                             ;   in Loop: Header=BB6_144 Depth=3
	s_and_not1_saveexec_b32 s13, s13
; %bb.1434:                             ;   in Loop: Header=BB6_144 Depth=3
	s_delay_alu instid0(VALU_DEP_1)
	v_bfe_u32 v27, v37, 23, 1
; %bb.1435:                             ;   in Loop: Header=BB6_144 Depth=3
	s_or_b32 exec_lo, exec_lo, s13
	v_lshrrev_b32_e32 v8, 21, v37
	s_delay_alu instid0(VALU_DEP_2) | instskip(SKIP_2) | instid1(VALU_DEP_4)
	v_cmp_gt_i32_e32 vcc_lo, 32, v27
	v_lshrrev_b32_e32 v2, 24, v2
	v_min_i32_e32 v9, 31, v27
	v_dual_mov_b32 v51, v128 :: v_dual_cndmask_b32 v8, 3, v8
	s_delay_alu instid0(VALU_DEP_3) | instskip(NEXT) | instid1(VALU_DEP_3)
	v_and_b32_e32 v2, 0x80, v2
	v_lshlrev_b32_e32 v9, 2, v9
	s_delay_alu instid0(VALU_DEP_3) | instskip(SKIP_1) | instid1(VALU_DEP_2)
	v_or_b32_e32 v27, v27, v8
	v_and_b32_e32 v8, 3, v8
	v_cmp_ne_u32_e32 vcc_lo, 0, v27
	s_delay_alu instid0(VALU_DEP_2) | instskip(NEXT) | instid1(VALU_DEP_1)
	v_or3_b32 v2, v9, v2, v8
	v_cndmask_b32_e32 v136, 0, v2, vcc_lo
.LBB6_1436:                             ;   in Loop: Header=BB6_144 Depth=3
	s_or_b32 exec_lo, exec_lo, s36
.LBB6_1437:                             ;   in Loop: Header=BB6_144 Depth=3
	s_delay_alu instid0(SALU_CYCLE_1) | instskip(SKIP_3) | instid1(VALU_DEP_1)
	s_or_b32 exec_lo, exec_lo, s35
	v_lshrrev_b32_e32 v2, 24, v10
	s_mov_b32 s13, 0
	s_mov_b32 s36, exec_lo
                                        ; implicit-def: $sgpr35
	v_cmpx_lt_i16_e32 0x7f, v2
	s_xor_b32 s36, exec_lo, s36
	s_cbranch_execnz .LBB6_2115
; %bb.1438:                             ;   in Loop: Header=BB6_144 Depth=3
	s_or_saveexec_b32 s36, s36
	v_mov_b32_e32 v8, s35
	s_xor_b32 exec_lo, exec_lo, s36
	s_cbranch_execnz .LBB6_2118
.LBB6_1439:                             ;   in Loop: Header=BB6_144 Depth=3
	s_or_b32 exec_lo, exec_lo, s36
	s_and_saveexec_b32 s35, s13
	s_cbranch_execz .LBB6_1441
.LBB6_1440:                             ;   in Loop: Header=BB6_144 Depth=3
	v_bfe_u32 v8, v10, 24, 2
	s_delay_alu instid0(VALU_DEP_1) | instskip(NEXT) | instid1(VALU_DEP_1)
	v_clz_i32_u32_e32 v9, v8
	v_min_u32_e32 v9, 32, v9
	s_delay_alu instid0(VALU_DEP_1) | instskip(SKIP_1) | instid1(VALU_DEP_2)
	v_subrev_nc_u32_e32 v27, 29, v9
	v_sub_nc_u32_e32 v9, 30, v9
	v_lshlrev_b32_e32 v2, v27, v2
	v_bfe_u32 v27, v10, 26, 5
	s_delay_alu instid0(VALU_DEP_1) | instskip(NEXT) | instid1(VALU_DEP_3)
	v_cmp_eq_u32_e32 vcc_lo, 0, v27
	v_dual_cndmask_b32 v9, v27, v9 :: v_dual_and_b32 v2, 3, v2
	s_delay_alu instid0(VALU_DEP_1) | instskip(SKIP_1) | instid1(VALU_DEP_3)
	v_cndmask_b32_e32 v2, v8, v2, vcc_lo
	v_and_b32_e32 v8, 0x80000000, v10
	v_lshl_add_u32 v9, v9, 23, 0x37800000
	s_delay_alu instid0(VALU_DEP_3) | instskip(NEXT) | instid1(VALU_DEP_1)
	v_lshlrev_b32_e32 v2, 21, v2
	v_or3_b32 v8, v8, v9, v2
.LBB6_1441:                             ;   in Loop: Header=BB6_144 Depth=3
	s_or_b32 exec_lo, exec_lo, s35
	s_delay_alu instid0(VALU_DEP_1) | instskip(SKIP_2) | instid1(VALU_DEP_2)
	v_mul_f32_e32 v2, s34, v8
	v_mov_b32_e32 v48, 0x80
	s_mov_b32 s35, exec_lo
	v_and_b32_e32 v8, 0x7f800000, v2
	s_delay_alu instid0(VALU_DEP_1)
	v_cmpx_ne_u32_e32 0x7f800000, v8
	s_cbranch_execz .LBB6_1449
; %bb.1442:                             ;   in Loop: Header=BB6_144 Depth=3
	v_mov_b32_e32 v48, 0
	s_mov_b32 s36, exec_lo
	v_cmpx_ne_u32_e32 0, v2
	s_cbranch_execz .LBB6_1448
; %bb.1443:                             ;   in Loop: Header=BB6_144 Depth=3
	v_bfe_u32 v9, v2, 23, 8
	v_and_b32_e32 v8, 0x7fffff, v2
	s_delay_alu instid0(VALU_DEP_2) | instskip(SKIP_2) | instid1(VALU_DEP_4)
	v_cmp_gt_u32_e64 s13, 0x71, v9
	v_sub_nc_u32_e32 v10, 0x70, v9
	v_cmp_eq_u32_e32 vcc_lo, 0, v9
	v_or_b32_e32 v27, 0x800000, v8
	v_add_nc_u32_e32 v9, 0xffffff91, v9
	s_delay_alu instid0(VALU_DEP_4) | instskip(NEXT) | instid1(VALU_DEP_3)
	v_cndmask_b32_e64 v10, 0, v10, s13
	v_cndmask_b32_e32 v8, v27, v8, vcc_lo
	s_delay_alu instid0(VALU_DEP_2) | instskip(NEXT) | instid1(VALU_DEP_1)
	v_cndmask_b32_e64 v10, v10, 0x6f, vcc_lo
	v_lshl_add_u32 v27, 0x200000, v10, -1
	v_lshlrev_b32_e64 v37, v10, 0x100000
	s_delay_alu instid0(VALU_DEP_2) | instskip(NEXT) | instid1(VALU_DEP_1)
	v_and_b32_e32 v27, v27, v8
	v_cmp_eq_u32_e64 s13, v27, v37
	v_lshrrev_b32_e32 v27, v10, v8
	v_cndmask_b32_e64 v8, v9, 0xffffff92, vcc_lo
	s_delay_alu instid0(VALU_DEP_2) | instskip(NEXT) | instid1(VALU_DEP_2)
	v_lshrrev_b32_e32 v9, 23, v27
	v_add_nc_u32_e32 v8, v10, v8
	v_bfe_u32 v10, v27, 21, 1
	s_delay_alu instid0(VALU_DEP_3) | instskip(NEXT) | instid1(VALU_DEP_2)
	v_xor_b32_e32 v9, 1, v9
	v_add_nc_u32_e32 v10, -1, v10
	s_delay_alu instid0(VALU_DEP_1) | instskip(SKIP_1) | instid1(VALU_DEP_1)
	v_cndmask_b32_e64 v10, 0, v10, s13
	s_mov_b32 s13, exec_lo
	v_add_nc_u32_e32 v10, v10, v27
	s_delay_alu instid0(VALU_DEP_1) | instskip(NEXT) | instid1(VALU_DEP_1)
	v_and_b32_e32 v10, 0x1fffff, v10
	v_add_nc_u32_e32 v27, v10, v27
                                        ; implicit-def: $vgpr10
	v_cmpx_ne_u32_e64 v8, v9
	s_xor_b32 s13, exec_lo, s13
; %bb.1444:                             ;   in Loop: Header=BB6_144 Depth=3
	s_delay_alu instid0(VALU_DEP_2) | instskip(SKIP_2) | instid1(VALU_DEP_2)
	v_cmp_lt_u32_e32 vcc_lo, 0xffffff, v27
	v_sub_nc_u32_e32 v8, v8, v9
	v_cndmask_b32_e64 v9, 0, 1, vcc_lo
	v_add_co_ci_u32_e32 v10, vcc_lo, 0, v8, vcc_lo
	s_delay_alu instid0(VALU_DEP_2)
	v_lshrrev_b32_e32 v27, v9, v27
; %bb.1445:                             ;   in Loop: Header=BB6_144 Depth=3
	s_and_not1_saveexec_b32 s13, s13
; %bb.1446:                             ;   in Loop: Header=BB6_144 Depth=3
	s_delay_alu instid0(VALU_DEP_1)
	v_bfe_u32 v10, v27, 23, 1
; %bb.1447:                             ;   in Loop: Header=BB6_144 Depth=3
	s_or_b32 exec_lo, exec_lo, s13
	v_lshrrev_b32_e32 v8, 21, v27
	s_delay_alu instid0(VALU_DEP_2) | instskip(SKIP_2) | instid1(VALU_DEP_4)
	v_cmp_gt_i32_e32 vcc_lo, 32, v10
	v_lshrrev_b32_e32 v2, 24, v2
	v_min_i32_e32 v9, 31, v10
	v_dual_mov_b32 v51, v128 :: v_dual_cndmask_b32 v8, 3, v8
	s_delay_alu instid0(VALU_DEP_3) | instskip(NEXT) | instid1(VALU_DEP_3)
	v_and_b32_e32 v2, 0x80, v2
	v_lshlrev_b32_e32 v9, 2, v9
	s_delay_alu instid0(VALU_DEP_3) | instskip(SKIP_1) | instid1(VALU_DEP_2)
	v_or_b32_e32 v10, v10, v8
	v_and_b32_e32 v8, 3, v8
	v_cmp_ne_u32_e32 vcc_lo, 0, v10
	s_delay_alu instid0(VALU_DEP_2) | instskip(NEXT) | instid1(VALU_DEP_1)
	v_or3_b32 v2, v9, v2, v8
	v_cndmask_b32_e32 v48, 0, v2, vcc_lo
.LBB6_1448:                             ;   in Loop: Header=BB6_144 Depth=3
	s_or_b32 exec_lo, exec_lo, s36
.LBB6_1449:                             ;   in Loop: Header=BB6_144 Depth=3
	s_delay_alu instid0(SALU_CYCLE_1) | instskip(SKIP_3) | instid1(VALU_DEP_1)
	s_or_b32 exec_lo, exec_lo, s35
	v_and_b32_e32 v8, 0xff, v11
	s_mov_b32 s35, 0
	s_mov_b32 s36, exec_lo
                                        ; implicit-def: $sgpr13
	v_cmpx_lt_i16_e32 0x7f, v8
	s_xor_b32 s36, exec_lo, s36
	s_cbranch_execnz .LBB6_2119
; %bb.1450:                             ;   in Loop: Header=BB6_144 Depth=3
	s_or_saveexec_b32 s36, s36
	v_mov_b32_e32 v2, s13
	s_xor_b32 exec_lo, exec_lo, s36
	s_cbranch_execnz .LBB6_2122
.LBB6_1451:                             ;   in Loop: Header=BB6_144 Depth=3
	s_or_b32 exec_lo, exec_lo, s36
	s_and_saveexec_b32 s13, s35
	s_cbranch_execz .LBB6_1453
.LBB6_1452:                             ;   in Loop: Header=BB6_144 Depth=3
	v_and_b32_e32 v2, 3, v11
	v_bfe_u32 v8, v11, 2, 5
	s_delay_alu instid0(VALU_DEP_2) | instskip(NEXT) | instid1(VALU_DEP_2)
	v_clz_i32_u32_e32 v9, v2
	v_cmp_eq_u32_e32 vcc_lo, 0, v8
	s_delay_alu instid0(VALU_DEP_2) | instskip(NEXT) | instid1(VALU_DEP_1)
	v_min_u32_e32 v9, 32, v9
	v_subrev_nc_u32_e32 v10, 29, v9
	v_sub_nc_u32_e32 v9, 30, v9
	s_delay_alu instid0(VALU_DEP_2) | instskip(NEXT) | instid1(VALU_DEP_2)
	v_lshlrev_b32_e32 v10, v10, v11
	v_dual_cndmask_b32 v8, v8, v9 :: v_dual_lshlrev_b32 v9, 24, v11
	s_delay_alu instid0(VALU_DEP_2) | instskip(NEXT) | instid1(VALU_DEP_2)
	v_and_b32_e32 v10, 3, v10
	v_lshl_add_u32 v8, v8, 23, 0x37800000
	s_delay_alu instid0(VALU_DEP_2) | instskip(NEXT) | instid1(VALU_DEP_1)
	v_dual_cndmask_b32 v2, v2, v10 :: v_dual_and_b32 v9, 0x80000000, v9
	v_lshlrev_b32_e32 v2, 21, v2
	s_delay_alu instid0(VALU_DEP_1)
	v_or3_b32 v2, v9, v8, v2
.LBB6_1453:                             ;   in Loop: Header=BB6_144 Depth=3
	s_or_b32 exec_lo, exec_lo, s13
	s_delay_alu instid0(VALU_DEP_1) | instskip(SKIP_1) | instid1(VALU_DEP_1)
	v_dual_mul_f32 v2, s34, v2 :: v_dual_mov_b32 v189, 0x80
	s_mov_b32 s35, exec_lo
	v_and_b32_e32 v8, 0x7f800000, v2
	s_delay_alu instid0(VALU_DEP_1)
	v_cmpx_ne_u32_e32 0x7f800000, v8
	s_cbranch_execz .LBB6_1461
; %bb.1454:                             ;   in Loop: Header=BB6_144 Depth=3
	v_mov_b32_e32 v189, 0
	s_mov_b32 s36, exec_lo
	v_cmpx_ne_u32_e32 0, v2
	s_cbranch_execz .LBB6_1460
; %bb.1455:                             ;   in Loop: Header=BB6_144 Depth=3
	v_bfe_u32 v9, v2, 23, 8
	v_and_b32_e32 v8, 0x7fffff, v2
	s_delay_alu instid0(VALU_DEP_2) | instskip(SKIP_2) | instid1(VALU_DEP_4)
	v_cmp_gt_u32_e64 s13, 0x71, v9
	v_sub_nc_u32_e32 v10, 0x70, v9
	v_cmp_eq_u32_e32 vcc_lo, 0, v9
	v_or_b32_e32 v27, 0x800000, v8
	v_add_nc_u32_e32 v9, 0xffffff91, v9
	s_delay_alu instid0(VALU_DEP_4) | instskip(NEXT) | instid1(VALU_DEP_3)
	v_cndmask_b32_e64 v10, 0, v10, s13
	v_cndmask_b32_e32 v8, v27, v8, vcc_lo
	s_delay_alu instid0(VALU_DEP_2) | instskip(NEXT) | instid1(VALU_DEP_1)
	v_cndmask_b32_e64 v10, v10, 0x6f, vcc_lo
	v_lshl_add_u32 v27, 0x200000, v10, -1
	v_lshlrev_b32_e64 v37, v10, 0x100000
	s_delay_alu instid0(VALU_DEP_2) | instskip(NEXT) | instid1(VALU_DEP_1)
	v_and_b32_e32 v27, v27, v8
	v_cmp_eq_u32_e64 s13, v27, v37
	v_lshrrev_b32_e32 v27, v10, v8
	v_cndmask_b32_e64 v8, v9, 0xffffff92, vcc_lo
	s_delay_alu instid0(VALU_DEP_2) | instskip(NEXT) | instid1(VALU_DEP_2)
	v_lshrrev_b32_e32 v9, 23, v27
	v_add_nc_u32_e32 v8, v10, v8
	v_bfe_u32 v10, v27, 21, 1
	s_delay_alu instid0(VALU_DEP_3) | instskip(NEXT) | instid1(VALU_DEP_2)
	v_xor_b32_e32 v9, 1, v9
	v_add_nc_u32_e32 v10, -1, v10
	s_delay_alu instid0(VALU_DEP_1) | instskip(SKIP_1) | instid1(VALU_DEP_1)
	v_cndmask_b32_e64 v10, 0, v10, s13
	s_mov_b32 s13, exec_lo
	v_add_nc_u32_e32 v10, v10, v27
	s_delay_alu instid0(VALU_DEP_1) | instskip(NEXT) | instid1(VALU_DEP_1)
	v_and_b32_e32 v10, 0x1fffff, v10
	v_add_nc_u32_e32 v10, v10, v27
                                        ; implicit-def: $vgpr27
	v_cmpx_ne_u32_e64 v8, v9
	s_xor_b32 s13, exec_lo, s13
; %bb.1456:                             ;   in Loop: Header=BB6_144 Depth=3
	s_delay_alu instid0(VALU_DEP_2) | instskip(SKIP_2) | instid1(VALU_DEP_2)
	v_cmp_lt_u32_e32 vcc_lo, 0xffffff, v10
	v_sub_nc_u32_e32 v8, v8, v9
	v_cndmask_b32_e64 v9, 0, 1, vcc_lo
	v_add_co_ci_u32_e32 v27, vcc_lo, 0, v8, vcc_lo
	s_delay_alu instid0(VALU_DEP_2)
	v_lshrrev_b32_e32 v10, v9, v10
; %bb.1457:                             ;   in Loop: Header=BB6_144 Depth=3
	s_and_not1_saveexec_b32 s13, s13
; %bb.1458:                             ;   in Loop: Header=BB6_144 Depth=3
	s_delay_alu instid0(VALU_DEP_1)
	v_bfe_u32 v27, v10, 23, 1
; %bb.1459:                             ;   in Loop: Header=BB6_144 Depth=3
	s_or_b32 exec_lo, exec_lo, s13
	v_lshrrev_b32_e32 v8, 21, v10
	s_delay_alu instid0(VALU_DEP_2) | instskip(SKIP_2) | instid1(VALU_DEP_4)
	v_cmp_gt_i32_e32 vcc_lo, 32, v27
	v_min_i32_e32 v9, 31, v27
	v_lshrrev_b32_e32 v2, 24, v2
	v_dual_mov_b32 v51, v128 :: v_dual_cndmask_b32 v8, 3, v8
	s_delay_alu instid0(VALU_DEP_3) | instskip(NEXT) | instid1(VALU_DEP_3)
	v_lshlrev_b32_e32 v9, 2, v9
	v_and_b32_e32 v2, 0x80, v2
	s_delay_alu instid0(VALU_DEP_3) | instskip(NEXT) | instid1(VALU_DEP_3)
	v_or_b32_e32 v10, v27, v8
	v_and_b32_e32 v9, 0xfc, v9
	s_delay_alu instid0(VALU_DEP_2) | instskip(SKIP_1) | instid1(VALU_DEP_1)
	v_cmp_ne_u32_e32 vcc_lo, 0, v10
	v_and_b32_e32 v8, 3, v8
	v_or3_b32 v2, v9, v2, v8
	s_delay_alu instid0(VALU_DEP_1)
	v_cndmask_b32_e32 v189, 0, v2, vcc_lo
.LBB6_1460:                             ;   in Loop: Header=BB6_144 Depth=3
	s_or_b32 exec_lo, exec_lo, s36
.LBB6_1461:                             ;   in Loop: Header=BB6_144 Depth=3
	s_delay_alu instid0(SALU_CYCLE_1) | instskip(SKIP_3) | instid1(VALU_DEP_1)
	s_or_b32 exec_lo, exec_lo, s35
	v_lshrrev_b16 v2, 8, v11
	s_mov_b32 s35, 0
	s_mov_b32 s36, exec_lo
                                        ; implicit-def: $sgpr13
	v_cmpx_lt_i16_e32 0x7f, v2
	s_xor_b32 s36, exec_lo, s36
	s_cbranch_execnz .LBB6_2123
; %bb.1462:                             ;   in Loop: Header=BB6_144 Depth=3
	s_or_saveexec_b32 s36, s36
	v_mov_b32_e32 v8, s13
	s_xor_b32 exec_lo, exec_lo, s36
	s_cbranch_execnz .LBB6_2126
.LBB6_1463:                             ;   in Loop: Header=BB6_144 Depth=3
	s_or_b32 exec_lo, exec_lo, s36
	s_and_saveexec_b32 s13, s35
	s_cbranch_execz .LBB6_1465
.LBB6_1464:                             ;   in Loop: Header=BB6_144 Depth=3
	v_and_b32_e32 v8, 0xffff, v2
	v_lshlrev_b32_e32 v2, 24, v2
	s_delay_alu instid0(VALU_DEP_2) | instskip(NEXT) | instid1(VALU_DEP_2)
	v_and_b32_e32 v9, 3, v8
	v_and_b32_e32 v2, 0x80000000, v2
	s_delay_alu instid0(VALU_DEP_2) | instskip(NEXT) | instid1(VALU_DEP_1)
	v_clz_i32_u32_e32 v10, v9
	v_min_u32_e32 v10, 32, v10
	s_delay_alu instid0(VALU_DEP_1) | instskip(SKIP_1) | instid1(VALU_DEP_2)
	v_subrev_nc_u32_e32 v27, 29, v10
	v_sub_nc_u32_e32 v10, 30, v10
	v_lshlrev_b32_e32 v27, v27, v8
	v_bfe_u32 v8, v8, 2, 5
	s_delay_alu instid0(VALU_DEP_2) | instskip(NEXT) | instid1(VALU_DEP_2)
	v_and_b32_e32 v27, 3, v27
	v_cmp_eq_u32_e32 vcc_lo, 0, v8
	s_delay_alu instid0(VALU_DEP_2) | instskip(NEXT) | instid1(VALU_DEP_1)
	v_dual_cndmask_b32 v8, v8, v10 :: v_dual_cndmask_b32 v9, v9, v27
	v_lshl_add_u32 v8, v8, 23, 0x37800000
	s_delay_alu instid0(VALU_DEP_2) | instskip(NEXT) | instid1(VALU_DEP_1)
	v_lshlrev_b32_e32 v9, 21, v9
	v_or3_b32 v8, v2, v8, v9
.LBB6_1465:                             ;   in Loop: Header=BB6_144 Depth=3
	s_or_b32 exec_lo, exec_lo, s13
	s_delay_alu instid0(VALU_DEP_1) | instskip(SKIP_2) | instid1(VALU_DEP_2)
	v_mul_f32_e32 v2, s34, v8
	v_mov_b32_e32 v96, 0x8000
	s_mov_b32 s35, exec_lo
	v_and_b32_e32 v8, 0x7f800000, v2
	s_delay_alu instid0(VALU_DEP_1)
	v_cmpx_ne_u32_e32 0x7f800000, v8
	s_cbranch_execz .LBB6_1473
; %bb.1466:                             ;   in Loop: Header=BB6_144 Depth=3
	v_mov_b32_e32 v96, 0
	s_mov_b32 s36, exec_lo
	v_cmpx_ne_u32_e32 0, v2
	s_cbranch_execz .LBB6_1472
; %bb.1467:                             ;   in Loop: Header=BB6_144 Depth=3
	v_bfe_u32 v9, v2, 23, 8
	v_and_b32_e32 v8, 0x7fffff, v2
	s_delay_alu instid0(VALU_DEP_2) | instskip(SKIP_2) | instid1(VALU_DEP_4)
	v_cmp_gt_u32_e64 s13, 0x71, v9
	v_sub_nc_u32_e32 v10, 0x70, v9
	v_cmp_eq_u32_e32 vcc_lo, 0, v9
	v_or_b32_e32 v27, 0x800000, v8
	v_add_nc_u32_e32 v9, 0xffffff91, v9
	s_delay_alu instid0(VALU_DEP_4) | instskip(NEXT) | instid1(VALU_DEP_3)
	v_cndmask_b32_e64 v10, 0, v10, s13
	v_cndmask_b32_e32 v8, v27, v8, vcc_lo
	s_delay_alu instid0(VALU_DEP_2) | instskip(NEXT) | instid1(VALU_DEP_1)
	v_cndmask_b32_e64 v10, v10, 0x6f, vcc_lo
	v_lshl_add_u32 v27, 0x200000, v10, -1
	v_lshlrev_b32_e64 v37, v10, 0x100000
	s_delay_alu instid0(VALU_DEP_2) | instskip(NEXT) | instid1(VALU_DEP_1)
	v_and_b32_e32 v27, v27, v8
	v_cmp_eq_u32_e64 s13, v27, v37
	v_lshrrev_b32_e32 v27, v10, v8
	v_cndmask_b32_e64 v8, v9, 0xffffff92, vcc_lo
	s_delay_alu instid0(VALU_DEP_2) | instskip(NEXT) | instid1(VALU_DEP_2)
	v_lshrrev_b32_e32 v9, 23, v27
	v_add_nc_u32_e32 v8, v10, v8
	v_bfe_u32 v10, v27, 21, 1
	s_delay_alu instid0(VALU_DEP_3) | instskip(NEXT) | instid1(VALU_DEP_2)
	v_xor_b32_e32 v9, 1, v9
	v_add_nc_u32_e32 v10, -1, v10
	s_delay_alu instid0(VALU_DEP_1) | instskip(SKIP_1) | instid1(VALU_DEP_1)
	v_cndmask_b32_e64 v10, 0, v10, s13
	s_mov_b32 s13, exec_lo
	v_add_nc_u32_e32 v10, v10, v27
	s_delay_alu instid0(VALU_DEP_1) | instskip(NEXT) | instid1(VALU_DEP_1)
	v_and_b32_e32 v10, 0x1fffff, v10
	v_add_nc_u32_e32 v10, v10, v27
                                        ; implicit-def: $vgpr27
	v_cmpx_ne_u32_e64 v8, v9
	s_xor_b32 s13, exec_lo, s13
; %bb.1468:                             ;   in Loop: Header=BB6_144 Depth=3
	s_delay_alu instid0(VALU_DEP_2) | instskip(SKIP_2) | instid1(VALU_DEP_2)
	v_cmp_lt_u32_e32 vcc_lo, 0xffffff, v10
	v_sub_nc_u32_e32 v8, v8, v9
	v_cndmask_b32_e64 v9, 0, 1, vcc_lo
	v_add_co_ci_u32_e32 v27, vcc_lo, 0, v8, vcc_lo
	s_delay_alu instid0(VALU_DEP_2)
	v_lshrrev_b32_e32 v10, v9, v10
; %bb.1469:                             ;   in Loop: Header=BB6_144 Depth=3
	s_and_not1_saveexec_b32 s13, s13
; %bb.1470:                             ;   in Loop: Header=BB6_144 Depth=3
	s_delay_alu instid0(VALU_DEP_1)
	v_bfe_u32 v27, v10, 23, 1
; %bb.1471:                             ;   in Loop: Header=BB6_144 Depth=3
	s_or_b32 exec_lo, exec_lo, s13
	v_lshrrev_b32_e32 v8, 21, v10
	s_delay_alu instid0(VALU_DEP_2) | instskip(SKIP_2) | instid1(VALU_DEP_4)
	v_cmp_gt_i32_e32 vcc_lo, 32, v27
	v_min_i32_e32 v9, 31, v27
	v_lshrrev_b32_e32 v2, 24, v2
	v_dual_mov_b32 v51, v128 :: v_dual_cndmask_b32 v8, 3, v8
	s_delay_alu instid0(VALU_DEP_3) | instskip(NEXT) | instid1(VALU_DEP_3)
	v_lshlrev_b32_e32 v9, 2, v9
	v_and_b32_e32 v2, 0x80, v2
	s_delay_alu instid0(VALU_DEP_3) | instskip(SKIP_1) | instid1(VALU_DEP_2)
	v_or_b32_e32 v10, v27, v8
	v_and_b32_e32 v8, 3, v8
	v_cmp_ne_u32_e32 vcc_lo, 0, v10
	v_and_b32_e32 v9, 0xfc, v9
	s_delay_alu instid0(VALU_DEP_1) | instskip(NEXT) | instid1(VALU_DEP_1)
	v_or3_b32 v2, v2, v9, v8
	v_lshlrev_b32_e32 v2, 8, v2
	s_delay_alu instid0(VALU_DEP_1)
	v_cndmask_b32_e32 v96, 0, v2, vcc_lo
.LBB6_1472:                             ;   in Loop: Header=BB6_144 Depth=3
	s_or_b32 exec_lo, exec_lo, s36
.LBB6_1473:                             ;   in Loop: Header=BB6_144 Depth=3
	s_delay_alu instid0(SALU_CYCLE_1) | instskip(SKIP_3) | instid1(VALU_DEP_1)
	s_or_b32 exec_lo, exec_lo, s35
	v_lshrrev_b32_e32 v2, 16, v11
	s_mov_b32 s13, 0
	s_mov_b32 s36, exec_lo
                                        ; implicit-def: $sgpr35
	v_and_b32_e32 v9, 0xff, v2
	s_delay_alu instid0(VALU_DEP_1)
	v_cmpx_lt_i16_e32 0x7f, v9
	s_xor_b32 s36, exec_lo, s36
	s_cbranch_execnz .LBB6_2127
; %bb.1474:                             ;   in Loop: Header=BB6_144 Depth=3
	s_or_saveexec_b32 s36, s36
	v_mov_b32_e32 v8, s35
	s_xor_b32 exec_lo, exec_lo, s36
	s_cbranch_execnz .LBB6_2130
.LBB6_1475:                             ;   in Loop: Header=BB6_144 Depth=3
	s_or_b32 exec_lo, exec_lo, s36
	s_and_saveexec_b32 s35, s13
	s_cbranch_execz .LBB6_1477
.LBB6_1476:                             ;   in Loop: Header=BB6_144 Depth=3
	v_bfe_u32 v8, v11, 16, 2
	s_delay_alu instid0(VALU_DEP_1) | instskip(NEXT) | instid1(VALU_DEP_1)
	v_clz_i32_u32_e32 v9, v8
	v_min_u32_e32 v9, 32, v9
	s_delay_alu instid0(VALU_DEP_1) | instskip(SKIP_1) | instid1(VALU_DEP_2)
	v_subrev_nc_u32_e32 v10, 29, v9
	v_sub_nc_u32_e32 v9, 30, v9
	v_lshlrev_b32_e32 v2, v10, v2
	v_bfe_u32 v10, v11, 18, 5
	s_delay_alu instid0(VALU_DEP_1) | instskip(NEXT) | instid1(VALU_DEP_3)
	v_cmp_eq_u32_e32 vcc_lo, 0, v10
	v_dual_cndmask_b32 v9, v10, v9 :: v_dual_and_b32 v2, 3, v2
	s_delay_alu instid0(VALU_DEP_1) | instskip(NEXT) | instid1(VALU_DEP_2)
	v_dual_cndmask_b32 v2, v8, v2 :: v_dual_lshlrev_b32 v27, 8, v11
	v_lshl_add_u32 v9, v9, 23, 0x37800000
	s_delay_alu instid0(VALU_DEP_2) | instskip(NEXT) | instid1(VALU_DEP_3)
	v_and_b32_e32 v8, 0x80000000, v27
	v_lshlrev_b32_e32 v2, 21, v2
	s_delay_alu instid0(VALU_DEP_1)
	v_or3_b32 v8, v8, v9, v2
.LBB6_1477:                             ;   in Loop: Header=BB6_144 Depth=3
	s_or_b32 exec_lo, exec_lo, s35
	s_delay_alu instid0(VALU_DEP_1) | instskip(SKIP_2) | instid1(VALU_DEP_2)
	v_mul_f32_e32 v2, s34, v8
	v_mov_b32_e32 v144, 0x80
	s_mov_b32 s35, exec_lo
	v_and_b32_e32 v8, 0x7f800000, v2
	s_delay_alu instid0(VALU_DEP_1)
	v_cmpx_ne_u32_e32 0x7f800000, v8
	s_cbranch_execz .LBB6_1485
; %bb.1478:                             ;   in Loop: Header=BB6_144 Depth=3
	v_mov_b32_e32 v144, 0
	s_mov_b32 s36, exec_lo
	v_cmpx_ne_u32_e32 0, v2
	s_cbranch_execz .LBB6_1484
; %bb.1479:                             ;   in Loop: Header=BB6_144 Depth=3
	v_bfe_u32 v9, v2, 23, 8
	v_and_b32_e32 v8, 0x7fffff, v2
	s_delay_alu instid0(VALU_DEP_2) | instskip(SKIP_2) | instid1(VALU_DEP_4)
	v_cmp_gt_u32_e64 s13, 0x71, v9
	v_sub_nc_u32_e32 v10, 0x70, v9
	v_cmp_eq_u32_e32 vcc_lo, 0, v9
	v_or_b32_e32 v27, 0x800000, v8
	v_add_nc_u32_e32 v9, 0xffffff91, v9
	s_delay_alu instid0(VALU_DEP_4) | instskip(NEXT) | instid1(VALU_DEP_3)
	v_cndmask_b32_e64 v10, 0, v10, s13
	v_cndmask_b32_e32 v8, v27, v8, vcc_lo
	s_delay_alu instid0(VALU_DEP_2) | instskip(NEXT) | instid1(VALU_DEP_1)
	v_cndmask_b32_e64 v10, v10, 0x6f, vcc_lo
	v_lshl_add_u32 v27, 0x200000, v10, -1
	v_lshlrev_b32_e64 v37, v10, 0x100000
	s_delay_alu instid0(VALU_DEP_2) | instskip(NEXT) | instid1(VALU_DEP_1)
	v_and_b32_e32 v27, v27, v8
	v_cmp_eq_u32_e64 s13, v27, v37
	v_lshrrev_b32_e32 v27, v10, v8
	v_cndmask_b32_e64 v8, v9, 0xffffff92, vcc_lo
	s_delay_alu instid0(VALU_DEP_2) | instskip(NEXT) | instid1(VALU_DEP_2)
	v_lshrrev_b32_e32 v9, 23, v27
	v_add_nc_u32_e32 v8, v10, v8
	v_bfe_u32 v10, v27, 21, 1
	s_delay_alu instid0(VALU_DEP_3) | instskip(NEXT) | instid1(VALU_DEP_2)
	v_xor_b32_e32 v9, 1, v9
	v_add_nc_u32_e32 v10, -1, v10
	s_delay_alu instid0(VALU_DEP_1) | instskip(SKIP_1) | instid1(VALU_DEP_1)
	v_cndmask_b32_e64 v10, 0, v10, s13
	s_mov_b32 s13, exec_lo
	v_add_nc_u32_e32 v10, v10, v27
	s_delay_alu instid0(VALU_DEP_1) | instskip(NEXT) | instid1(VALU_DEP_1)
	v_and_b32_e32 v10, 0x1fffff, v10
	v_add_nc_u32_e32 v10, v10, v27
                                        ; implicit-def: $vgpr27
	v_cmpx_ne_u32_e64 v8, v9
	s_xor_b32 s13, exec_lo, s13
; %bb.1480:                             ;   in Loop: Header=BB6_144 Depth=3
	s_delay_alu instid0(VALU_DEP_2) | instskip(SKIP_2) | instid1(VALU_DEP_2)
	v_cmp_lt_u32_e32 vcc_lo, 0xffffff, v10
	v_sub_nc_u32_e32 v8, v8, v9
	v_cndmask_b32_e64 v9, 0, 1, vcc_lo
	v_add_co_ci_u32_e32 v27, vcc_lo, 0, v8, vcc_lo
	s_delay_alu instid0(VALU_DEP_2)
	v_lshrrev_b32_e32 v10, v9, v10
; %bb.1481:                             ;   in Loop: Header=BB6_144 Depth=3
	s_and_not1_saveexec_b32 s13, s13
; %bb.1482:                             ;   in Loop: Header=BB6_144 Depth=3
	s_delay_alu instid0(VALU_DEP_1)
	v_bfe_u32 v27, v10, 23, 1
; %bb.1483:                             ;   in Loop: Header=BB6_144 Depth=3
	s_or_b32 exec_lo, exec_lo, s13
	v_lshrrev_b32_e32 v8, 21, v10
	s_delay_alu instid0(VALU_DEP_2) | instskip(SKIP_2) | instid1(VALU_DEP_4)
	v_cmp_gt_i32_e32 vcc_lo, 32, v27
	v_min_i32_e32 v9, 31, v27
	v_lshrrev_b32_e32 v2, 24, v2
	v_dual_mov_b32 v51, v128 :: v_dual_cndmask_b32 v8, 3, v8
	s_delay_alu instid0(VALU_DEP_3) | instskip(NEXT) | instid1(VALU_DEP_3)
	v_lshlrev_b32_e32 v9, 2, v9
	v_and_b32_e32 v2, 0x80, v2
	s_delay_alu instid0(VALU_DEP_3) | instskip(SKIP_1) | instid1(VALU_DEP_2)
	v_or_b32_e32 v10, v27, v8
	v_and_b32_e32 v8, 3, v8
	v_cmp_ne_u32_e32 vcc_lo, 0, v10
	v_and_b32_e32 v9, 0xfc, v9
	s_delay_alu instid0(VALU_DEP_1) | instskip(NEXT) | instid1(VALU_DEP_1)
	v_or3_b32 v2, v9, v2, v8
	v_cndmask_b32_e32 v144, 0, v2, vcc_lo
.LBB6_1484:                             ;   in Loop: Header=BB6_144 Depth=3
	s_or_b32 exec_lo, exec_lo, s36
.LBB6_1485:                             ;   in Loop: Header=BB6_144 Depth=3
	s_delay_alu instid0(SALU_CYCLE_1) | instskip(SKIP_3) | instid1(VALU_DEP_1)
	s_or_b32 exec_lo, exec_lo, s35
	v_lshrrev_b32_e32 v2, 24, v11
	s_mov_b32 s13, 0
	s_mov_b32 s36, exec_lo
                                        ; implicit-def: $sgpr35
	v_cmpx_lt_i16_e32 0x7f, v2
	s_xor_b32 s36, exec_lo, s36
	s_cbranch_execnz .LBB6_2131
; %bb.1486:                             ;   in Loop: Header=BB6_144 Depth=3
	s_or_saveexec_b32 s36, s36
	v_mov_b32_e32 v8, s35
	s_xor_b32 exec_lo, exec_lo, s36
	s_cbranch_execnz .LBB6_2134
.LBB6_1487:                             ;   in Loop: Header=BB6_144 Depth=3
	s_or_b32 exec_lo, exec_lo, s36
	s_and_saveexec_b32 s35, s13
	s_cbranch_execz .LBB6_1489
.LBB6_1488:                             ;   in Loop: Header=BB6_144 Depth=3
	v_bfe_u32 v8, v11, 24, 2
	s_delay_alu instid0(VALU_DEP_1) | instskip(NEXT) | instid1(VALU_DEP_1)
	v_clz_i32_u32_e32 v9, v8
	v_min_u32_e32 v9, 32, v9
	s_delay_alu instid0(VALU_DEP_1) | instskip(SKIP_1) | instid1(VALU_DEP_2)
	v_subrev_nc_u32_e32 v10, 29, v9
	v_sub_nc_u32_e32 v9, 30, v9
	v_lshlrev_b32_e32 v2, v10, v2
	v_bfe_u32 v10, v11, 26, 5
	s_delay_alu instid0(VALU_DEP_1) | instskip(NEXT) | instid1(VALU_DEP_3)
	v_cmp_eq_u32_e32 vcc_lo, 0, v10
	v_dual_cndmask_b32 v9, v10, v9 :: v_dual_and_b32 v2, 3, v2
	s_delay_alu instid0(VALU_DEP_1) | instskip(SKIP_1) | instid1(VALU_DEP_3)
	v_cndmask_b32_e32 v2, v8, v2, vcc_lo
	v_and_b32_e32 v8, 0x80000000, v11
	v_lshl_add_u32 v9, v9, 23, 0x37800000
	s_delay_alu instid0(VALU_DEP_3) | instskip(NEXT) | instid1(VALU_DEP_1)
	v_lshlrev_b32_e32 v2, 21, v2
	v_or3_b32 v8, v8, v9, v2
.LBB6_1489:                             ;   in Loop: Header=BB6_144 Depth=3
	s_or_b32 exec_lo, exec_lo, s35
	s_delay_alu instid0(VALU_DEP_1) | instskip(SKIP_1) | instid1(VALU_DEP_1)
	v_dual_mul_f32 v2, s34, v8 :: v_dual_mov_b32 v103, 0x8000
	s_mov_b32 s35, exec_lo
	v_and_b32_e32 v8, 0x7f800000, v2
	s_delay_alu instid0(VALU_DEP_1)
	v_cmpx_ne_u32_e32 0x7f800000, v8
	s_cbranch_execz .LBB6_1497
; %bb.1490:                             ;   in Loop: Header=BB6_144 Depth=3
	v_mov_b32_e32 v103, 0
	s_mov_b32 s36, exec_lo
	v_cmpx_ne_u32_e32 0, v2
	s_cbranch_execz .LBB6_1496
; %bb.1491:                             ;   in Loop: Header=BB6_144 Depth=3
	v_bfe_u32 v9, v2, 23, 8
	v_and_b32_e32 v8, 0x7fffff, v2
	s_delay_alu instid0(VALU_DEP_2) | instskip(SKIP_2) | instid1(VALU_DEP_4)
	v_cmp_gt_u32_e64 s13, 0x71, v9
	v_sub_nc_u32_e32 v10, 0x70, v9
	v_cmp_eq_u32_e32 vcc_lo, 0, v9
	v_or_b32_e32 v11, 0x800000, v8
	v_add_nc_u32_e32 v9, 0xffffff91, v9
	s_delay_alu instid0(VALU_DEP_4) | instskip(NEXT) | instid1(VALU_DEP_3)
	v_cndmask_b32_e64 v10, 0, v10, s13
	v_cndmask_b32_e32 v8, v11, v8, vcc_lo
	s_delay_alu instid0(VALU_DEP_2) | instskip(NEXT) | instid1(VALU_DEP_1)
	v_cndmask_b32_e64 v10, v10, 0x6f, vcc_lo
	v_lshl_add_u32 v11, 0x200000, v10, -1
	v_lshlrev_b32_e64 v27, v10, 0x100000
	s_delay_alu instid0(VALU_DEP_2) | instskip(NEXT) | instid1(VALU_DEP_1)
	v_and_b32_e32 v11, v11, v8
	v_cmp_eq_u32_e64 s13, v11, v27
	v_lshrrev_b32_e32 v11, v10, v8
	v_cndmask_b32_e64 v8, v9, 0xffffff92, vcc_lo
	s_delay_alu instid0(VALU_DEP_2) | instskip(NEXT) | instid1(VALU_DEP_2)
	v_lshrrev_b32_e32 v9, 23, v11
	v_add_nc_u32_e32 v8, v10, v8
	v_bfe_u32 v10, v11, 21, 1
	s_delay_alu instid0(VALU_DEP_3) | instskip(NEXT) | instid1(VALU_DEP_2)
	v_xor_b32_e32 v9, 1, v9
	v_add_nc_u32_e32 v10, -1, v10
	s_delay_alu instid0(VALU_DEP_1) | instskip(SKIP_1) | instid1(VALU_DEP_1)
	v_cndmask_b32_e64 v10, 0, v10, s13
	s_mov_b32 s13, exec_lo
	v_add_nc_u32_e32 v10, v10, v11
	s_delay_alu instid0(VALU_DEP_1) | instskip(NEXT) | instid1(VALU_DEP_1)
	v_and_b32_e32 v10, 0x1fffff, v10
	v_add_nc_u32_e32 v10, v10, v11
                                        ; implicit-def: $vgpr11
	v_cmpx_ne_u32_e64 v8, v9
	s_xor_b32 s13, exec_lo, s13
; %bb.1492:                             ;   in Loop: Header=BB6_144 Depth=3
	s_delay_alu instid0(VALU_DEP_2) | instskip(SKIP_2) | instid1(VALU_DEP_2)
	v_cmp_lt_u32_e32 vcc_lo, 0xffffff, v10
	v_sub_nc_u32_e32 v8, v8, v9
	v_cndmask_b32_e64 v9, 0, 1, vcc_lo
	v_add_co_ci_u32_e32 v11, vcc_lo, 0, v8, vcc_lo
	s_delay_alu instid0(VALU_DEP_2)
	v_lshrrev_b32_e32 v10, v9, v10
; %bb.1493:                             ;   in Loop: Header=BB6_144 Depth=3
	s_and_not1_saveexec_b32 s13, s13
; %bb.1494:                             ;   in Loop: Header=BB6_144 Depth=3
	s_delay_alu instid0(VALU_DEP_1)
	v_bfe_u32 v11, v10, 23, 1
; %bb.1495:                             ;   in Loop: Header=BB6_144 Depth=3
	s_or_b32 exec_lo, exec_lo, s13
	v_lshrrev_b32_e32 v8, 21, v10
	s_delay_alu instid0(VALU_DEP_2) | instskip(SKIP_2) | instid1(VALU_DEP_4)
	v_cmp_gt_i32_e32 vcc_lo, 32, v11
	v_min_i32_e32 v9, 31, v11
	v_lshrrev_b32_e32 v2, 24, v2
	v_dual_mov_b32 v51, v128 :: v_dual_cndmask_b32 v8, 3, v8
	s_delay_alu instid0(VALU_DEP_3) | instskip(NEXT) | instid1(VALU_DEP_3)
	v_lshlrev_b32_e32 v9, 2, v9
	v_and_b32_e32 v2, 0x80, v2
	s_delay_alu instid0(VALU_DEP_3) | instskip(NEXT) | instid1(VALU_DEP_3)
	v_or_b32_e32 v10, v11, v8
	v_and_b32_e32 v9, 0xfc, v9
	s_delay_alu instid0(VALU_DEP_2) | instskip(SKIP_1) | instid1(VALU_DEP_1)
	v_cmp_ne_u32_e32 vcc_lo, 0, v10
	v_and_b32_e32 v8, 3, v8
	v_or3_b32 v2, v2, v9, v8
	s_delay_alu instid0(VALU_DEP_1) | instskip(NEXT) | instid1(VALU_DEP_1)
	v_lshlrev_b32_e32 v2, 8, v2
	v_cndmask_b32_e32 v103, 0, v2, vcc_lo
.LBB6_1496:                             ;   in Loop: Header=BB6_144 Depth=3
	s_or_b32 exec_lo, exec_lo, s36
.LBB6_1497:                             ;   in Loop: Header=BB6_144 Depth=3
	s_delay_alu instid0(SALU_CYCLE_1) | instskip(SKIP_4) | instid1(VALU_DEP_1)
	s_or_b32 exec_lo, exec_lo, s35
	global_load_b128 v[8:11], v[20:21], off offset:3584 slc dlc
	s_mov_b32 s35, 0
                                        ; implicit-def: $sgpr13
	s_waitcnt vmcnt(0)
	v_and_b32_e32 v20, 0xff, v8
	v_cmp_lt_i16_e32 vcc_lo, 0x7f, v20
	s_mov_b32 s36, exec_lo
	s_clause 0x2
	scratch_load_b32 v68, off, s33 offset:320
	scratch_load_b32 v40, off, s33 offset:324
	;; [unrolled: 1-line block ×3, first 2 shown]
	v_dual_mov_b32 v42, v131 :: v_dual_mov_b32 v43, v100
	v_dual_mov_b32 v44, v134 :: v_dual_mov_b32 v45, v135
	;; [unrolled: 1-line block ×30, first 2 shown]
	v_mov_b32_e32 v173, v26
	v_mov_b32_e32 v27, v174
	;; [unrolled: 1-line block ×6, first 2 shown]
	s_and_b32 vcc_lo, s36, vcc_lo
	s_delay_alu instid0(SALU_CYCLE_1)
	s_xor_b32 s36, vcc_lo, s36
	s_mov_b32 exec_lo, vcc_lo
	s_cbranch_execnz .LBB6_2135
; %bb.1498:                             ;   in Loop: Header=BB6_144 Depth=3
	s_or_saveexec_b32 s36, s36
	v_mov_b32_e32 v2, s13
	s_xor_b32 exec_lo, exec_lo, s36
	s_cbranch_execnz .LBB6_2138
.LBB6_1499:                             ;   in Loop: Header=BB6_144 Depth=3
	s_or_b32 exec_lo, exec_lo, s36
	s_and_saveexec_b32 s13, s35
	s_cbranch_execz .LBB6_1501
.LBB6_1500:                             ;   in Loop: Header=BB6_144 Depth=3
	v_and_b32_e32 v2, 3, v8
	v_bfe_u32 v20, v8, 2, 5
	s_delay_alu instid0(VALU_DEP_2) | instskip(NEXT) | instid1(VALU_DEP_2)
	v_clz_i32_u32_e32 v21, v2
	v_cmp_eq_u32_e32 vcc_lo, 0, v20
	s_delay_alu instid0(VALU_DEP_2) | instskip(NEXT) | instid1(VALU_DEP_1)
	v_min_u32_e32 v21, 32, v21
	v_subrev_nc_u32_e32 v49, 29, v21
	v_sub_nc_u32_e32 v21, 30, v21
	s_delay_alu instid0(VALU_DEP_1) | instskip(SKIP_1) | instid1(VALU_DEP_2)
	v_dual_cndmask_b32 v20, v20, v21 :: v_dual_lshlrev_b32 v49, v49, v8
	v_lshlrev_b32_e32 v21, 24, v8
	v_and_b32_e32 v49, 3, v49
	s_delay_alu instid0(VALU_DEP_3) | instskip(NEXT) | instid1(VALU_DEP_3)
	v_lshl_add_u32 v20, v20, 23, 0x37800000
	v_and_b32_e32 v21, 0x80000000, v21
	s_delay_alu instid0(VALU_DEP_3) | instskip(NEXT) | instid1(VALU_DEP_1)
	v_cndmask_b32_e32 v2, v2, v49, vcc_lo
	v_lshlrev_b32_e32 v2, 21, v2
	s_delay_alu instid0(VALU_DEP_1)
	v_or3_b32 v2, v21, v20, v2
.LBB6_1501:                             ;   in Loop: Header=BB6_144 Depth=3
	s_or_b32 exec_lo, exec_lo, s13
	s_delay_alu instid0(VALU_DEP_1) | instskip(NEXT) | instid1(VALU_DEP_1)
	v_mul_f32_e32 v2, s34, v2
	v_and_b32_e32 v20, 0x7f800000, v2
	s_delay_alu instid0(VALU_DEP_1)
	v_cmp_ne_u32_e32 vcc_lo, 0x7f800000, v20
	v_mov_b32_e32 v20, 0x80
	s_and_saveexec_b32 s35, vcc_lo
	s_cbranch_execz .LBB6_1509
; %bb.1502:                             ;   in Loop: Header=BB6_144 Depth=3
	v_mov_b32_e32 v20, 0
	s_mov_b32 s36, exec_lo
	v_cmpx_ne_u32_e32 0, v2
	s_cbranch_execz .LBB6_1508
; %bb.1503:                             ;   in Loop: Header=BB6_144 Depth=3
	v_bfe_u32 v21, v2, 23, 8
	v_and_b32_e32 v20, 0x7fffff, v2
	s_delay_alu instid0(VALU_DEP_2) | instskip(SKIP_2) | instid1(VALU_DEP_4)
	v_cmp_gt_u32_e64 s13, 0x71, v21
	v_sub_nc_u32_e32 v27, 0x70, v21
	v_cmp_eq_u32_e32 vcc_lo, 0, v21
	v_or_b32_e32 v37, 0x800000, v20
	v_add_nc_u32_e32 v21, 0xffffff91, v21
	s_delay_alu instid0(VALU_DEP_4) | instskip(NEXT) | instid1(VALU_DEP_3)
	v_cndmask_b32_e64 v27, 0, v27, s13
	v_cndmask_b32_e32 v20, v37, v20, vcc_lo
	s_delay_alu instid0(VALU_DEP_2) | instskip(NEXT) | instid1(VALU_DEP_1)
	v_cndmask_b32_e64 v27, v27, 0x6f, vcc_lo
	v_lshl_add_u32 v37, 0x200000, v27, -1
	v_lshlrev_b32_e64 v39, v27, 0x100000
	s_delay_alu instid0(VALU_DEP_2) | instskip(NEXT) | instid1(VALU_DEP_1)
	v_and_b32_e32 v37, v37, v20
	v_cmp_eq_u32_e64 s13, v37, v39
	v_lshrrev_b32_e32 v37, v27, v20
	v_cndmask_b32_e64 v20, v21, 0xffffff92, vcc_lo
	s_delay_alu instid0(VALU_DEP_2) | instskip(NEXT) | instid1(VALU_DEP_2)
	v_lshrrev_b32_e32 v21, 23, v37
	v_add_nc_u32_e32 v20, v27, v20
	v_bfe_u32 v27, v37, 21, 1
	s_delay_alu instid0(VALU_DEP_3) | instskip(NEXT) | instid1(VALU_DEP_2)
	v_xor_b32_e32 v21, 1, v21
	v_add_nc_u32_e32 v27, -1, v27
	s_delay_alu instid0(VALU_DEP_1) | instskip(SKIP_1) | instid1(VALU_DEP_1)
	v_cndmask_b32_e64 v27, 0, v27, s13
	s_mov_b32 s13, exec_lo
	v_add_nc_u32_e32 v27, v27, v37
	s_delay_alu instid0(VALU_DEP_1) | instskip(NEXT) | instid1(VALU_DEP_1)
	v_and_b32_e32 v27, 0x1fffff, v27
	v_add_nc_u32_e32 v37, v27, v37
                                        ; implicit-def: $vgpr27
	v_cmpx_ne_u32_e64 v20, v21
	s_xor_b32 s13, exec_lo, s13
; %bb.1504:                             ;   in Loop: Header=BB6_144 Depth=3
	s_delay_alu instid0(VALU_DEP_2) | instskip(SKIP_2) | instid1(VALU_DEP_2)
	v_cmp_lt_u32_e32 vcc_lo, 0xffffff, v37
	v_sub_nc_u32_e32 v20, v20, v21
	v_cndmask_b32_e64 v21, 0, 1, vcc_lo
	v_add_co_ci_u32_e32 v27, vcc_lo, 0, v20, vcc_lo
	s_delay_alu instid0(VALU_DEP_2)
	v_lshrrev_b32_e32 v37, v21, v37
; %bb.1505:                             ;   in Loop: Header=BB6_144 Depth=3
	s_and_not1_saveexec_b32 s13, s13
; %bb.1506:                             ;   in Loop: Header=BB6_144 Depth=3
	s_delay_alu instid0(VALU_DEP_1)
	v_bfe_u32 v27, v37, 23, 1
; %bb.1507:                             ;   in Loop: Header=BB6_144 Depth=3
	s_or_b32 exec_lo, exec_lo, s13
	s_clause 0x2
	scratch_load_b32 v68, off, s33 offset:320
	scratch_load_b32 v40, off, s33 offset:324
	;; [unrolled: 1-line block ×3, first 2 shown]
	v_lshrrev_b32_e32 v20, 21, v37
	v_cmp_gt_i32_e32 vcc_lo, 32, v27
	v_lshrrev_b32_e32 v2, 24, v2
	v_min_i32_e32 v21, 31, v27
	v_dual_mov_b32 v43, v100 :: v_dual_mov_b32 v42, v131
	v_dual_mov_b32 v57, v113 :: v_dual_cndmask_b32 v20, 3, v20
	s_delay_alu instid0(VALU_DEP_3) | instskip(SKIP_2) | instid1(VALU_DEP_4)
	v_lshlrev_b32_e32 v21, 2, v21
	v_dual_mov_b32 v45, v135 :: v_dual_and_b32 v2, 0x80, v2
	v_dual_mov_b32 v44, v134 :: v_dual_mov_b32 v59, v145
	v_or_b32_e32 v27, v27, v20
	v_and_b32_e32 v20, 3, v20
	v_dual_mov_b32 v46, v116 :: v_dual_mov_b32 v61, v102
	v_dual_mov_b32 v56, v13 :: v_dual_mov_b32 v63, v98
	s_delay_alu instid0(VALU_DEP_3) | instskip(SKIP_3) | instid1(VALU_DEP_4)
	v_or3_b32 v2, v21, v2, v20
	v_cmp_ne_u32_e32 vcc_lo, 0, v27
	v_dual_mov_b32 v47, v117 :: v_dual_mov_b32 v58, v112
	v_dual_mov_b32 v53, v73 :: v_dual_mov_b32 v60, v146
	v_dual_mov_b32 v77, v80 :: v_dual_cndmask_b32 v20, 0, v2
	v_dual_mov_b32 v62, v118 :: v_dual_mov_b32 v89, v147
	v_dual_mov_b32 v72, v101 :: v_dual_mov_b32 v75, v70
	;; [unrolled: 1-line block ×24, first 2 shown]
	v_mov_b32_e32 v185, v126
	v_mov_b32_e32 v187, v127
	;; [unrolled: 1-line block ×4, first 2 shown]
.LBB6_1508:                             ;   in Loop: Header=BB6_144 Depth=3
	s_or_b32 exec_lo, exec_lo, s36
.LBB6_1509:                             ;   in Loop: Header=BB6_144 Depth=3
	s_delay_alu instid0(SALU_CYCLE_1) | instskip(SKIP_3) | instid1(VALU_DEP_1)
	s_or_b32 exec_lo, exec_lo, s35
	v_lshrrev_b16 v2, 8, v8
	s_mov_b32 s35, 0
	s_mov_b32 s36, exec_lo
                                        ; implicit-def: $sgpr13
	v_cmpx_lt_i16_e32 0x7f, v2
	s_xor_b32 s36, exec_lo, s36
	s_cbranch_execnz .LBB6_2139
; %bb.1510:                             ;   in Loop: Header=BB6_144 Depth=3
	s_or_saveexec_b32 s36, s36
	v_mov_b32_e32 v21, s13
	s_xor_b32 exec_lo, exec_lo, s36
	s_cbranch_execnz .LBB6_2142
.LBB6_1511:                             ;   in Loop: Header=BB6_144 Depth=3
	s_or_b32 exec_lo, exec_lo, s36
	s_and_saveexec_b32 s13, s35
	s_cbranch_execz .LBB6_1513
.LBB6_1512:                             ;   in Loop: Header=BB6_144 Depth=3
	v_and_b32_e32 v21, 0xffff, v2
	s_delay_alu instid0(VALU_DEP_1) | instskip(NEXT) | instid1(VALU_DEP_1)
	v_and_b32_e32 v49, 3, v21
	v_clz_i32_u32_e32 v54, v49
	s_delay_alu instid0(VALU_DEP_1) | instskip(NEXT) | instid1(VALU_DEP_1)
	v_min_u32_e32 v54, 32, v54
	v_subrev_nc_u32_e32 v55, 29, v54
	v_sub_nc_u32_e32 v54, 30, v54
	s_delay_alu instid0(VALU_DEP_2) | instskip(SKIP_1) | instid1(VALU_DEP_2)
	v_lshlrev_b32_e32 v55, v55, v21
	v_bfe_u32 v21, v21, 2, 5
	v_and_b32_e32 v55, 3, v55
	s_delay_alu instid0(VALU_DEP_2) | instskip(NEXT) | instid1(VALU_DEP_2)
	v_cmp_eq_u32_e32 vcc_lo, 0, v21
	v_dual_cndmask_b32 v49, v49, v55 :: v_dual_lshlrev_b32 v2, 24, v2
	v_cndmask_b32_e32 v21, v21, v54, vcc_lo
	s_delay_alu instid0(VALU_DEP_2) | instskip(NEXT) | instid1(VALU_DEP_3)
	v_and_b32_e32 v2, 0x80000000, v2
	v_lshlrev_b32_e32 v49, 21, v49
	s_delay_alu instid0(VALU_DEP_3) | instskip(NEXT) | instid1(VALU_DEP_1)
	v_lshl_add_u32 v21, v21, 23, 0x37800000
	v_or3_b32 v21, v2, v21, v49
.LBB6_1513:                             ;   in Loop: Header=BB6_144 Depth=3
	s_or_b32 exec_lo, exec_lo, s13
	s_delay_alu instid0(VALU_DEP_1) | instskip(NEXT) | instid1(VALU_DEP_1)
	v_mul_f32_e32 v2, s34, v21
	v_and_b32_e32 v21, 0x7f800000, v2
	s_delay_alu instid0(VALU_DEP_1)
	v_cmp_ne_u32_e32 vcc_lo, 0x7f800000, v21
	v_mov_b32_e32 v21, 0x80
	s_and_saveexec_b32 s35, vcc_lo
	s_cbranch_execz .LBB6_1521
; %bb.1514:                             ;   in Loop: Header=BB6_144 Depth=3
	v_mov_b32_e32 v21, 0
	s_mov_b32 s36, exec_lo
	v_cmpx_ne_u32_e32 0, v2
	s_cbranch_execz .LBB6_1520
; %bb.1515:                             ;   in Loop: Header=BB6_144 Depth=3
	v_bfe_u32 v27, v2, 23, 8
	v_and_b32_e32 v21, 0x7fffff, v2
	s_delay_alu instid0(VALU_DEP_2) | instskip(SKIP_2) | instid1(VALU_DEP_4)
	v_cmp_gt_u32_e64 s13, 0x71, v27
	v_sub_nc_u32_e32 v37, 0x70, v27
	v_cmp_eq_u32_e32 vcc_lo, 0, v27
	v_or_b32_e32 v39, 0x800000, v21
	v_add_nc_u32_e32 v27, 0xffffff91, v27
	s_delay_alu instid0(VALU_DEP_4) | instskip(NEXT) | instid1(VALU_DEP_3)
	v_cndmask_b32_e64 v37, 0, v37, s13
	v_cndmask_b32_e32 v21, v39, v21, vcc_lo
	s_delay_alu instid0(VALU_DEP_2) | instskip(NEXT) | instid1(VALU_DEP_1)
	v_cndmask_b32_e64 v37, v37, 0x6f, vcc_lo
	v_lshl_add_u32 v39, 0x200000, v37, -1
	v_lshlrev_b32_e64 v49, v37, 0x100000
	s_delay_alu instid0(VALU_DEP_2) | instskip(NEXT) | instid1(VALU_DEP_1)
	v_and_b32_e32 v39, v39, v21
	v_cmp_eq_u32_e64 s13, v39, v49
	v_lshrrev_b32_e32 v39, v37, v21
	v_cndmask_b32_e64 v21, v27, 0xffffff92, vcc_lo
	s_delay_alu instid0(VALU_DEP_2) | instskip(NEXT) | instid1(VALU_DEP_2)
	v_lshrrev_b32_e32 v27, 23, v39
	v_add_nc_u32_e32 v21, v37, v21
	v_bfe_u32 v37, v39, 21, 1
	s_delay_alu instid0(VALU_DEP_3) | instskip(NEXT) | instid1(VALU_DEP_2)
	v_xor_b32_e32 v27, 1, v27
	v_add_nc_u32_e32 v37, -1, v37
	s_delay_alu instid0(VALU_DEP_1) | instskip(SKIP_1) | instid1(VALU_DEP_1)
	v_cndmask_b32_e64 v37, 0, v37, s13
	s_mov_b32 s13, exec_lo
	v_add_nc_u32_e32 v37, v37, v39
	s_delay_alu instid0(VALU_DEP_1) | instskip(NEXT) | instid1(VALU_DEP_1)
	v_and_b32_e32 v37, 0x1fffff, v37
	v_add_nc_u32_e32 v39, v37, v39
                                        ; implicit-def: $vgpr37
	v_cmpx_ne_u32_e64 v21, v27
	s_xor_b32 s13, exec_lo, s13
; %bb.1516:                             ;   in Loop: Header=BB6_144 Depth=3
	s_delay_alu instid0(VALU_DEP_2) | instskip(SKIP_2) | instid1(VALU_DEP_2)
	v_cmp_lt_u32_e32 vcc_lo, 0xffffff, v39
	v_sub_nc_u32_e32 v21, v21, v27
	v_cndmask_b32_e64 v27, 0, 1, vcc_lo
	v_add_co_ci_u32_e32 v37, vcc_lo, 0, v21, vcc_lo
	s_delay_alu instid0(VALU_DEP_2)
	v_lshrrev_b32_e32 v39, v27, v39
; %bb.1517:                             ;   in Loop: Header=BB6_144 Depth=3
	s_and_not1_saveexec_b32 s13, s13
; %bb.1518:                             ;   in Loop: Header=BB6_144 Depth=3
	s_delay_alu instid0(VALU_DEP_1)
	v_bfe_u32 v37, v39, 23, 1
; %bb.1519:                             ;   in Loop: Header=BB6_144 Depth=3
	s_or_b32 exec_lo, exec_lo, s13
	s_clause 0x2
	scratch_load_b32 v68, off, s33 offset:320
	scratch_load_b32 v40, off, s33 offset:324
	;; [unrolled: 1-line block ×3, first 2 shown]
	v_lshrrev_b32_e32 v2, 24, v2
	v_lshrrev_b32_e32 v21, 21, v39
	v_cmp_gt_i32_e32 vcc_lo, 32, v37
	v_min_i32_e32 v27, 31, v37
	v_mov_b32_e32 v44, v134
	v_dual_mov_b32 v43, v100 :: v_dual_and_b32 v2, 0x80, v2
	v_dual_mov_b32 v56, v13 :: v_dual_cndmask_b32 v21, 3, v21
	s_delay_alu instid0(VALU_DEP_4) | instskip(SKIP_1) | instid1(VALU_DEP_3)
	v_dual_mov_b32 v42, v131 :: v_dual_lshlrev_b32 v27, 2, v27
	v_dual_mov_b32 v45, v135 :: v_dual_mov_b32 v58, v112
	v_or_b32_e32 v37, v37, v21
	v_and_b32_e32 v21, 3, v21
	v_dual_mov_b32 v47, v117 :: v_dual_mov_b32 v60, v146
	v_dual_mov_b32 v57, v113 :: v_dual_mov_b32 v62, v118
	s_delay_alu instid0(VALU_DEP_3) | instskip(SKIP_3) | instid1(VALU_DEP_4)
	v_or3_b32 v2, v27, v2, v21
	v_cmp_ne_u32_e32 vcc_lo, 0, v37
	v_dual_mov_b32 v46, v116 :: v_dual_mov_b32 v59, v145
	v_dual_mov_b32 v74, v52 :: v_dual_mov_b32 v61, v102
	v_dual_mov_b32 v72, v101 :: v_dual_cndmask_b32 v21, 0, v2
	v_dual_mov_b32 v63, v98 :: v_dual_mov_b32 v76, v71
	v_dual_mov_b32 v53, v73 :: v_dual_mov_b32 v88, v83
	;; [unrolled: 1-line block ×21, first 2 shown]
	v_mov_b32_e32 v37, v168
	v_mov_b32_e32 v169, v120
	v_mov_b32_e32 v171, v121
	v_mov_b32_e32 v173, v26
	v_mov_b32_e32 v27, v174
	v_mov_b32_e32 v175, v123
	v_mov_b32_e32 v185, v126
	v_mov_b32_e32 v187, v127
	v_mov_b32_e32 v133, v48
	v_mov_b32_e32 v51, v128
.LBB6_1520:                             ;   in Loop: Header=BB6_144 Depth=3
	s_or_b32 exec_lo, exec_lo, s36
.LBB6_1521:                             ;   in Loop: Header=BB6_144 Depth=3
	s_delay_alu instid0(SALU_CYCLE_1) | instskip(SKIP_3) | instid1(VALU_DEP_1)
	s_or_b32 exec_lo, exec_lo, s35
	v_lshrrev_b32_e32 v2, 16, v8
	s_mov_b32 s13, 0
	s_mov_b32 s36, exec_lo
                                        ; implicit-def: $sgpr35
	v_and_b32_e32 v54, 0xff, v2
	s_delay_alu instid0(VALU_DEP_1)
	v_cmpx_lt_i16_e32 0x7f, v54
	s_xor_b32 s36, exec_lo, s36
	s_cbranch_execnz .LBB6_2143
; %bb.1522:                             ;   in Loop: Header=BB6_144 Depth=3
	s_or_saveexec_b32 s36, s36
	v_mov_b32_e32 v49, s35
	s_xor_b32 exec_lo, exec_lo, s36
	s_cbranch_execnz .LBB6_2146
.LBB6_1523:                             ;   in Loop: Header=BB6_144 Depth=3
	s_or_b32 exec_lo, exec_lo, s36
	s_and_saveexec_b32 s35, s13
	s_cbranch_execz .LBB6_1525
.LBB6_1524:                             ;   in Loop: Header=BB6_144 Depth=3
	v_bfe_u32 v49, v8, 16, 2
	s_delay_alu instid0(VALU_DEP_1) | instskip(NEXT) | instid1(VALU_DEP_1)
	v_clz_i32_u32_e32 v54, v49
	v_min_u32_e32 v54, 32, v54
	s_delay_alu instid0(VALU_DEP_1) | instskip(SKIP_1) | instid1(VALU_DEP_2)
	v_subrev_nc_u32_e32 v55, 29, v54
	v_sub_nc_u32_e32 v54, 30, v54
	v_lshlrev_b32_e32 v2, v55, v2
	v_bfe_u32 v55, v8, 18, 5
	s_delay_alu instid0(VALU_DEP_2) | instskip(NEXT) | instid1(VALU_DEP_2)
	v_and_b32_e32 v2, 3, v2
	v_cmp_eq_u32_e32 vcc_lo, 0, v55
	v_dual_cndmask_b32 v54, v55, v54 :: v_dual_lshlrev_b32 v69, 8, v8
	s_delay_alu instid0(VALU_DEP_1) | instskip(NEXT) | instid1(VALU_DEP_2)
	v_dual_cndmask_b32 v2, v49, v2 :: v_dual_and_b32 v49, 0x80000000, v69
	v_lshl_add_u32 v54, v54, 23, 0x37800000
	s_delay_alu instid0(VALU_DEP_2) | instskip(NEXT) | instid1(VALU_DEP_1)
	v_lshlrev_b32_e32 v2, 21, v2
	v_or3_b32 v49, v49, v54, v2
.LBB6_1525:                             ;   in Loop: Header=BB6_144 Depth=3
	s_or_b32 exec_lo, exec_lo, s35
	s_delay_alu instid0(VALU_DEP_1) | instskip(SKIP_1) | instid1(VALU_DEP_1)
	v_dual_mul_f32 v2, s34, v49 :: v_dual_mov_b32 v69, 0x80
	s_mov_b32 s35, exec_lo
	v_and_b32_e32 v49, 0x7f800000, v2
	s_delay_alu instid0(VALU_DEP_1)
	v_cmpx_ne_u32_e32 0x7f800000, v49
	s_cbranch_execz .LBB6_1533
; %bb.1526:                             ;   in Loop: Header=BB6_144 Depth=3
	v_mov_b32_e32 v69, 0
	s_mov_b32 s36, exec_lo
	v_cmpx_ne_u32_e32 0, v2
	s_cbranch_execz .LBB6_1532
; %bb.1527:                             ;   in Loop: Header=BB6_144 Depth=3
	v_bfe_u32 v37, v2, 23, 8
	v_and_b32_e32 v27, 0x7fffff, v2
	s_delay_alu instid0(VALU_DEP_2) | instskip(SKIP_2) | instid1(VALU_DEP_4)
	v_cmp_gt_u32_e64 s13, 0x71, v37
	v_sub_nc_u32_e32 v39, 0x70, v37
	v_cmp_eq_u32_e32 vcc_lo, 0, v37
	v_or_b32_e32 v49, 0x800000, v27
	v_add_nc_u32_e32 v37, 0xffffff91, v37
	s_delay_alu instid0(VALU_DEP_4) | instskip(NEXT) | instid1(VALU_DEP_3)
	v_cndmask_b32_e64 v39, 0, v39, s13
	v_cndmask_b32_e32 v27, v49, v27, vcc_lo
	s_delay_alu instid0(VALU_DEP_2) | instskip(NEXT) | instid1(VALU_DEP_1)
	v_cndmask_b32_e64 v39, v39, 0x6f, vcc_lo
	v_lshl_add_u32 v49, 0x200000, v39, -1
	v_lshlrev_b32_e64 v53, v39, 0x100000
	s_delay_alu instid0(VALU_DEP_2) | instskip(NEXT) | instid1(VALU_DEP_1)
	v_and_b32_e32 v49, v49, v27
	v_cmp_eq_u32_e64 s13, v49, v53
	v_lshrrev_b32_e32 v49, v39, v27
	v_cndmask_b32_e64 v27, v37, 0xffffff92, vcc_lo
	s_delay_alu instid0(VALU_DEP_2) | instskip(NEXT) | instid1(VALU_DEP_2)
	v_lshrrev_b32_e32 v37, 23, v49
	v_add_nc_u32_e32 v27, v39, v27
	v_bfe_u32 v39, v49, 21, 1
	s_delay_alu instid0(VALU_DEP_3) | instskip(NEXT) | instid1(VALU_DEP_2)
	v_xor_b32_e32 v37, 1, v37
	v_add_nc_u32_e32 v39, -1, v39
	s_delay_alu instid0(VALU_DEP_1) | instskip(SKIP_1) | instid1(VALU_DEP_1)
	v_cndmask_b32_e64 v39, 0, v39, s13
	s_mov_b32 s13, exec_lo
	v_add_nc_u32_e32 v39, v39, v49
	s_delay_alu instid0(VALU_DEP_1) | instskip(NEXT) | instid1(VALU_DEP_1)
	v_and_b32_e32 v39, 0x1fffff, v39
	v_add_nc_u32_e32 v49, v39, v49
                                        ; implicit-def: $vgpr39
	v_cmpx_ne_u32_e64 v27, v37
	s_xor_b32 s13, exec_lo, s13
; %bb.1528:                             ;   in Loop: Header=BB6_144 Depth=3
	s_delay_alu instid0(VALU_DEP_2) | instskip(SKIP_2) | instid1(VALU_DEP_2)
	v_cmp_lt_u32_e32 vcc_lo, 0xffffff, v49
	v_sub_nc_u32_e32 v27, v27, v37
	v_cndmask_b32_e64 v37, 0, 1, vcc_lo
	v_add_co_ci_u32_e32 v39, vcc_lo, 0, v27, vcc_lo
	s_delay_alu instid0(VALU_DEP_2)
	v_lshrrev_b32_e32 v49, v37, v49
; %bb.1529:                             ;   in Loop: Header=BB6_144 Depth=3
	s_and_not1_saveexec_b32 s13, s13
; %bb.1530:                             ;   in Loop: Header=BB6_144 Depth=3
	s_delay_alu instid0(VALU_DEP_1)
	v_bfe_u32 v39, v49, 23, 1
; %bb.1531:                             ;   in Loop: Header=BB6_144 Depth=3
	s_or_b32 exec_lo, exec_lo, s13
	s_clause 0x2
	scratch_load_b32 v68, off, s33 offset:320
	scratch_load_b32 v40, off, s33 offset:324
	;; [unrolled: 1-line block ×3, first 2 shown]
	v_lshrrev_b32_e32 v2, 24, v2
	v_lshrrev_b32_e32 v27, 21, v49
	v_cmp_gt_i32_e32 vcc_lo, 32, v39
	v_min_i32_e32 v37, 31, v39
	v_mov_b32_e32 v44, v134
	v_dual_mov_b32 v43, v100 :: v_dual_and_b32 v2, 0x80, v2
	v_dual_mov_b32 v56, v13 :: v_dual_cndmask_b32 v27, 3, v27
	s_delay_alu instid0(VALU_DEP_4) | instskip(SKIP_1) | instid1(VALU_DEP_3)
	v_dual_mov_b32 v42, v131 :: v_dual_lshlrev_b32 v37, 2, v37
	v_dual_mov_b32 v45, v135 :: v_dual_mov_b32 v58, v112
	v_or_b32_e32 v39, v39, v27
	v_and_b32_e32 v27, 3, v27
	v_dual_mov_b32 v47, v117 :: v_dual_mov_b32 v60, v146
	v_dual_mov_b32 v57, v113 :: v_dual_mov_b32 v62, v118
	s_delay_alu instid0(VALU_DEP_3) | instskip(SKIP_3) | instid1(VALU_DEP_4)
	v_or3_b32 v2, v37, v2, v27
	v_cmp_ne_u32_e32 vcc_lo, 0, v39
	v_dual_mov_b32 v46, v116 :: v_dual_mov_b32 v59, v145
	v_dual_mov_b32 v74, v52 :: v_dual_mov_b32 v61, v102
	v_dual_mov_b32 v72, v101 :: v_dual_cndmask_b32 v69, 0, v2
	v_dual_mov_b32 v63, v98 :: v_dual_mov_b32 v76, v71
	v_dual_mov_b32 v53, v73 :: v_dual_mov_b32 v88, v83
	;; [unrolled: 1-line block ×21, first 2 shown]
	v_mov_b32_e32 v37, v168
	v_mov_b32_e32 v169, v120
	;; [unrolled: 1-line block ×10, first 2 shown]
.LBB6_1532:                             ;   in Loop: Header=BB6_144 Depth=3
	s_or_b32 exec_lo, exec_lo, s36
.LBB6_1533:                             ;   in Loop: Header=BB6_144 Depth=3
	s_delay_alu instid0(SALU_CYCLE_1) | instskip(SKIP_3) | instid1(VALU_DEP_1)
	s_or_b32 exec_lo, exec_lo, s35
	v_lshrrev_b32_e32 v2, 24, v8
	s_mov_b32 s13, 0
	s_mov_b32 s36, exec_lo
                                        ; implicit-def: $sgpr35
	v_cmpx_lt_i16_e32 0x7f, v2
	s_xor_b32 s36, exec_lo, s36
	s_cbranch_execnz .LBB6_2147
; %bb.1534:                             ;   in Loop: Header=BB6_144 Depth=3
	s_or_saveexec_b32 s36, s36
	v_mov_b32_e32 v49, s35
	s_xor_b32 exec_lo, exec_lo, s36
	s_cbranch_execnz .LBB6_2150
.LBB6_1535:                             ;   in Loop: Header=BB6_144 Depth=3
	s_or_b32 exec_lo, exec_lo, s36
	s_and_saveexec_b32 s35, s13
	s_cbranch_execz .LBB6_1537
.LBB6_1536:                             ;   in Loop: Header=BB6_144 Depth=3
	v_bfe_u32 v49, v8, 24, 2
	s_delay_alu instid0(VALU_DEP_1) | instskip(NEXT) | instid1(VALU_DEP_1)
	v_clz_i32_u32_e32 v54, v49
	v_min_u32_e32 v54, 32, v54
	s_delay_alu instid0(VALU_DEP_1) | instskip(SKIP_1) | instid1(VALU_DEP_2)
	v_subrev_nc_u32_e32 v55, 29, v54
	v_sub_nc_u32_e32 v54, 30, v54
	v_lshlrev_b32_e32 v2, v55, v2
	v_bfe_u32 v55, v8, 26, 5
	v_and_b32_e32 v8, 0x80000000, v8
	s_delay_alu instid0(VALU_DEP_3) | instskip(NEXT) | instid1(VALU_DEP_3)
	v_and_b32_e32 v2, 3, v2
	v_cmp_eq_u32_e32 vcc_lo, 0, v55
	v_cndmask_b32_e32 v54, v55, v54, vcc_lo
	s_delay_alu instid0(VALU_DEP_3) | instskip(NEXT) | instid1(VALU_DEP_2)
	v_cndmask_b32_e32 v2, v49, v2, vcc_lo
	v_lshl_add_u32 v49, v54, 23, 0x37800000
	s_delay_alu instid0(VALU_DEP_2) | instskip(NEXT) | instid1(VALU_DEP_1)
	v_lshlrev_b32_e32 v2, 21, v2
	v_or3_b32 v49, v8, v49, v2
.LBB6_1537:                             ;   in Loop: Header=BB6_144 Depth=3
	s_or_b32 exec_lo, exec_lo, s35
	s_delay_alu instid0(VALU_DEP_1) | instskip(NEXT) | instid1(VALU_DEP_1)
	v_mul_f32_e32 v2, s34, v49
	v_and_b32_e32 v8, 0x7f800000, v2
	s_delay_alu instid0(VALU_DEP_1)
	v_cmp_ne_u32_e32 vcc_lo, 0x7f800000, v8
	v_mov_b32_e32 v8, 0x80
	s_and_saveexec_b32 s35, vcc_lo
	s_cbranch_execz .LBB6_1545
; %bb.1538:                             ;   in Loop: Header=BB6_144 Depth=3
	v_mov_b32_e32 v8, 0
	s_mov_b32 s36, exec_lo
	v_cmpx_ne_u32_e32 0, v2
	s_cbranch_execz .LBB6_1544
; %bb.1539:                             ;   in Loop: Header=BB6_144 Depth=3
	v_bfe_u32 v27, v2, 23, 8
	v_and_b32_e32 v8, 0x7fffff, v2
	s_delay_alu instid0(VALU_DEP_2) | instskip(SKIP_2) | instid1(VALU_DEP_4)
	v_cmp_gt_u32_e64 s13, 0x71, v27
	v_sub_nc_u32_e32 v37, 0x70, v27
	v_cmp_eq_u32_e32 vcc_lo, 0, v27
	v_or_b32_e32 v39, 0x800000, v8
	v_add_nc_u32_e32 v27, 0xffffff91, v27
	s_delay_alu instid0(VALU_DEP_4) | instskip(NEXT) | instid1(VALU_DEP_3)
	v_cndmask_b32_e64 v37, 0, v37, s13
	v_cndmask_b32_e32 v8, v39, v8, vcc_lo
	s_delay_alu instid0(VALU_DEP_2) | instskip(NEXT) | instid1(VALU_DEP_1)
	v_cndmask_b32_e64 v37, v37, 0x6f, vcc_lo
	v_lshl_add_u32 v39, 0x200000, v37, -1
	v_lshlrev_b32_e64 v49, v37, 0x100000
	s_delay_alu instid0(VALU_DEP_2) | instskip(NEXT) | instid1(VALU_DEP_1)
	v_and_b32_e32 v39, v39, v8
	v_cmp_eq_u32_e64 s13, v39, v49
	v_lshrrev_b32_e32 v39, v37, v8
	v_cndmask_b32_e64 v8, v27, 0xffffff92, vcc_lo
	s_delay_alu instid0(VALU_DEP_2) | instskip(NEXT) | instid1(VALU_DEP_2)
	v_lshrrev_b32_e32 v27, 23, v39
	v_add_nc_u32_e32 v8, v37, v8
	v_bfe_u32 v37, v39, 21, 1
	s_delay_alu instid0(VALU_DEP_3) | instskip(NEXT) | instid1(VALU_DEP_2)
	v_xor_b32_e32 v27, 1, v27
	v_add_nc_u32_e32 v37, -1, v37
	s_delay_alu instid0(VALU_DEP_1) | instskip(SKIP_1) | instid1(VALU_DEP_1)
	v_cndmask_b32_e64 v37, 0, v37, s13
	s_mov_b32 s13, exec_lo
	v_add_nc_u32_e32 v37, v37, v39
	s_delay_alu instid0(VALU_DEP_1) | instskip(NEXT) | instid1(VALU_DEP_1)
	v_and_b32_e32 v37, 0x1fffff, v37
	v_add_nc_u32_e32 v39, v37, v39
                                        ; implicit-def: $vgpr37
	v_cmpx_ne_u32_e64 v8, v27
	s_xor_b32 s13, exec_lo, s13
; %bb.1540:                             ;   in Loop: Header=BB6_144 Depth=3
	s_delay_alu instid0(VALU_DEP_2) | instskip(SKIP_2) | instid1(VALU_DEP_2)
	v_cmp_lt_u32_e32 vcc_lo, 0xffffff, v39
	v_sub_nc_u32_e32 v8, v8, v27
	v_cndmask_b32_e64 v27, 0, 1, vcc_lo
	v_add_co_ci_u32_e32 v37, vcc_lo, 0, v8, vcc_lo
	s_delay_alu instid0(VALU_DEP_2)
	v_lshrrev_b32_e32 v39, v27, v39
; %bb.1541:                             ;   in Loop: Header=BB6_144 Depth=3
	s_and_not1_saveexec_b32 s13, s13
; %bb.1542:                             ;   in Loop: Header=BB6_144 Depth=3
	s_delay_alu instid0(VALU_DEP_1)
	v_bfe_u32 v37, v39, 23, 1
; %bb.1543:                             ;   in Loop: Header=BB6_144 Depth=3
	s_or_b32 exec_lo, exec_lo, s13
	s_clause 0x2
	scratch_load_b32 v68, off, s33 offset:320
	scratch_load_b32 v40, off, s33 offset:324
	;; [unrolled: 1-line block ×3, first 2 shown]
	v_lshrrev_b32_e32 v8, 21, v39
	v_cmp_gt_i32_e32 vcc_lo, 32, v37
	v_lshrrev_b32_e32 v2, 24, v2
	v_min_i32_e32 v27, 31, v37
	v_dual_mov_b32 v43, v100 :: v_dual_mov_b32 v42, v131
	v_dual_mov_b32 v57, v113 :: v_dual_cndmask_b32 v8, 3, v8
	s_delay_alu instid0(VALU_DEP_3) | instskip(SKIP_2) | instid1(VALU_DEP_4)
	v_lshlrev_b32_e32 v27, 2, v27
	v_dual_mov_b32 v45, v135 :: v_dual_and_b32 v2, 0x80, v2
	v_dual_mov_b32 v44, v134 :: v_dual_mov_b32 v59, v145
	v_or_b32_e32 v37, v37, v8
	v_and_b32_e32 v8, 3, v8
	v_dual_mov_b32 v46, v116 :: v_dual_mov_b32 v61, v102
	v_dual_mov_b32 v56, v13 :: v_dual_mov_b32 v63, v98
	s_delay_alu instid0(VALU_DEP_3) | instskip(SKIP_3) | instid1(VALU_DEP_4)
	v_or3_b32 v2, v27, v2, v8
	v_cmp_ne_u32_e32 vcc_lo, 0, v37
	v_dual_mov_b32 v47, v117 :: v_dual_mov_b32 v58, v112
	v_dual_mov_b32 v53, v73 :: v_dual_mov_b32 v60, v146
	v_dual_mov_b32 v77, v80 :: v_dual_cndmask_b32 v8, 0, v2
	v_dual_mov_b32 v62, v118 :: v_dual_mov_b32 v89, v147
	v_dual_mov_b32 v72, v101 :: v_dual_mov_b32 v75, v70
	;; [unrolled: 1-line block ×24, first 2 shown]
	v_mov_b32_e32 v185, v126
	v_mov_b32_e32 v187, v127
	;; [unrolled: 1-line block ×4, first 2 shown]
.LBB6_1544:                             ;   in Loop: Header=BB6_144 Depth=3
	s_or_b32 exec_lo, exec_lo, s36
.LBB6_1545:                             ;   in Loop: Header=BB6_144 Depth=3
	s_delay_alu instid0(SALU_CYCLE_1) | instskip(SKIP_3) | instid1(VALU_DEP_1)
	s_or_b32 exec_lo, exec_lo, s35
	v_and_b32_e32 v49, 0xff, v9
	s_mov_b32 s35, 0
	s_mov_b32 s36, exec_lo
                                        ; implicit-def: $sgpr13
	v_cmpx_lt_i16_e32 0x7f, v49
	s_xor_b32 s36, exec_lo, s36
	s_cbranch_execnz .LBB6_2151
; %bb.1546:                             ;   in Loop: Header=BB6_144 Depth=3
	s_or_saveexec_b32 s36, s36
	v_mov_b32_e32 v2, s13
	s_xor_b32 exec_lo, exec_lo, s36
	s_cbranch_execnz .LBB6_2154
.LBB6_1547:                             ;   in Loop: Header=BB6_144 Depth=3
	s_or_b32 exec_lo, exec_lo, s36
	s_and_saveexec_b32 s13, s35
	s_cbranch_execz .LBB6_1549
.LBB6_1548:                             ;   in Loop: Header=BB6_144 Depth=3
	v_bfe_u32 v49, v9, 2, 5
	s_delay_alu instid0(VALU_DEP_1) | instskip(SKIP_1) | instid1(VALU_DEP_1)
	v_cmp_eq_u32_e32 vcc_lo, 0, v49
	v_and_b32_e32 v2, 3, v9
	v_clz_i32_u32_e32 v54, v2
	s_delay_alu instid0(VALU_DEP_1) | instskip(NEXT) | instid1(VALU_DEP_1)
	v_min_u32_e32 v54, 32, v54
	v_subrev_nc_u32_e32 v55, 29, v54
	v_sub_nc_u32_e32 v54, 30, v54
	s_delay_alu instid0(VALU_DEP_2) | instskip(NEXT) | instid1(VALU_DEP_2)
	v_lshlrev_b32_e32 v55, v55, v9
	v_dual_cndmask_b32 v49, v49, v54 :: v_dual_lshlrev_b32 v54, 24, v9
	s_delay_alu instid0(VALU_DEP_2) | instskip(NEXT) | instid1(VALU_DEP_2)
	v_and_b32_e32 v55, 3, v55
	v_lshl_add_u32 v49, v49, 23, 0x37800000
	s_delay_alu instid0(VALU_DEP_3) | instskip(NEXT) | instid1(VALU_DEP_3)
	v_and_b32_e32 v54, 0x80000000, v54
	v_cndmask_b32_e32 v2, v2, v55, vcc_lo
	s_delay_alu instid0(VALU_DEP_1) | instskip(NEXT) | instid1(VALU_DEP_1)
	v_lshlrev_b32_e32 v2, 21, v2
	v_or3_b32 v2, v54, v49, v2
.LBB6_1549:                             ;   in Loop: Header=BB6_144 Depth=3
	s_or_b32 exec_lo, exec_lo, s13
	s_delay_alu instid0(VALU_DEP_1) | instskip(SKIP_1) | instid1(VALU_DEP_1)
	v_dual_mul_f32 v2, s34, v2 :: v_dual_mov_b32 v129, 0x80
	s_mov_b32 s35, exec_lo
	v_and_b32_e32 v49, 0x7f800000, v2
	s_delay_alu instid0(VALU_DEP_1)
	v_cmpx_ne_u32_e32 0x7f800000, v49
	s_cbranch_execz .LBB6_1557
; %bb.1550:                             ;   in Loop: Header=BB6_144 Depth=3
	v_mov_b32_e32 v129, 0
	s_mov_b32 s36, exec_lo
	v_cmpx_ne_u32_e32 0, v2
	s_cbranch_execz .LBB6_1556
; %bb.1551:                             ;   in Loop: Header=BB6_144 Depth=3
	v_bfe_u32 v37, v2, 23, 8
	v_and_b32_e32 v27, 0x7fffff, v2
	s_delay_alu instid0(VALU_DEP_2) | instskip(SKIP_2) | instid1(VALU_DEP_4)
	v_cmp_gt_u32_e64 s13, 0x71, v37
	v_sub_nc_u32_e32 v39, 0x70, v37
	v_cmp_eq_u32_e32 vcc_lo, 0, v37
	v_or_b32_e32 v49, 0x800000, v27
	v_add_nc_u32_e32 v37, 0xffffff91, v37
	s_delay_alu instid0(VALU_DEP_4) | instskip(NEXT) | instid1(VALU_DEP_3)
	v_cndmask_b32_e64 v39, 0, v39, s13
	v_cndmask_b32_e32 v27, v49, v27, vcc_lo
	s_delay_alu instid0(VALU_DEP_2) | instskip(NEXT) | instid1(VALU_DEP_1)
	v_cndmask_b32_e64 v39, v39, 0x6f, vcc_lo
	v_lshl_add_u32 v49, 0x200000, v39, -1
	v_lshlrev_b32_e64 v53, v39, 0x100000
	s_delay_alu instid0(VALU_DEP_2) | instskip(NEXT) | instid1(VALU_DEP_1)
	v_and_b32_e32 v49, v49, v27
	v_cmp_eq_u32_e64 s13, v49, v53
	v_lshrrev_b32_e32 v49, v39, v27
	v_cndmask_b32_e64 v27, v37, 0xffffff92, vcc_lo
	s_delay_alu instid0(VALU_DEP_2) | instskip(NEXT) | instid1(VALU_DEP_2)
	v_lshrrev_b32_e32 v37, 23, v49
	v_add_nc_u32_e32 v27, v39, v27
	v_bfe_u32 v39, v49, 21, 1
	s_delay_alu instid0(VALU_DEP_3) | instskip(NEXT) | instid1(VALU_DEP_2)
	v_xor_b32_e32 v37, 1, v37
	v_add_nc_u32_e32 v39, -1, v39
	s_delay_alu instid0(VALU_DEP_1) | instskip(SKIP_1) | instid1(VALU_DEP_1)
	v_cndmask_b32_e64 v39, 0, v39, s13
	s_mov_b32 s13, exec_lo
	v_add_nc_u32_e32 v39, v39, v49
	s_delay_alu instid0(VALU_DEP_1) | instskip(NEXT) | instid1(VALU_DEP_1)
	v_and_b32_e32 v39, 0x1fffff, v39
	v_add_nc_u32_e32 v39, v39, v49
                                        ; implicit-def: $vgpr49
	v_cmpx_ne_u32_e64 v27, v37
	s_xor_b32 s13, exec_lo, s13
; %bb.1552:                             ;   in Loop: Header=BB6_144 Depth=3
	s_delay_alu instid0(VALU_DEP_2) | instskip(SKIP_2) | instid1(VALU_DEP_2)
	v_cmp_lt_u32_e32 vcc_lo, 0xffffff, v39
	v_sub_nc_u32_e32 v27, v27, v37
	v_cndmask_b32_e64 v37, 0, 1, vcc_lo
	v_add_co_ci_u32_e32 v49, vcc_lo, 0, v27, vcc_lo
	s_delay_alu instid0(VALU_DEP_2)
	v_lshrrev_b32_e32 v39, v37, v39
; %bb.1553:                             ;   in Loop: Header=BB6_144 Depth=3
	s_and_not1_saveexec_b32 s13, s13
; %bb.1554:                             ;   in Loop: Header=BB6_144 Depth=3
	s_delay_alu instid0(VALU_DEP_1)
	v_bfe_u32 v49, v39, 23, 1
; %bb.1555:                             ;   in Loop: Header=BB6_144 Depth=3
	s_or_b32 exec_lo, exec_lo, s13
	s_clause 0x2
	scratch_load_b32 v68, off, s33 offset:320
	scratch_load_b32 v40, off, s33 offset:324
	;; [unrolled: 1-line block ×3, first 2 shown]
	v_lshrrev_b32_e32 v2, 24, v2
	v_lshrrev_b32_e32 v27, 21, v39
	v_min_i32_e32 v37, 31, v49
	v_cmp_gt_i32_e32 vcc_lo, 32, v49
	v_mov_b32_e32 v44, v134
	v_dual_mov_b32 v43, v100 :: v_dual_and_b32 v2, 0x80, v2
	v_dual_mov_b32 v60, v146 :: v_dual_cndmask_b32 v27, 3, v27
	v_dual_mov_b32 v42, v131 :: v_dual_lshlrev_b32 v37, 2, v37
	v_dual_mov_b32 v46, v116 :: v_dual_mov_b32 v45, v135
	v_mov_b32_e32 v58, v112
	s_delay_alu instid0(VALU_DEP_4) | instskip(SKIP_3) | instid1(VALU_DEP_4)
	v_or_b32_e32 v39, v49, v27
	v_and_b32_e32 v27, 3, v27
	v_and_b32_e32 v37, 0xfc, v37
	v_dual_mov_b32 v47, v117 :: v_dual_mov_b32 v62, v118
	v_cmp_ne_u32_e32 vcc_lo, 0, v39
	v_mov_b32_e32 v56, v13
	s_delay_alu instid0(VALU_DEP_4) | instskip(SKIP_2) | instid1(VALU_DEP_3)
	v_or3_b32 v2, v37, v2, v27
	v_dual_mov_b32 v57, v113 :: v_dual_mov_b32 v74, v52
	v_dual_mov_b32 v59, v145 :: v_dual_mov_b32 v76, v71
	v_cndmask_b32_e32 v129, 0, v2, vcc_lo
	v_dual_mov_b32 v61, v102 :: v_dual_mov_b32 v72, v101
	v_dual_mov_b32 v63, v98 :: v_dual_mov_b32 v78, v81
	;; [unrolled: 1-line block ×21, first 2 shown]
	v_mov_b32_e32 v159, v36
	v_mov_b32_e32 v37, v168
	;; [unrolled: 1-line block ×11, first 2 shown]
.LBB6_1556:                             ;   in Loop: Header=BB6_144 Depth=3
	s_or_b32 exec_lo, exec_lo, s36
.LBB6_1557:                             ;   in Loop: Header=BB6_144 Depth=3
	s_delay_alu instid0(SALU_CYCLE_1) | instskip(SKIP_3) | instid1(VALU_DEP_1)
	s_or_b32 exec_lo, exec_lo, s35
	v_lshrrev_b16 v2, 8, v9
	s_mov_b32 s35, 0
	s_mov_b32 s36, exec_lo
                                        ; implicit-def: $sgpr13
	v_cmpx_lt_i16_e32 0x7f, v2
	s_xor_b32 s36, exec_lo, s36
	s_cbranch_execnz .LBB6_2155
; %bb.1558:                             ;   in Loop: Header=BB6_144 Depth=3
	s_or_saveexec_b32 s36, s36
	v_mov_b32_e32 v49, s13
	s_xor_b32 exec_lo, exec_lo, s36
	s_cbranch_execnz .LBB6_2158
.LBB6_1559:                             ;   in Loop: Header=BB6_144 Depth=3
	s_or_b32 exec_lo, exec_lo, s36
	s_and_saveexec_b32 s13, s35
	s_cbranch_execz .LBB6_1561
.LBB6_1560:                             ;   in Loop: Header=BB6_144 Depth=3
	v_and_b32_e32 v49, 0xffff, v2
	v_lshlrev_b32_e32 v2, 24, v2
	s_delay_alu instid0(VALU_DEP_2) | instskip(NEXT) | instid1(VALU_DEP_2)
	v_and_b32_e32 v54, 3, v49
	v_and_b32_e32 v2, 0x80000000, v2
	s_delay_alu instid0(VALU_DEP_2) | instskip(NEXT) | instid1(VALU_DEP_1)
	v_clz_i32_u32_e32 v55, v54
	v_min_u32_e32 v55, 32, v55
	s_delay_alu instid0(VALU_DEP_1) | instskip(SKIP_1) | instid1(VALU_DEP_2)
	v_subrev_nc_u32_e32 v85, 29, v55
	v_sub_nc_u32_e32 v55, 30, v55
	v_lshlrev_b32_e32 v85, v85, v49
	v_bfe_u32 v49, v49, 2, 5
	s_delay_alu instid0(VALU_DEP_2) | instskip(NEXT) | instid1(VALU_DEP_2)
	v_and_b32_e32 v85, 3, v85
	v_cmp_eq_u32_e32 vcc_lo, 0, v49
	s_delay_alu instid0(VALU_DEP_2) | instskip(NEXT) | instid1(VALU_DEP_1)
	v_dual_cndmask_b32 v49, v49, v55 :: v_dual_cndmask_b32 v54, v54, v85
	v_lshl_add_u32 v49, v49, 23, 0x37800000
	s_delay_alu instid0(VALU_DEP_2) | instskip(NEXT) | instid1(VALU_DEP_1)
	v_lshlrev_b32_e32 v54, 21, v54
	v_or3_b32 v49, v2, v49, v54
.LBB6_1561:                             ;   in Loop: Header=BB6_144 Depth=3
	s_or_b32 exec_lo, exec_lo, s13
	s_delay_alu instid0(VALU_DEP_1) | instskip(SKIP_2) | instid1(VALU_DEP_2)
	v_mul_f32_e32 v2, s34, v49
	v_mov_b32_e32 v132, 0x8000
	s_mov_b32 s35, exec_lo
	v_and_b32_e32 v49, 0x7f800000, v2
	s_delay_alu instid0(VALU_DEP_1)
	v_cmpx_ne_u32_e32 0x7f800000, v49
	s_cbranch_execz .LBB6_1569
; %bb.1562:                             ;   in Loop: Header=BB6_144 Depth=3
	v_mov_b32_e32 v132, 0
	s_mov_b32 s36, exec_lo
	v_cmpx_ne_u32_e32 0, v2
	s_cbranch_execz .LBB6_1568
; %bb.1563:                             ;   in Loop: Header=BB6_144 Depth=3
	v_bfe_u32 v37, v2, 23, 8
	v_and_b32_e32 v27, 0x7fffff, v2
	s_delay_alu instid0(VALU_DEP_2) | instskip(SKIP_2) | instid1(VALU_DEP_4)
	v_cmp_gt_u32_e64 s13, 0x71, v37
	v_sub_nc_u32_e32 v39, 0x70, v37
	v_cmp_eq_u32_e32 vcc_lo, 0, v37
	v_or_b32_e32 v49, 0x800000, v27
	v_add_nc_u32_e32 v37, 0xffffff91, v37
	s_delay_alu instid0(VALU_DEP_4) | instskip(NEXT) | instid1(VALU_DEP_3)
	v_cndmask_b32_e64 v39, 0, v39, s13
	v_cndmask_b32_e32 v27, v49, v27, vcc_lo
	s_delay_alu instid0(VALU_DEP_2) | instskip(NEXT) | instid1(VALU_DEP_1)
	v_cndmask_b32_e64 v39, v39, 0x6f, vcc_lo
	v_lshl_add_u32 v49, 0x200000, v39, -1
	v_lshlrev_b32_e64 v53, v39, 0x100000
	s_delay_alu instid0(VALU_DEP_2) | instskip(NEXT) | instid1(VALU_DEP_1)
	v_and_b32_e32 v49, v49, v27
	v_cmp_eq_u32_e64 s13, v49, v53
	v_lshrrev_b32_e32 v49, v39, v27
	v_cndmask_b32_e64 v27, v37, 0xffffff92, vcc_lo
	s_delay_alu instid0(VALU_DEP_2) | instskip(NEXT) | instid1(VALU_DEP_2)
	v_lshrrev_b32_e32 v37, 23, v49
	v_add_nc_u32_e32 v27, v39, v27
	v_bfe_u32 v39, v49, 21, 1
	s_delay_alu instid0(VALU_DEP_3) | instskip(NEXT) | instid1(VALU_DEP_2)
	v_xor_b32_e32 v37, 1, v37
	v_add_nc_u32_e32 v39, -1, v39
	s_delay_alu instid0(VALU_DEP_1) | instskip(SKIP_1) | instid1(VALU_DEP_1)
	v_cndmask_b32_e64 v39, 0, v39, s13
	s_mov_b32 s13, exec_lo
	v_add_nc_u32_e32 v39, v39, v49
	s_delay_alu instid0(VALU_DEP_1) | instskip(NEXT) | instid1(VALU_DEP_1)
	v_and_b32_e32 v39, 0x1fffff, v39
	v_add_nc_u32_e32 v39, v39, v49
                                        ; implicit-def: $vgpr49
	v_cmpx_ne_u32_e64 v27, v37
	s_xor_b32 s13, exec_lo, s13
; %bb.1564:                             ;   in Loop: Header=BB6_144 Depth=3
	s_delay_alu instid0(VALU_DEP_2) | instskip(SKIP_2) | instid1(VALU_DEP_2)
	v_cmp_lt_u32_e32 vcc_lo, 0xffffff, v39
	v_sub_nc_u32_e32 v27, v27, v37
	v_cndmask_b32_e64 v37, 0, 1, vcc_lo
	v_add_co_ci_u32_e32 v49, vcc_lo, 0, v27, vcc_lo
	s_delay_alu instid0(VALU_DEP_2)
	v_lshrrev_b32_e32 v39, v37, v39
; %bb.1565:                             ;   in Loop: Header=BB6_144 Depth=3
	s_and_not1_saveexec_b32 s13, s13
; %bb.1566:                             ;   in Loop: Header=BB6_144 Depth=3
	s_delay_alu instid0(VALU_DEP_1)
	v_bfe_u32 v49, v39, 23, 1
; %bb.1567:                             ;   in Loop: Header=BB6_144 Depth=3
	s_or_b32 exec_lo, exec_lo, s13
	s_clause 0x2
	scratch_load_b32 v68, off, s33 offset:320
	scratch_load_b32 v40, off, s33 offset:324
	;; [unrolled: 1-line block ×3, first 2 shown]
	v_lshrrev_b32_e32 v2, 24, v2
	v_lshrrev_b32_e32 v27, 21, v39
	v_cmp_gt_i32_e32 vcc_lo, 32, v49
	v_min_i32_e32 v37, 31, v49
	v_mov_b32_e32 v42, v131
	v_dual_mov_b32 v45, v135 :: v_dual_and_b32 v2, 0x80, v2
	v_dual_mov_b32 v46, v116 :: v_dual_cndmask_b32 v27, 3, v27
	s_delay_alu instid0(VALU_DEP_4) | instskip(SKIP_1) | instid1(VALU_DEP_3)
	v_dual_mov_b32 v44, v134 :: v_dual_lshlrev_b32 v37, 2, v37
	v_dual_mov_b32 v47, v117 :: v_dual_mov_b32 v58, v112
	v_or_b32_e32 v39, v49, v27
	s_delay_alu instid0(VALU_DEP_3) | instskip(SKIP_2) | instid1(VALU_DEP_4)
	v_dual_mov_b32 v56, v13 :: v_dual_and_b32 v37, 0xfc, v37
	v_mov_b32_e32 v61, v102
	v_dual_mov_b32 v57, v113 :: v_dual_mov_b32 v60, v146
	v_cmp_ne_u32_e32 vcc_lo, 0, v39
	v_and_b32_e32 v27, 3, v27
	v_dual_mov_b32 v59, v145 :: v_dual_mov_b32 v62, v118
	v_dual_mov_b32 v63, v98 :: v_dual_mov_b32 v72, v101
	s_delay_alu instid0(VALU_DEP_3) | instskip(SKIP_3) | instid1(VALU_DEP_4)
	v_or3_b32 v2, v2, v37, v27
	v_mov_b32_e32 v43, v100
	v_dual_mov_b32 v53, v73 :: v_dual_mov_b32 v74, v52
	v_dual_mov_b32 v75, v70 :: v_dual_mov_b32 v76, v71
	v_dual_mov_b32 v77, v80 :: v_dual_lshlrev_b32 v2, 8, v2
	v_dual_mov_b32 v78, v81 :: v_dual_mov_b32 v79, v82
	v_mov_b32_e32 v88, v83
	s_delay_alu instid0(VALU_DEP_3)
	v_dual_cndmask_b32 v132, 0, v2 :: v_dual_mov_b32 v89, v147
	v_mov_b32_e32 v90, v84
	v_dual_mov_b32 v91, v148 :: v_dual_mov_b32 v92, v149
	v_dual_mov_b32 v93, v151 :: v_dual_mov_b32 v94, v150
	;; [unrolled: 1-line block ×16, first 2 shown]
	v_mov_b32_e32 v169, v120
	v_dual_mov_b32 v171, v121 :: v_dual_mov_b32 v188, v136
	v_mov_b32_e32 v173, v26
	v_mov_b32_e32 v27, v174
	;; [unrolled: 1-line block ×7, first 2 shown]
.LBB6_1568:                             ;   in Loop: Header=BB6_144 Depth=3
	s_or_b32 exec_lo, exec_lo, s36
.LBB6_1569:                             ;   in Loop: Header=BB6_144 Depth=3
	s_delay_alu instid0(SALU_CYCLE_1) | instskip(SKIP_3) | instid1(VALU_DEP_1)
	s_or_b32 exec_lo, exec_lo, s35
	v_lshrrev_b32_e32 v2, 16, v9
	s_mov_b32 s13, 0
	s_mov_b32 s36, exec_lo
                                        ; implicit-def: $sgpr35
	v_and_b32_e32 v54, 0xff, v2
	s_delay_alu instid0(VALU_DEP_1)
	v_cmpx_lt_i16_e32 0x7f, v54
	s_xor_b32 s36, exec_lo, s36
	s_cbranch_execnz .LBB6_2159
; %bb.1570:                             ;   in Loop: Header=BB6_144 Depth=3
	s_or_saveexec_b32 s36, s36
	v_mov_b32_e32 v49, s35
	s_xor_b32 exec_lo, exec_lo, s36
	s_cbranch_execnz .LBB6_2162
.LBB6_1571:                             ;   in Loop: Header=BB6_144 Depth=3
	s_or_b32 exec_lo, exec_lo, s36
	s_and_saveexec_b32 s35, s13
	s_cbranch_execz .LBB6_1573
.LBB6_1572:                             ;   in Loop: Header=BB6_144 Depth=3
	v_bfe_u32 v49, v9, 16, 2
	s_delay_alu instid0(VALU_DEP_1) | instskip(NEXT) | instid1(VALU_DEP_1)
	v_clz_i32_u32_e32 v54, v49
	v_min_u32_e32 v54, 32, v54
	s_delay_alu instid0(VALU_DEP_1) | instskip(SKIP_1) | instid1(VALU_DEP_2)
	v_subrev_nc_u32_e32 v55, 29, v54
	v_sub_nc_u32_e32 v54, 30, v54
	v_lshlrev_b32_e32 v2, v55, v2
	v_bfe_u32 v55, v9, 18, 5
	s_delay_alu instid0(VALU_DEP_2) | instskip(NEXT) | instid1(VALU_DEP_2)
	v_and_b32_e32 v2, 3, v2
	v_cmp_eq_u32_e32 vcc_lo, 0, v55
	v_dual_cndmask_b32 v54, v55, v54 :: v_dual_lshlrev_b32 v85, 8, v9
	s_delay_alu instid0(VALU_DEP_1) | instskip(NEXT) | instid1(VALU_DEP_2)
	v_dual_cndmask_b32 v2, v49, v2 :: v_dual_and_b32 v49, 0x80000000, v85
	v_lshl_add_u32 v54, v54, 23, 0x37800000
	s_delay_alu instid0(VALU_DEP_2) | instskip(NEXT) | instid1(VALU_DEP_1)
	v_lshlrev_b32_e32 v2, 21, v2
	v_or3_b32 v49, v49, v54, v2
.LBB6_1573:                             ;   in Loop: Header=BB6_144 Depth=3
	s_or_b32 exec_lo, exec_lo, s35
	s_delay_alu instid0(VALU_DEP_1) | instskip(SKIP_1) | instid1(VALU_DEP_1)
	v_dual_mul_f32 v2, s34, v49 :: v_dual_mov_b32 v115, 0x80
	s_mov_b32 s35, exec_lo
	v_and_b32_e32 v49, 0x7f800000, v2
	s_delay_alu instid0(VALU_DEP_1)
	v_cmpx_ne_u32_e32 0x7f800000, v49
	s_cbranch_execz .LBB6_1581
; %bb.1574:                             ;   in Loop: Header=BB6_144 Depth=3
	v_mov_b32_e32 v115, 0
	s_mov_b32 s36, exec_lo
	v_cmpx_ne_u32_e32 0, v2
	s_cbranch_execz .LBB6_1580
; %bb.1575:                             ;   in Loop: Header=BB6_144 Depth=3
	v_bfe_u32 v37, v2, 23, 8
	v_and_b32_e32 v27, 0x7fffff, v2
	s_delay_alu instid0(VALU_DEP_2) | instskip(SKIP_2) | instid1(VALU_DEP_4)
	v_cmp_gt_u32_e64 s13, 0x71, v37
	v_sub_nc_u32_e32 v39, 0x70, v37
	v_cmp_eq_u32_e32 vcc_lo, 0, v37
	v_or_b32_e32 v49, 0x800000, v27
	v_add_nc_u32_e32 v37, 0xffffff91, v37
	s_delay_alu instid0(VALU_DEP_4) | instskip(NEXT) | instid1(VALU_DEP_3)
	v_cndmask_b32_e64 v39, 0, v39, s13
	v_cndmask_b32_e32 v27, v49, v27, vcc_lo
	s_delay_alu instid0(VALU_DEP_2) | instskip(NEXT) | instid1(VALU_DEP_1)
	v_cndmask_b32_e64 v39, v39, 0x6f, vcc_lo
	v_lshl_add_u32 v49, 0x200000, v39, -1
	v_lshlrev_b32_e64 v53, v39, 0x100000
	s_delay_alu instid0(VALU_DEP_2) | instskip(NEXT) | instid1(VALU_DEP_1)
	v_and_b32_e32 v49, v49, v27
	v_cmp_eq_u32_e64 s13, v49, v53
	v_lshrrev_b32_e32 v49, v39, v27
	v_cndmask_b32_e64 v27, v37, 0xffffff92, vcc_lo
	s_delay_alu instid0(VALU_DEP_2) | instskip(NEXT) | instid1(VALU_DEP_2)
	v_lshrrev_b32_e32 v37, 23, v49
	v_add_nc_u32_e32 v27, v39, v27
	v_bfe_u32 v39, v49, 21, 1
	s_delay_alu instid0(VALU_DEP_3) | instskip(NEXT) | instid1(VALU_DEP_2)
	v_xor_b32_e32 v37, 1, v37
	v_add_nc_u32_e32 v39, -1, v39
	s_delay_alu instid0(VALU_DEP_1) | instskip(SKIP_1) | instid1(VALU_DEP_1)
	v_cndmask_b32_e64 v39, 0, v39, s13
	s_mov_b32 s13, exec_lo
	v_add_nc_u32_e32 v39, v39, v49
	s_delay_alu instid0(VALU_DEP_1) | instskip(NEXT) | instid1(VALU_DEP_1)
	v_and_b32_e32 v39, 0x1fffff, v39
	v_add_nc_u32_e32 v39, v39, v49
                                        ; implicit-def: $vgpr49
	v_cmpx_ne_u32_e64 v27, v37
	s_xor_b32 s13, exec_lo, s13
; %bb.1576:                             ;   in Loop: Header=BB6_144 Depth=3
	s_delay_alu instid0(VALU_DEP_2) | instskip(SKIP_2) | instid1(VALU_DEP_2)
	v_cmp_lt_u32_e32 vcc_lo, 0xffffff, v39
	v_sub_nc_u32_e32 v27, v27, v37
	v_cndmask_b32_e64 v37, 0, 1, vcc_lo
	v_add_co_ci_u32_e32 v49, vcc_lo, 0, v27, vcc_lo
	s_delay_alu instid0(VALU_DEP_2)
	v_lshrrev_b32_e32 v39, v37, v39
; %bb.1577:                             ;   in Loop: Header=BB6_144 Depth=3
	s_and_not1_saveexec_b32 s13, s13
; %bb.1578:                             ;   in Loop: Header=BB6_144 Depth=3
	s_delay_alu instid0(VALU_DEP_1)
	v_bfe_u32 v49, v39, 23, 1
; %bb.1579:                             ;   in Loop: Header=BB6_144 Depth=3
	s_or_b32 exec_lo, exec_lo, s13
	s_clause 0x2
	scratch_load_b32 v68, off, s33 offset:320
	scratch_load_b32 v40, off, s33 offset:324
	;; [unrolled: 1-line block ×3, first 2 shown]
	v_lshrrev_b32_e32 v2, 24, v2
	v_lshrrev_b32_e32 v27, 21, v39
	v_min_i32_e32 v37, 31, v49
	v_cmp_gt_i32_e32 vcc_lo, 32, v49
	v_mov_b32_e32 v44, v134
	v_dual_mov_b32 v43, v100 :: v_dual_and_b32 v2, 0x80, v2
	v_dual_mov_b32 v60, v146 :: v_dual_cndmask_b32 v27, 3, v27
	v_dual_mov_b32 v42, v131 :: v_dual_lshlrev_b32 v37, 2, v37
	v_dual_mov_b32 v46, v116 :: v_dual_mov_b32 v45, v135
	v_mov_b32_e32 v58, v112
	s_delay_alu instid0(VALU_DEP_4) | instskip(SKIP_3) | instid1(VALU_DEP_4)
	v_or_b32_e32 v39, v49, v27
	v_and_b32_e32 v27, 3, v27
	v_and_b32_e32 v37, 0xfc, v37
	v_dual_mov_b32 v47, v117 :: v_dual_mov_b32 v62, v118
	v_cmp_ne_u32_e32 vcc_lo, 0, v39
	v_mov_b32_e32 v56, v13
	s_delay_alu instid0(VALU_DEP_4) | instskip(SKIP_2) | instid1(VALU_DEP_3)
	v_or3_b32 v2, v37, v2, v27
	v_dual_mov_b32 v57, v113 :: v_dual_mov_b32 v74, v52
	v_dual_mov_b32 v59, v145 :: v_dual_mov_b32 v76, v71
	v_cndmask_b32_e32 v115, 0, v2, vcc_lo
	v_dual_mov_b32 v61, v102 :: v_dual_mov_b32 v72, v101
	v_dual_mov_b32 v63, v98 :: v_dual_mov_b32 v78, v81
	;; [unrolled: 1-line block ×21, first 2 shown]
	v_mov_b32_e32 v159, v36
	v_mov_b32_e32 v37, v168
	;; [unrolled: 1-line block ×11, first 2 shown]
.LBB6_1580:                             ;   in Loop: Header=BB6_144 Depth=3
	s_or_b32 exec_lo, exec_lo, s36
.LBB6_1581:                             ;   in Loop: Header=BB6_144 Depth=3
	s_delay_alu instid0(SALU_CYCLE_1) | instskip(SKIP_3) | instid1(VALU_DEP_1)
	s_or_b32 exec_lo, exec_lo, s35
	v_lshrrev_b32_e32 v2, 24, v9
	s_mov_b32 s13, 0
	s_mov_b32 s36, exec_lo
                                        ; implicit-def: $sgpr35
	v_cmpx_lt_i16_e32 0x7f, v2
	s_xor_b32 s36, exec_lo, s36
	s_cbranch_execnz .LBB6_2163
; %bb.1582:                             ;   in Loop: Header=BB6_144 Depth=3
	s_or_saveexec_b32 s36, s36
	v_mov_b32_e32 v49, s35
	s_xor_b32 exec_lo, exec_lo, s36
	s_cbranch_execnz .LBB6_2166
.LBB6_1583:                             ;   in Loop: Header=BB6_144 Depth=3
	s_or_b32 exec_lo, exec_lo, s36
	s_and_saveexec_b32 s35, s13
	s_cbranch_execz .LBB6_1585
.LBB6_1584:                             ;   in Loop: Header=BB6_144 Depth=3
	v_bfe_u32 v49, v9, 24, 2
	s_delay_alu instid0(VALU_DEP_1) | instskip(NEXT) | instid1(VALU_DEP_1)
	v_clz_i32_u32_e32 v54, v49
	v_min_u32_e32 v54, 32, v54
	s_delay_alu instid0(VALU_DEP_1) | instskip(SKIP_1) | instid1(VALU_DEP_2)
	v_subrev_nc_u32_e32 v55, 29, v54
	v_sub_nc_u32_e32 v54, 30, v54
	v_lshlrev_b32_e32 v2, v55, v2
	v_bfe_u32 v55, v9, 26, 5
	v_and_b32_e32 v9, 0x80000000, v9
	s_delay_alu instid0(VALU_DEP_3) | instskip(NEXT) | instid1(VALU_DEP_3)
	v_and_b32_e32 v2, 3, v2
	v_cmp_eq_u32_e32 vcc_lo, 0, v55
	v_cndmask_b32_e32 v54, v55, v54, vcc_lo
	s_delay_alu instid0(VALU_DEP_3) | instskip(NEXT) | instid1(VALU_DEP_2)
	v_cndmask_b32_e32 v2, v49, v2, vcc_lo
	v_lshl_add_u32 v49, v54, 23, 0x37800000
	s_delay_alu instid0(VALU_DEP_2) | instskip(NEXT) | instid1(VALU_DEP_1)
	v_lshlrev_b32_e32 v2, 21, v2
	v_or3_b32 v49, v9, v49, v2
.LBB6_1585:                             ;   in Loop: Header=BB6_144 Depth=3
	s_or_b32 exec_lo, exec_lo, s35
	s_delay_alu instid0(VALU_DEP_1) | instskip(NEXT) | instid1(VALU_DEP_1)
	v_mul_f32_e32 v2, s34, v49
	v_and_b32_e32 v9, 0x7f800000, v2
	s_delay_alu instid0(VALU_DEP_1)
	v_cmp_ne_u32_e32 vcc_lo, 0x7f800000, v9
	v_mov_b32_e32 v9, 0x8000
	s_and_saveexec_b32 s35, vcc_lo
	s_cbranch_execz .LBB6_1593
; %bb.1586:                             ;   in Loop: Header=BB6_144 Depth=3
	v_mov_b32_e32 v9, 0
	s_mov_b32 s36, exec_lo
	v_cmpx_ne_u32_e32 0, v2
	s_cbranch_execz .LBB6_1592
; %bb.1587:                             ;   in Loop: Header=BB6_144 Depth=3
	v_bfe_u32 v27, v2, 23, 8
	v_and_b32_e32 v9, 0x7fffff, v2
	s_delay_alu instid0(VALU_DEP_2) | instskip(SKIP_2) | instid1(VALU_DEP_4)
	v_cmp_gt_u32_e64 s13, 0x71, v27
	v_sub_nc_u32_e32 v37, 0x70, v27
	v_cmp_eq_u32_e32 vcc_lo, 0, v27
	v_or_b32_e32 v39, 0x800000, v9
	v_add_nc_u32_e32 v27, 0xffffff91, v27
	s_delay_alu instid0(VALU_DEP_4) | instskip(NEXT) | instid1(VALU_DEP_3)
	v_cndmask_b32_e64 v37, 0, v37, s13
	v_cndmask_b32_e32 v9, v39, v9, vcc_lo
	s_delay_alu instid0(VALU_DEP_2) | instskip(NEXT) | instid1(VALU_DEP_1)
	v_cndmask_b32_e64 v37, v37, 0x6f, vcc_lo
	v_lshl_add_u32 v39, 0x200000, v37, -1
	v_lshlrev_b32_e64 v49, v37, 0x100000
	s_delay_alu instid0(VALU_DEP_2) | instskip(NEXT) | instid1(VALU_DEP_1)
	v_and_b32_e32 v39, v39, v9
	v_cmp_eq_u32_e64 s13, v39, v49
	v_lshrrev_b32_e32 v39, v37, v9
	v_cndmask_b32_e64 v9, v27, 0xffffff92, vcc_lo
	s_delay_alu instid0(VALU_DEP_2) | instskip(NEXT) | instid1(VALU_DEP_2)
	v_lshrrev_b32_e32 v27, 23, v39
	v_add_nc_u32_e32 v9, v37, v9
	v_bfe_u32 v37, v39, 21, 1
	s_delay_alu instid0(VALU_DEP_3) | instskip(NEXT) | instid1(VALU_DEP_2)
	v_xor_b32_e32 v27, 1, v27
	v_add_nc_u32_e32 v37, -1, v37
	s_delay_alu instid0(VALU_DEP_1) | instskip(SKIP_1) | instid1(VALU_DEP_1)
	v_cndmask_b32_e64 v37, 0, v37, s13
	s_mov_b32 s13, exec_lo
	v_add_nc_u32_e32 v37, v37, v39
	s_delay_alu instid0(VALU_DEP_1) | instskip(NEXT) | instid1(VALU_DEP_1)
	v_and_b32_e32 v37, 0x1fffff, v37
	v_add_nc_u32_e32 v37, v37, v39
                                        ; implicit-def: $vgpr39
	v_cmpx_ne_u32_e64 v9, v27
	s_xor_b32 s13, exec_lo, s13
; %bb.1588:                             ;   in Loop: Header=BB6_144 Depth=3
	s_delay_alu instid0(VALU_DEP_2) | instskip(SKIP_2) | instid1(VALU_DEP_2)
	v_cmp_lt_u32_e32 vcc_lo, 0xffffff, v37
	v_sub_nc_u32_e32 v9, v9, v27
	v_cndmask_b32_e64 v27, 0, 1, vcc_lo
	v_add_co_ci_u32_e32 v39, vcc_lo, 0, v9, vcc_lo
	s_delay_alu instid0(VALU_DEP_2)
	v_lshrrev_b32_e32 v37, v27, v37
; %bb.1589:                             ;   in Loop: Header=BB6_144 Depth=3
	s_and_not1_saveexec_b32 s13, s13
; %bb.1590:                             ;   in Loop: Header=BB6_144 Depth=3
	s_delay_alu instid0(VALU_DEP_1)
	v_bfe_u32 v39, v37, 23, 1
; %bb.1591:                             ;   in Loop: Header=BB6_144 Depth=3
	s_or_b32 exec_lo, exec_lo, s13
	s_clause 0x2
	scratch_load_b32 v68, off, s33 offset:320
	scratch_load_b32 v40, off, s33 offset:324
	;; [unrolled: 1-line block ×3, first 2 shown]
	v_lshrrev_b32_e32 v2, 24, v2
	v_lshrrev_b32_e32 v9, 21, v37
	v_min_i32_e32 v27, 31, v39
	v_cmp_gt_i32_e32 vcc_lo, 32, v39
	v_mov_b32_e32 v44, v134
	v_dual_mov_b32 v45, v135 :: v_dual_and_b32 v2, 0x80, v2
	v_dual_mov_b32 v58, v112 :: v_dual_cndmask_b32 v9, 3, v9
	v_dual_mov_b32 v42, v131 :: v_dual_lshlrev_b32 v27, 2, v27
	v_dual_mov_b32 v46, v116 :: v_dual_mov_b32 v47, v117
	v_mov_b32_e32 v60, v146
	s_delay_alu instid0(VALU_DEP_4) | instskip(SKIP_3) | instid1(VALU_DEP_4)
	v_or_b32_e32 v37, v39, v9
	v_and_b32_e32 v9, 3, v9
	v_and_b32_e32 v27, 0xfc, v27
	v_dual_mov_b32 v57, v113 :: v_dual_mov_b32 v62, v118
	v_cmp_ne_u32_e32 vcc_lo, 0, v37
	v_mov_b32_e32 v43, v100
	s_delay_alu instid0(VALU_DEP_4) | instskip(SKIP_3) | instid1(VALU_DEP_4)
	v_or3_b32 v2, v2, v27, v9
	v_dual_mov_b32 v59, v145 :: v_dual_mov_b32 v74, v52
	v_dual_mov_b32 v56, v13 :: v_dual_mov_b32 v61, v102
	v_mov_b32_e32 v72, v101
	v_dual_mov_b32 v63, v98 :: v_dual_lshlrev_b32 v2, 8, v2
	v_dual_mov_b32 v76, v71 :: v_dual_mov_b32 v53, v73
	s_delay_alu instid0(VALU_DEP_2)
	v_dual_mov_b32 v88, v83 :: v_dual_cndmask_b32 v9, 0, v2
	v_dual_mov_b32 v75, v70 :: v_dual_mov_b32 v78, v81
	v_dual_mov_b32 v77, v80 :: v_dual_mov_b32 v92, v149
	;; [unrolled: 1-line block ×19, first 2 shown]
	v_mov_b32_e32 v37, v168
	v_mov_b32_e32 v169, v120
	;; [unrolled: 1-line block ×10, first 2 shown]
.LBB6_1592:                             ;   in Loop: Header=BB6_144 Depth=3
	s_or_b32 exec_lo, exec_lo, s36
.LBB6_1593:                             ;   in Loop: Header=BB6_144 Depth=3
	s_delay_alu instid0(SALU_CYCLE_1) | instskip(SKIP_3) | instid1(VALU_DEP_1)
	s_or_b32 exec_lo, exec_lo, s35
	v_and_b32_e32 v49, 0xff, v10
	s_mov_b32 s35, 0
	s_mov_b32 s36, exec_lo
                                        ; implicit-def: $sgpr13
	v_cmpx_lt_i16_e32 0x7f, v49
	s_xor_b32 s36, exec_lo, s36
	s_cbranch_execnz .LBB6_2167
; %bb.1594:                             ;   in Loop: Header=BB6_144 Depth=3
	s_or_saveexec_b32 s36, s36
	v_mov_b32_e32 v2, s13
	s_xor_b32 exec_lo, exec_lo, s36
	s_cbranch_execnz .LBB6_2170
.LBB6_1595:                             ;   in Loop: Header=BB6_144 Depth=3
	s_or_b32 exec_lo, exec_lo, s36
	s_and_saveexec_b32 s13, s35
	s_cbranch_execz .LBB6_1597
.LBB6_1596:                             ;   in Loop: Header=BB6_144 Depth=3
	v_and_b32_e32 v2, 3, v10
	v_bfe_u32 v49, v10, 2, 5
	s_delay_alu instid0(VALU_DEP_2) | instskip(NEXT) | instid1(VALU_DEP_2)
	v_clz_i32_u32_e32 v54, v2
	v_cmp_eq_u32_e32 vcc_lo, 0, v49
	s_delay_alu instid0(VALU_DEP_2) | instskip(NEXT) | instid1(VALU_DEP_1)
	v_min_u32_e32 v54, 32, v54
	v_subrev_nc_u32_e32 v55, 29, v54
	v_sub_nc_u32_e32 v54, 30, v54
	s_delay_alu instid0(VALU_DEP_2) | instskip(NEXT) | instid1(VALU_DEP_1)
	v_lshlrev_b32_e32 v55, v55, v10
	v_and_b32_e32 v55, 3, v55
	s_delay_alu instid0(VALU_DEP_3) | instskip(SKIP_1) | instid1(VALU_DEP_3)
	v_cndmask_b32_e32 v49, v49, v54, vcc_lo
	v_lshlrev_b32_e32 v54, 24, v10
	v_cndmask_b32_e32 v2, v2, v55, vcc_lo
	s_delay_alu instid0(VALU_DEP_3) | instskip(NEXT) | instid1(VALU_DEP_3)
	v_lshl_add_u32 v49, v49, 23, 0x37800000
	v_and_b32_e32 v54, 0x80000000, v54
	s_delay_alu instid0(VALU_DEP_3) | instskip(NEXT) | instid1(VALU_DEP_1)
	v_lshlrev_b32_e32 v2, 21, v2
	v_or3_b32 v2, v54, v49, v2
.LBB6_1597:                             ;   in Loop: Header=BB6_144 Depth=3
	s_or_b32 exec_lo, exec_lo, s13
	s_delay_alu instid0(VALU_DEP_1) | instskip(SKIP_2) | instid1(VALU_DEP_2)
	v_mul_f32_e32 v2, s34, v2
	v_mov_b32_e32 v114, 0x80
	s_mov_b32 s35, exec_lo
	v_and_b32_e32 v49, 0x7f800000, v2
	s_delay_alu instid0(VALU_DEP_1)
	v_cmpx_ne_u32_e32 0x7f800000, v49
	s_cbranch_execz .LBB6_1605
; %bb.1598:                             ;   in Loop: Header=BB6_144 Depth=3
	v_mov_b32_e32 v114, 0
	s_mov_b32 s36, exec_lo
	v_cmpx_ne_u32_e32 0, v2
	s_cbranch_execz .LBB6_1604
; %bb.1599:                             ;   in Loop: Header=BB6_144 Depth=3
	v_bfe_u32 v37, v2, 23, 8
	v_and_b32_e32 v27, 0x7fffff, v2
	s_delay_alu instid0(VALU_DEP_2) | instskip(SKIP_2) | instid1(VALU_DEP_4)
	v_cmp_gt_u32_e64 s13, 0x71, v37
	v_sub_nc_u32_e32 v39, 0x70, v37
	v_cmp_eq_u32_e32 vcc_lo, 0, v37
	v_or_b32_e32 v49, 0x800000, v27
	v_add_nc_u32_e32 v37, 0xffffff91, v37
	s_delay_alu instid0(VALU_DEP_4) | instskip(NEXT) | instid1(VALU_DEP_3)
	v_cndmask_b32_e64 v39, 0, v39, s13
	v_cndmask_b32_e32 v27, v49, v27, vcc_lo
	s_delay_alu instid0(VALU_DEP_2) | instskip(NEXT) | instid1(VALU_DEP_1)
	v_cndmask_b32_e64 v39, v39, 0x6f, vcc_lo
	v_lshl_add_u32 v49, 0x200000, v39, -1
	v_lshlrev_b32_e64 v53, v39, 0x100000
	s_delay_alu instid0(VALU_DEP_2) | instskip(NEXT) | instid1(VALU_DEP_1)
	v_and_b32_e32 v49, v49, v27
	v_cmp_eq_u32_e64 s13, v49, v53
	v_lshrrev_b32_e32 v49, v39, v27
	v_cndmask_b32_e64 v27, v37, 0xffffff92, vcc_lo
	s_delay_alu instid0(VALU_DEP_2) | instskip(NEXT) | instid1(VALU_DEP_2)
	v_lshrrev_b32_e32 v37, 23, v49
	v_add_nc_u32_e32 v27, v39, v27
	v_bfe_u32 v39, v49, 21, 1
	s_delay_alu instid0(VALU_DEP_3) | instskip(NEXT) | instid1(VALU_DEP_2)
	v_xor_b32_e32 v37, 1, v37
	v_add_nc_u32_e32 v39, -1, v39
	s_delay_alu instid0(VALU_DEP_1) | instskip(SKIP_1) | instid1(VALU_DEP_1)
	v_cndmask_b32_e64 v39, 0, v39, s13
	s_mov_b32 s13, exec_lo
	v_add_nc_u32_e32 v39, v39, v49
	s_delay_alu instid0(VALU_DEP_1) | instskip(NEXT) | instid1(VALU_DEP_1)
	v_and_b32_e32 v39, 0x1fffff, v39
	v_add_nc_u32_e32 v49, v39, v49
                                        ; implicit-def: $vgpr39
	v_cmpx_ne_u32_e64 v27, v37
	s_xor_b32 s13, exec_lo, s13
; %bb.1600:                             ;   in Loop: Header=BB6_144 Depth=3
	s_delay_alu instid0(VALU_DEP_2) | instskip(SKIP_2) | instid1(VALU_DEP_2)
	v_cmp_lt_u32_e32 vcc_lo, 0xffffff, v49
	v_sub_nc_u32_e32 v27, v27, v37
	v_cndmask_b32_e64 v37, 0, 1, vcc_lo
	v_add_co_ci_u32_e32 v39, vcc_lo, 0, v27, vcc_lo
	s_delay_alu instid0(VALU_DEP_2)
	v_lshrrev_b32_e32 v49, v37, v49
; %bb.1601:                             ;   in Loop: Header=BB6_144 Depth=3
	s_and_not1_saveexec_b32 s13, s13
; %bb.1602:                             ;   in Loop: Header=BB6_144 Depth=3
	s_delay_alu instid0(VALU_DEP_1)
	v_bfe_u32 v39, v49, 23, 1
; %bb.1603:                             ;   in Loop: Header=BB6_144 Depth=3
	s_or_b32 exec_lo, exec_lo, s13
	s_clause 0x2
	scratch_load_b32 v68, off, s33 offset:320
	scratch_load_b32 v40, off, s33 offset:324
	;; [unrolled: 1-line block ×3, first 2 shown]
	v_lshrrev_b32_e32 v2, 24, v2
	v_lshrrev_b32_e32 v27, 21, v49
	v_cmp_gt_i32_e32 vcc_lo, 32, v39
	v_min_i32_e32 v37, 31, v39
	v_mov_b32_e32 v42, v131
	v_dual_mov_b32 v43, v100 :: v_dual_and_b32 v2, 0x80, v2
	v_dual_mov_b32 v44, v134 :: v_dual_cndmask_b32 v27, 3, v27
	s_delay_alu instid0(VALU_DEP_4) | instskip(SKIP_2) | instid1(VALU_DEP_4)
	v_lshlrev_b32_e32 v37, 2, v37
	v_dual_mov_b32 v45, v135 :: v_dual_mov_b32 v46, v116
	v_dual_mov_b32 v47, v117 :: v_dual_mov_b32 v58, v112
	v_or_b32_e32 v39, v39, v27
	v_dual_mov_b32 v56, v13 :: v_dual_mov_b32 v61, v102
	v_dual_mov_b32 v57, v113 :: v_dual_mov_b32 v60, v146
	s_delay_alu instid0(VALU_DEP_3) | instskip(SKIP_3) | instid1(VALU_DEP_3)
	v_cmp_ne_u32_e32 vcc_lo, 0, v39
	v_and_b32_e32 v27, 3, v27
	v_dual_mov_b32 v59, v145 :: v_dual_mov_b32 v62, v118
	v_dual_mov_b32 v63, v98 :: v_dual_mov_b32 v72, v101
	v_or3_b32 v2, v37, v2, v27
	v_dual_mov_b32 v53, v73 :: v_dual_mov_b32 v74, v52
	v_dual_mov_b32 v75, v70 :: v_dual_mov_b32 v76, v71
	s_delay_alu instid0(VALU_DEP_3)
	v_dual_cndmask_b32 v114, 0, v2 :: v_dual_mov_b32 v77, v80
	v_dual_mov_b32 v78, v81 :: v_dual_mov_b32 v79, v82
	v_mov_b32_e32 v88, v83
	v_dual_mov_b32 v89, v147 :: v_dual_mov_b32 v90, v84
	v_dual_mov_b32 v91, v148 :: v_dual_mov_b32 v92, v149
	;; [unrolled: 1-line block ×17, first 2 shown]
	v_mov_b32_e32 v169, v120
	v_dual_mov_b32 v171, v121 :: v_dual_mov_b32 v188, v136
	v_mov_b32_e32 v173, v26
	v_mov_b32_e32 v27, v174
	;; [unrolled: 1-line block ×7, first 2 shown]
.LBB6_1604:                             ;   in Loop: Header=BB6_144 Depth=3
	s_or_b32 exec_lo, exec_lo, s36
.LBB6_1605:                             ;   in Loop: Header=BB6_144 Depth=3
	s_delay_alu instid0(SALU_CYCLE_1) | instskip(SKIP_3) | instid1(VALU_DEP_1)
	s_or_b32 exec_lo, exec_lo, s35
	v_lshrrev_b16 v2, 8, v10
	s_mov_b32 s35, 0
	s_mov_b32 s36, exec_lo
                                        ; implicit-def: $sgpr13
	v_cmpx_lt_i16_e32 0x7f, v2
	s_xor_b32 s36, exec_lo, s36
	s_cbranch_execnz .LBB6_2171
; %bb.1606:                             ;   in Loop: Header=BB6_144 Depth=3
	s_or_saveexec_b32 s36, s36
	v_mov_b32_e32 v49, s13
	s_xor_b32 exec_lo, exec_lo, s36
	s_cbranch_execnz .LBB6_2174
.LBB6_1607:                             ;   in Loop: Header=BB6_144 Depth=3
	s_or_b32 exec_lo, exec_lo, s36
	s_and_saveexec_b32 s13, s35
	s_cbranch_execz .LBB6_1609
.LBB6_1608:                             ;   in Loop: Header=BB6_144 Depth=3
	v_and_b32_e32 v49, 0xffff, v2
	v_lshlrev_b32_e32 v2, 24, v2
	s_delay_alu instid0(VALU_DEP_2) | instskip(NEXT) | instid1(VALU_DEP_2)
	v_and_b32_e32 v54, 3, v49
	v_and_b32_e32 v2, 0x80000000, v2
	s_delay_alu instid0(VALU_DEP_2) | instskip(NEXT) | instid1(VALU_DEP_1)
	v_clz_i32_u32_e32 v55, v54
	v_min_u32_e32 v55, 32, v55
	s_delay_alu instid0(VALU_DEP_1) | instskip(SKIP_1) | instid1(VALU_DEP_2)
	v_subrev_nc_u32_e32 v85, 29, v55
	v_sub_nc_u32_e32 v55, 30, v55
	v_lshlrev_b32_e32 v85, v85, v49
	v_bfe_u32 v49, v49, 2, 5
	s_delay_alu instid0(VALU_DEP_2) | instskip(NEXT) | instid1(VALU_DEP_2)
	v_and_b32_e32 v85, 3, v85
	v_cmp_eq_u32_e32 vcc_lo, 0, v49
	s_delay_alu instid0(VALU_DEP_2) | instskip(NEXT) | instid1(VALU_DEP_1)
	v_dual_cndmask_b32 v49, v49, v55 :: v_dual_cndmask_b32 v54, v54, v85
	v_lshl_add_u32 v49, v49, 23, 0x37800000
	s_delay_alu instid0(VALU_DEP_2) | instskip(NEXT) | instid1(VALU_DEP_1)
	v_lshlrev_b32_e32 v54, 21, v54
	v_or3_b32 v49, v2, v49, v54
.LBB6_1609:                             ;   in Loop: Header=BB6_144 Depth=3
	s_or_b32 exec_lo, exec_lo, s13
	s_delay_alu instid0(VALU_DEP_1) | instskip(SKIP_1) | instid1(VALU_DEP_1)
	v_dual_mul_f32 v2, s34, v49 :: v_dual_mov_b32 v85, 0x80
	s_mov_b32 s35, exec_lo
	v_and_b32_e32 v49, 0x7f800000, v2
	s_delay_alu instid0(VALU_DEP_1)
	v_cmpx_ne_u32_e32 0x7f800000, v49
	s_cbranch_execz .LBB6_1617
; %bb.1610:                             ;   in Loop: Header=BB6_144 Depth=3
	v_mov_b32_e32 v85, 0
	s_mov_b32 s36, exec_lo
	v_cmpx_ne_u32_e32 0, v2
	s_cbranch_execz .LBB6_1616
; %bb.1611:                             ;   in Loop: Header=BB6_144 Depth=3
	v_bfe_u32 v37, v2, 23, 8
	v_and_b32_e32 v27, 0x7fffff, v2
	s_delay_alu instid0(VALU_DEP_2) | instskip(SKIP_2) | instid1(VALU_DEP_4)
	v_cmp_gt_u32_e64 s13, 0x71, v37
	v_sub_nc_u32_e32 v39, 0x70, v37
	v_cmp_eq_u32_e32 vcc_lo, 0, v37
	v_or_b32_e32 v49, 0x800000, v27
	v_add_nc_u32_e32 v37, 0xffffff91, v37
	s_delay_alu instid0(VALU_DEP_4) | instskip(NEXT) | instid1(VALU_DEP_3)
	v_cndmask_b32_e64 v39, 0, v39, s13
	v_cndmask_b32_e32 v27, v49, v27, vcc_lo
	s_delay_alu instid0(VALU_DEP_2) | instskip(NEXT) | instid1(VALU_DEP_1)
	v_cndmask_b32_e64 v39, v39, 0x6f, vcc_lo
	v_lshl_add_u32 v49, 0x200000, v39, -1
	v_lshlrev_b32_e64 v53, v39, 0x100000
	s_delay_alu instid0(VALU_DEP_2) | instskip(NEXT) | instid1(VALU_DEP_1)
	v_and_b32_e32 v49, v49, v27
	v_cmp_eq_u32_e64 s13, v49, v53
	v_lshrrev_b32_e32 v49, v39, v27
	v_cndmask_b32_e64 v27, v37, 0xffffff92, vcc_lo
	s_delay_alu instid0(VALU_DEP_2) | instskip(NEXT) | instid1(VALU_DEP_2)
	v_lshrrev_b32_e32 v37, 23, v49
	v_add_nc_u32_e32 v27, v39, v27
	v_bfe_u32 v39, v49, 21, 1
	s_delay_alu instid0(VALU_DEP_3) | instskip(NEXT) | instid1(VALU_DEP_2)
	v_xor_b32_e32 v37, 1, v37
	v_add_nc_u32_e32 v39, -1, v39
	s_delay_alu instid0(VALU_DEP_1) | instskip(SKIP_1) | instid1(VALU_DEP_1)
	v_cndmask_b32_e64 v39, 0, v39, s13
	s_mov_b32 s13, exec_lo
	v_add_nc_u32_e32 v39, v39, v49
	s_delay_alu instid0(VALU_DEP_1) | instskip(NEXT) | instid1(VALU_DEP_1)
	v_and_b32_e32 v39, 0x1fffff, v39
	v_add_nc_u32_e32 v49, v39, v49
                                        ; implicit-def: $vgpr39
	v_cmpx_ne_u32_e64 v27, v37
	s_xor_b32 s13, exec_lo, s13
; %bb.1612:                             ;   in Loop: Header=BB6_144 Depth=3
	s_delay_alu instid0(VALU_DEP_2) | instskip(SKIP_2) | instid1(VALU_DEP_2)
	v_cmp_lt_u32_e32 vcc_lo, 0xffffff, v49
	v_sub_nc_u32_e32 v27, v27, v37
	v_cndmask_b32_e64 v37, 0, 1, vcc_lo
	v_add_co_ci_u32_e32 v39, vcc_lo, 0, v27, vcc_lo
	s_delay_alu instid0(VALU_DEP_2)
	v_lshrrev_b32_e32 v49, v37, v49
; %bb.1613:                             ;   in Loop: Header=BB6_144 Depth=3
	s_and_not1_saveexec_b32 s13, s13
; %bb.1614:                             ;   in Loop: Header=BB6_144 Depth=3
	s_delay_alu instid0(VALU_DEP_1)
	v_bfe_u32 v39, v49, 23, 1
; %bb.1615:                             ;   in Loop: Header=BB6_144 Depth=3
	s_or_b32 exec_lo, exec_lo, s13
	s_clause 0x2
	scratch_load_b32 v68, off, s33 offset:320
	scratch_load_b32 v40, off, s33 offset:324
	;; [unrolled: 1-line block ×3, first 2 shown]
	v_lshrrev_b32_e32 v2, 24, v2
	v_lshrrev_b32_e32 v27, 21, v49
	v_cmp_gt_i32_e32 vcc_lo, 32, v39
	v_min_i32_e32 v37, 31, v39
	v_mov_b32_e32 v44, v134
	v_dual_mov_b32 v43, v100 :: v_dual_and_b32 v2, 0x80, v2
	v_dual_mov_b32 v56, v13 :: v_dual_cndmask_b32 v27, 3, v27
	s_delay_alu instid0(VALU_DEP_4) | instskip(SKIP_1) | instid1(VALU_DEP_3)
	v_dual_mov_b32 v42, v131 :: v_dual_lshlrev_b32 v37, 2, v37
	v_dual_mov_b32 v45, v135 :: v_dual_mov_b32 v58, v112
	v_or_b32_e32 v39, v39, v27
	v_and_b32_e32 v27, 3, v27
	v_dual_mov_b32 v47, v117 :: v_dual_mov_b32 v60, v146
	v_dual_mov_b32 v57, v113 :: v_dual_mov_b32 v62, v118
	s_delay_alu instid0(VALU_DEP_3) | instskip(SKIP_3) | instid1(VALU_DEP_4)
	v_or3_b32 v2, v37, v2, v27
	v_cmp_ne_u32_e32 vcc_lo, 0, v39
	v_dual_mov_b32 v46, v116 :: v_dual_mov_b32 v59, v145
	v_dual_mov_b32 v74, v52 :: v_dual_mov_b32 v61, v102
	v_dual_mov_b32 v72, v101 :: v_dual_cndmask_b32 v85, 0, v2
	v_dual_mov_b32 v63, v98 :: v_dual_mov_b32 v76, v71
	v_dual_mov_b32 v53, v73 :: v_dual_mov_b32 v88, v83
	;; [unrolled: 1-line block ×21, first 2 shown]
	v_mov_b32_e32 v37, v168
	v_mov_b32_e32 v169, v120
	;; [unrolled: 1-line block ×10, first 2 shown]
.LBB6_1616:                             ;   in Loop: Header=BB6_144 Depth=3
	s_or_b32 exec_lo, exec_lo, s36
.LBB6_1617:                             ;   in Loop: Header=BB6_144 Depth=3
	s_delay_alu instid0(SALU_CYCLE_1) | instskip(SKIP_3) | instid1(VALU_DEP_1)
	s_or_b32 exec_lo, exec_lo, s35
	v_lshrrev_b32_e32 v2, 16, v10
	s_mov_b32 s13, 0
	s_mov_b32 s36, exec_lo
                                        ; implicit-def: $sgpr35
	v_and_b32_e32 v54, 0xff, v2
	s_delay_alu instid0(VALU_DEP_1)
	v_cmpx_lt_i16_e32 0x7f, v54
	s_xor_b32 s36, exec_lo, s36
	s_cbranch_execnz .LBB6_2175
; %bb.1618:                             ;   in Loop: Header=BB6_144 Depth=3
	s_or_saveexec_b32 s36, s36
	v_mov_b32_e32 v49, s35
	s_xor_b32 exec_lo, exec_lo, s36
	s_cbranch_execnz .LBB6_2178
.LBB6_1619:                             ;   in Loop: Header=BB6_144 Depth=3
	s_or_b32 exec_lo, exec_lo, s36
	s_and_saveexec_b32 s35, s13
	s_cbranch_execz .LBB6_1621
.LBB6_1620:                             ;   in Loop: Header=BB6_144 Depth=3
	v_bfe_u32 v49, v10, 16, 2
	v_lshlrev_b32_e32 v119, 8, v10
	s_delay_alu instid0(VALU_DEP_2) | instskip(NEXT) | instid1(VALU_DEP_1)
	v_clz_i32_u32_e32 v54, v49
	v_min_u32_e32 v54, 32, v54
	s_delay_alu instid0(VALU_DEP_1) | instskip(SKIP_1) | instid1(VALU_DEP_2)
	v_subrev_nc_u32_e32 v55, 29, v54
	v_sub_nc_u32_e32 v54, 30, v54
	v_lshlrev_b32_e32 v2, v55, v2
	v_bfe_u32 v55, v10, 18, 5
	s_delay_alu instid0(VALU_DEP_2) | instskip(NEXT) | instid1(VALU_DEP_2)
	v_and_b32_e32 v2, 3, v2
	v_cmp_eq_u32_e32 vcc_lo, 0, v55
	v_cndmask_b32_e32 v54, v55, v54, vcc_lo
	s_delay_alu instid0(VALU_DEP_3) | instskip(NEXT) | instid1(VALU_DEP_2)
	v_dual_cndmask_b32 v2, v49, v2 :: v_dual_and_b32 v49, 0x80000000, v119
	v_lshl_add_u32 v54, v54, 23, 0x37800000
	s_delay_alu instid0(VALU_DEP_2) | instskip(NEXT) | instid1(VALU_DEP_1)
	v_lshlrev_b32_e32 v2, 21, v2
	v_or3_b32 v49, v49, v54, v2
.LBB6_1621:                             ;   in Loop: Header=BB6_144 Depth=3
	s_or_b32 exec_lo, exec_lo, s35
	s_delay_alu instid0(VALU_DEP_1) | instskip(NEXT) | instid1(VALU_DEP_1)
	v_mul_f32_e32 v2, s34, v49
	v_and_b32_e32 v49, 0x7f800000, v2
	s_delay_alu instid0(VALU_DEP_1)
	v_cmp_ne_u32_e32 vcc_lo, 0x7f800000, v49
	v_mov_b32_e32 v49, 0x80
	s_and_saveexec_b32 s35, vcc_lo
	s_cbranch_execz .LBB6_1629
; %bb.1622:                             ;   in Loop: Header=BB6_144 Depth=3
	v_mov_b32_e32 v49, 0
	s_mov_b32 s36, exec_lo
	v_cmpx_ne_u32_e32 0, v2
	s_cbranch_execz .LBB6_1628
; %bb.1623:                             ;   in Loop: Header=BB6_144 Depth=3
	v_bfe_u32 v37, v2, 23, 8
	v_and_b32_e32 v27, 0x7fffff, v2
	s_delay_alu instid0(VALU_DEP_2) | instskip(SKIP_2) | instid1(VALU_DEP_4)
	v_cmp_gt_u32_e64 s13, 0x71, v37
	v_sub_nc_u32_e32 v39, 0x70, v37
	v_cmp_eq_u32_e32 vcc_lo, 0, v37
	v_or_b32_e32 v49, 0x800000, v27
	v_add_nc_u32_e32 v37, 0xffffff91, v37
	s_delay_alu instid0(VALU_DEP_4) | instskip(NEXT) | instid1(VALU_DEP_3)
	v_cndmask_b32_e64 v39, 0, v39, s13
	v_cndmask_b32_e32 v27, v49, v27, vcc_lo
	s_delay_alu instid0(VALU_DEP_2) | instskip(NEXT) | instid1(VALU_DEP_1)
	v_cndmask_b32_e64 v39, v39, 0x6f, vcc_lo
	v_lshl_add_u32 v49, 0x200000, v39, -1
	v_lshlrev_b32_e64 v53, v39, 0x100000
	s_delay_alu instid0(VALU_DEP_2) | instskip(NEXT) | instid1(VALU_DEP_1)
	v_and_b32_e32 v49, v49, v27
	v_cmp_eq_u32_e64 s13, v49, v53
	v_lshrrev_b32_e32 v49, v39, v27
	v_cndmask_b32_e64 v27, v37, 0xffffff92, vcc_lo
	s_delay_alu instid0(VALU_DEP_2) | instskip(NEXT) | instid1(VALU_DEP_2)
	v_lshrrev_b32_e32 v37, 23, v49
	v_add_nc_u32_e32 v27, v39, v27
	v_bfe_u32 v39, v49, 21, 1
	s_delay_alu instid0(VALU_DEP_3) | instskip(NEXT) | instid1(VALU_DEP_2)
	v_xor_b32_e32 v37, 1, v37
	v_add_nc_u32_e32 v39, -1, v39
	s_delay_alu instid0(VALU_DEP_1) | instskip(SKIP_1) | instid1(VALU_DEP_1)
	v_cndmask_b32_e64 v39, 0, v39, s13
	s_mov_b32 s13, exec_lo
	v_add_nc_u32_e32 v39, v39, v49
	s_delay_alu instid0(VALU_DEP_1) | instskip(NEXT) | instid1(VALU_DEP_1)
	v_and_b32_e32 v39, 0x1fffff, v39
	v_add_nc_u32_e32 v49, v39, v49
                                        ; implicit-def: $vgpr39
	v_cmpx_ne_u32_e64 v27, v37
	s_xor_b32 s13, exec_lo, s13
; %bb.1624:                             ;   in Loop: Header=BB6_144 Depth=3
	s_delay_alu instid0(VALU_DEP_2) | instskip(SKIP_2) | instid1(VALU_DEP_2)
	v_cmp_lt_u32_e32 vcc_lo, 0xffffff, v49
	v_sub_nc_u32_e32 v27, v27, v37
	v_cndmask_b32_e64 v37, 0, 1, vcc_lo
	v_add_co_ci_u32_e32 v39, vcc_lo, 0, v27, vcc_lo
	s_delay_alu instid0(VALU_DEP_2)
	v_lshrrev_b32_e32 v49, v37, v49
; %bb.1625:                             ;   in Loop: Header=BB6_144 Depth=3
	s_and_not1_saveexec_b32 s13, s13
; %bb.1626:                             ;   in Loop: Header=BB6_144 Depth=3
	s_delay_alu instid0(VALU_DEP_1)
	v_bfe_u32 v39, v49, 23, 1
; %bb.1627:                             ;   in Loop: Header=BB6_144 Depth=3
	s_or_b32 exec_lo, exec_lo, s13
	s_clause 0x2
	scratch_load_b32 v68, off, s33 offset:320
	scratch_load_b32 v40, off, s33 offset:324
	;; [unrolled: 1-line block ×3, first 2 shown]
	v_lshrrev_b32_e32 v2, 24, v2
	v_lshrrev_b32_e32 v27, 21, v49
	v_cmp_gt_i32_e32 vcc_lo, 32, v39
	v_min_i32_e32 v37, 31, v39
	v_mov_b32_e32 v44, v134
	v_dual_mov_b32 v43, v100 :: v_dual_and_b32 v2, 0x80, v2
	v_dual_mov_b32 v56, v13 :: v_dual_cndmask_b32 v27, 3, v27
	s_delay_alu instid0(VALU_DEP_4) | instskip(SKIP_1) | instid1(VALU_DEP_3)
	v_dual_mov_b32 v42, v131 :: v_dual_lshlrev_b32 v37, 2, v37
	v_dual_mov_b32 v45, v135 :: v_dual_mov_b32 v58, v112
	v_or_b32_e32 v39, v39, v27
	v_and_b32_e32 v27, 3, v27
	v_dual_mov_b32 v47, v117 :: v_dual_mov_b32 v60, v146
	v_dual_mov_b32 v57, v113 :: v_dual_mov_b32 v62, v118
	s_delay_alu instid0(VALU_DEP_3) | instskip(SKIP_3) | instid1(VALU_DEP_4)
	v_or3_b32 v2, v37, v2, v27
	v_cmp_ne_u32_e32 vcc_lo, 0, v39
	v_dual_mov_b32 v46, v116 :: v_dual_mov_b32 v59, v145
	v_dual_mov_b32 v74, v52 :: v_dual_mov_b32 v61, v102
	v_dual_mov_b32 v72, v101 :: v_dual_cndmask_b32 v49, 0, v2
	v_dual_mov_b32 v63, v98 :: v_dual_mov_b32 v76, v71
	v_dual_mov_b32 v53, v73 :: v_dual_mov_b32 v88, v83
	;; [unrolled: 1-line block ×21, first 2 shown]
	v_mov_b32_e32 v37, v168
	v_mov_b32_e32 v169, v120
	;; [unrolled: 1-line block ×10, first 2 shown]
.LBB6_1628:                             ;   in Loop: Header=BB6_144 Depth=3
	s_or_b32 exec_lo, exec_lo, s36
.LBB6_1629:                             ;   in Loop: Header=BB6_144 Depth=3
	s_delay_alu instid0(SALU_CYCLE_1) | instskip(SKIP_3) | instid1(VALU_DEP_1)
	s_or_b32 exec_lo, exec_lo, s35
	v_lshrrev_b32_e32 v2, 24, v10
	s_mov_b32 s13, 0
	s_mov_b32 s36, exec_lo
                                        ; implicit-def: $sgpr35
	v_cmpx_lt_i16_e32 0x7f, v2
	s_xor_b32 s36, exec_lo, s36
	s_cbranch_execnz .LBB6_2179
; %bb.1630:                             ;   in Loop: Header=BB6_144 Depth=3
	s_or_saveexec_b32 s36, s36
	v_mov_b32_e32 v54, s35
	s_xor_b32 exec_lo, exec_lo, s36
	s_cbranch_execnz .LBB6_2182
.LBB6_1631:                             ;   in Loop: Header=BB6_144 Depth=3
	s_or_b32 exec_lo, exec_lo, s36
	s_and_saveexec_b32 s35, s13
	s_cbranch_execz .LBB6_1633
.LBB6_1632:                             ;   in Loop: Header=BB6_144 Depth=3
	v_bfe_u32 v54, v10, 24, 2
	s_delay_alu instid0(VALU_DEP_1) | instskip(NEXT) | instid1(VALU_DEP_1)
	v_clz_i32_u32_e32 v55, v54
	v_min_u32_e32 v55, 32, v55
	s_delay_alu instid0(VALU_DEP_1) | instskip(SKIP_1) | instid1(VALU_DEP_2)
	v_subrev_nc_u32_e32 v119, 29, v55
	v_sub_nc_u32_e32 v55, 30, v55
	v_lshlrev_b32_e32 v2, v119, v2
	v_bfe_u32 v119, v10, 26, 5
	v_and_b32_e32 v10, 0x80000000, v10
	s_delay_alu instid0(VALU_DEP_2) | instskip(NEXT) | instid1(VALU_DEP_4)
	v_cmp_eq_u32_e32 vcc_lo, 0, v119
	v_dual_cndmask_b32 v55, v119, v55 :: v_dual_and_b32 v2, 3, v2
	s_delay_alu instid0(VALU_DEP_1) | instskip(NEXT) | instid1(VALU_DEP_2)
	v_cndmask_b32_e32 v2, v54, v2, vcc_lo
	v_lshl_add_u32 v54, v55, 23, 0x37800000
	s_delay_alu instid0(VALU_DEP_2) | instskip(NEXT) | instid1(VALU_DEP_1)
	v_lshlrev_b32_e32 v2, 21, v2
	v_or3_b32 v54, v10, v54, v2
.LBB6_1633:                             ;   in Loop: Header=BB6_144 Depth=3
	s_or_b32 exec_lo, exec_lo, s35
	s_delay_alu instid0(VALU_DEP_1) | instskip(NEXT) | instid1(VALU_DEP_1)
	v_mul_f32_e32 v2, s34, v54
	v_and_b32_e32 v10, 0x7f800000, v2
	s_delay_alu instid0(VALU_DEP_1)
	v_cmp_ne_u32_e32 vcc_lo, 0x7f800000, v10
	v_mov_b32_e32 v10, 0x80
	s_and_saveexec_b32 s35, vcc_lo
	s_cbranch_execz .LBB6_1641
; %bb.1634:                             ;   in Loop: Header=BB6_144 Depth=3
	v_mov_b32_e32 v10, 0
	s_mov_b32 s36, exec_lo
	v_cmpx_ne_u32_e32 0, v2
	s_cbranch_execz .LBB6_1640
; %bb.1635:                             ;   in Loop: Header=BB6_144 Depth=3
	v_bfe_u32 v27, v2, 23, 8
	v_and_b32_e32 v10, 0x7fffff, v2
	s_delay_alu instid0(VALU_DEP_2) | instskip(SKIP_2) | instid1(VALU_DEP_4)
	v_cmp_gt_u32_e64 s13, 0x71, v27
	v_sub_nc_u32_e32 v37, 0x70, v27
	v_cmp_eq_u32_e32 vcc_lo, 0, v27
	v_or_b32_e32 v39, 0x800000, v10
	v_add_nc_u32_e32 v27, 0xffffff91, v27
	s_delay_alu instid0(VALU_DEP_4) | instskip(NEXT) | instid1(VALU_DEP_3)
	v_cndmask_b32_e64 v37, 0, v37, s13
	v_cndmask_b32_e32 v10, v39, v10, vcc_lo
	s_delay_alu instid0(VALU_DEP_2) | instskip(NEXT) | instid1(VALU_DEP_1)
	v_cndmask_b32_e64 v37, v37, 0x6f, vcc_lo
	v_lshl_add_u32 v39, 0x200000, v37, -1
	v_lshlrev_b32_e64 v53, v37, 0x100000
	s_delay_alu instid0(VALU_DEP_2) | instskip(NEXT) | instid1(VALU_DEP_1)
	v_and_b32_e32 v39, v39, v10
	v_cmp_eq_u32_e64 s13, v39, v53
	v_lshrrev_b32_e32 v39, v37, v10
	v_cndmask_b32_e64 v10, v27, 0xffffff92, vcc_lo
	s_delay_alu instid0(VALU_DEP_2) | instskip(NEXT) | instid1(VALU_DEP_2)
	v_lshrrev_b32_e32 v27, 23, v39
	v_add_nc_u32_e32 v10, v37, v10
	v_bfe_u32 v37, v39, 21, 1
	s_delay_alu instid0(VALU_DEP_3) | instskip(NEXT) | instid1(VALU_DEP_2)
	v_xor_b32_e32 v27, 1, v27
	v_add_nc_u32_e32 v37, -1, v37
	s_delay_alu instid0(VALU_DEP_1) | instskip(SKIP_1) | instid1(VALU_DEP_1)
	v_cndmask_b32_e64 v37, 0, v37, s13
	s_mov_b32 s13, exec_lo
	v_add_nc_u32_e32 v37, v37, v39
	s_delay_alu instid0(VALU_DEP_1) | instskip(NEXT) | instid1(VALU_DEP_1)
	v_and_b32_e32 v37, 0x1fffff, v37
	v_add_nc_u32_e32 v39, v37, v39
                                        ; implicit-def: $vgpr37
	v_cmpx_ne_u32_e64 v10, v27
	s_xor_b32 s13, exec_lo, s13
; %bb.1636:                             ;   in Loop: Header=BB6_144 Depth=3
	s_delay_alu instid0(VALU_DEP_2) | instskip(SKIP_2) | instid1(VALU_DEP_2)
	v_cmp_lt_u32_e32 vcc_lo, 0xffffff, v39
	v_sub_nc_u32_e32 v10, v10, v27
	v_cndmask_b32_e64 v27, 0, 1, vcc_lo
	v_add_co_ci_u32_e32 v37, vcc_lo, 0, v10, vcc_lo
	s_delay_alu instid0(VALU_DEP_2)
	v_lshrrev_b32_e32 v39, v27, v39
; %bb.1637:                             ;   in Loop: Header=BB6_144 Depth=3
	s_and_not1_saveexec_b32 s13, s13
; %bb.1638:                             ;   in Loop: Header=BB6_144 Depth=3
	s_delay_alu instid0(VALU_DEP_1)
	v_bfe_u32 v37, v39, 23, 1
; %bb.1639:                             ;   in Loop: Header=BB6_144 Depth=3
	s_or_b32 exec_lo, exec_lo, s13
	s_clause 0x2
	scratch_load_b32 v68, off, s33 offset:320
	scratch_load_b32 v40, off, s33 offset:324
	;; [unrolled: 1-line block ×3, first 2 shown]
	v_lshrrev_b32_e32 v10, 21, v39
	v_cmp_gt_i32_e32 vcc_lo, 32, v37
	v_lshrrev_b32_e32 v2, 24, v2
	v_min_i32_e32 v27, 31, v37
	v_dual_mov_b32 v43, v100 :: v_dual_mov_b32 v42, v131
	v_dual_mov_b32 v57, v113 :: v_dual_cndmask_b32 v10, 3, v10
	s_delay_alu instid0(VALU_DEP_3) | instskip(SKIP_2) | instid1(VALU_DEP_4)
	v_lshlrev_b32_e32 v27, 2, v27
	v_dual_mov_b32 v45, v135 :: v_dual_and_b32 v2, 0x80, v2
	v_dual_mov_b32 v44, v134 :: v_dual_mov_b32 v59, v145
	v_or_b32_e32 v37, v37, v10
	v_and_b32_e32 v10, 3, v10
	v_dual_mov_b32 v46, v116 :: v_dual_mov_b32 v61, v102
	v_dual_mov_b32 v56, v13 :: v_dual_mov_b32 v63, v98
	s_delay_alu instid0(VALU_DEP_3) | instskip(SKIP_3) | instid1(VALU_DEP_4)
	v_or3_b32 v2, v27, v2, v10
	v_cmp_ne_u32_e32 vcc_lo, 0, v37
	v_dual_mov_b32 v47, v117 :: v_dual_mov_b32 v58, v112
	v_dual_mov_b32 v53, v73 :: v_dual_mov_b32 v60, v146
	v_dual_mov_b32 v77, v80 :: v_dual_cndmask_b32 v10, 0, v2
	v_dual_mov_b32 v62, v118 :: v_dual_mov_b32 v89, v147
	v_dual_mov_b32 v72, v101 :: v_dual_mov_b32 v75, v70
	;; [unrolled: 1-line block ×24, first 2 shown]
	v_mov_b32_e32 v185, v126
	v_mov_b32_e32 v187, v127
	v_mov_b32_e32 v133, v48
	v_mov_b32_e32 v51, v128
.LBB6_1640:                             ;   in Loop: Header=BB6_144 Depth=3
	s_or_b32 exec_lo, exec_lo, s36
.LBB6_1641:                             ;   in Loop: Header=BB6_144 Depth=3
	s_delay_alu instid0(SALU_CYCLE_1) | instskip(SKIP_3) | instid1(VALU_DEP_1)
	s_or_b32 exec_lo, exec_lo, s35
	v_and_b32_e32 v54, 0xff, v11
	s_mov_b32 s35, 0
	s_mov_b32 s36, exec_lo
                                        ; implicit-def: $sgpr13
	v_cmpx_lt_i16_e32 0x7f, v54
	s_xor_b32 s36, exec_lo, s36
	s_cbranch_execnz .LBB6_2183
; %bb.1642:                             ;   in Loop: Header=BB6_144 Depth=3
	s_or_saveexec_b32 s36, s36
	v_mov_b32_e32 v2, s13
	s_xor_b32 exec_lo, exec_lo, s36
	s_cbranch_execnz .LBB6_2186
.LBB6_1643:                             ;   in Loop: Header=BB6_144 Depth=3
	s_or_b32 exec_lo, exec_lo, s36
	s_and_saveexec_b32 s13, s35
	s_cbranch_execz .LBB6_1645
.LBB6_1644:                             ;   in Loop: Header=BB6_144 Depth=3
	v_and_b32_e32 v2, 3, v11
	v_bfe_u32 v54, v11, 2, 5
	s_delay_alu instid0(VALU_DEP_2) | instskip(NEXT) | instid1(VALU_DEP_2)
	v_clz_i32_u32_e32 v55, v2
	v_cmp_eq_u32_e32 vcc_lo, 0, v54
	s_delay_alu instid0(VALU_DEP_2) | instskip(NEXT) | instid1(VALU_DEP_1)
	v_min_u32_e32 v55, 32, v55
	v_subrev_nc_u32_e32 v119, 29, v55
	v_sub_nc_u32_e32 v55, 30, v55
	s_delay_alu instid0(VALU_DEP_2) | instskip(NEXT) | instid1(VALU_DEP_2)
	v_lshlrev_b32_e32 v119, v119, v11
	v_cndmask_b32_e32 v54, v54, v55, vcc_lo
	v_lshlrev_b32_e32 v55, 24, v11
	s_delay_alu instid0(VALU_DEP_3) | instskip(NEXT) | instid1(VALU_DEP_3)
	v_and_b32_e32 v119, 3, v119
	v_lshl_add_u32 v54, v54, 23, 0x37800000
	s_delay_alu instid0(VALU_DEP_3) | instskip(NEXT) | instid1(VALU_DEP_3)
	v_and_b32_e32 v55, 0x80000000, v55
	v_cndmask_b32_e32 v2, v2, v119, vcc_lo
	s_delay_alu instid0(VALU_DEP_1) | instskip(NEXT) | instid1(VALU_DEP_1)
	v_lshlrev_b32_e32 v2, 21, v2
	v_or3_b32 v2, v55, v54, v2
.LBB6_1645:                             ;   in Loop: Header=BB6_144 Depth=3
	s_or_b32 exec_lo, exec_lo, s13
	s_delay_alu instid0(VALU_DEP_1) | instskip(NEXT) | instid1(VALU_DEP_1)
	v_mul_f32_e32 v54, s34, v2
	v_and_b32_e32 v2, 0x7f800000, v54
	s_delay_alu instid0(VALU_DEP_1)
	v_cmp_ne_u32_e32 vcc_lo, 0x7f800000, v2
	v_mov_b32_e32 v2, 0x80
	s_and_saveexec_b32 s35, vcc_lo
	s_cbranch_execz .LBB6_1653
; %bb.1646:                             ;   in Loop: Header=BB6_144 Depth=3
	v_mov_b32_e32 v2, 0
	s_mov_b32 s36, exec_lo
	v_cmpx_ne_u32_e32 0, v54
	s_cbranch_execz .LBB6_1652
; %bb.1647:                             ;   in Loop: Header=BB6_144 Depth=3
	v_bfe_u32 v27, v54, 23, 8
	v_and_b32_e32 v2, 0x7fffff, v54
	s_delay_alu instid0(VALU_DEP_2) | instskip(SKIP_2) | instid1(VALU_DEP_4)
	v_cmp_gt_u32_e64 s13, 0x71, v27
	v_sub_nc_u32_e32 v37, 0x70, v27
	v_cmp_eq_u32_e32 vcc_lo, 0, v27
	v_or_b32_e32 v39, 0x800000, v2
	v_add_nc_u32_e32 v27, 0xffffff91, v27
	s_delay_alu instid0(VALU_DEP_4) | instskip(NEXT) | instid1(VALU_DEP_3)
	v_cndmask_b32_e64 v37, 0, v37, s13
	v_cndmask_b32_e32 v2, v39, v2, vcc_lo
	s_delay_alu instid0(VALU_DEP_2) | instskip(NEXT) | instid1(VALU_DEP_1)
	v_cndmask_b32_e64 v37, v37, 0x6f, vcc_lo
	v_lshl_add_u32 v39, 0x200000, v37, -1
	v_lshlrev_b32_e64 v53, v37, 0x100000
	s_delay_alu instid0(VALU_DEP_2) | instskip(NEXT) | instid1(VALU_DEP_1)
	v_and_b32_e32 v39, v39, v2
	v_cmp_eq_u32_e64 s13, v39, v53
	v_lshrrev_b32_e32 v39, v37, v2
	v_cndmask_b32_e64 v2, v27, 0xffffff92, vcc_lo
	s_delay_alu instid0(VALU_DEP_2) | instskip(NEXT) | instid1(VALU_DEP_2)
	v_lshrrev_b32_e32 v27, 23, v39
	v_add_nc_u32_e32 v2, v37, v2
	v_bfe_u32 v37, v39, 21, 1
	s_delay_alu instid0(VALU_DEP_3) | instskip(NEXT) | instid1(VALU_DEP_2)
	v_xor_b32_e32 v27, 1, v27
	v_add_nc_u32_e32 v37, -1, v37
	s_delay_alu instid0(VALU_DEP_1) | instskip(SKIP_1) | instid1(VALU_DEP_1)
	v_cndmask_b32_e64 v37, 0, v37, s13
	s_mov_b32 s13, exec_lo
	v_add_nc_u32_e32 v37, v37, v39
	s_delay_alu instid0(VALU_DEP_1) | instskip(NEXT) | instid1(VALU_DEP_1)
	v_and_b32_e32 v37, 0x1fffff, v37
	v_add_nc_u32_e32 v37, v37, v39
                                        ; implicit-def: $vgpr39
	v_cmpx_ne_u32_e64 v2, v27
	s_xor_b32 s13, exec_lo, s13
; %bb.1648:                             ;   in Loop: Header=BB6_144 Depth=3
	s_delay_alu instid0(VALU_DEP_2) | instskip(SKIP_2) | instid1(VALU_DEP_2)
	v_cmp_lt_u32_e32 vcc_lo, 0xffffff, v37
	v_sub_nc_u32_e32 v2, v2, v27
	v_cndmask_b32_e64 v27, 0, 1, vcc_lo
	v_add_co_ci_u32_e32 v39, vcc_lo, 0, v2, vcc_lo
	s_delay_alu instid0(VALU_DEP_2)
	v_lshrrev_b32_e32 v37, v27, v37
; %bb.1649:                             ;   in Loop: Header=BB6_144 Depth=3
	s_and_not1_saveexec_b32 s13, s13
; %bb.1650:                             ;   in Loop: Header=BB6_144 Depth=3
	s_delay_alu instid0(VALU_DEP_1)
	v_bfe_u32 v39, v37, 23, 1
; %bb.1651:                             ;   in Loop: Header=BB6_144 Depth=3
	s_or_b32 exec_lo, exec_lo, s13
	s_clause 0x2
	scratch_load_b32 v68, off, s33 offset:320
	scratch_load_b32 v40, off, s33 offset:324
	;; [unrolled: 1-line block ×3, first 2 shown]
	v_lshrrev_b32_e32 v2, 24, v54
	v_lshrrev_b32_e32 v27, 21, v37
	v_cmp_gt_i32_e32 vcc_lo, 32, v39
	v_min_i32_e32 v37, 31, v39
	v_mov_b32_e32 v42, v131
	v_dual_mov_b32 v43, v100 :: v_dual_and_b32 v2, 0x80, v2
	v_dual_mov_b32 v56, v13 :: v_dual_cndmask_b32 v27, 3, v27
	s_delay_alu instid0(VALU_DEP_4) | instskip(SKIP_1) | instid1(VALU_DEP_3)
	v_dual_mov_b32 v44, v134 :: v_dual_lshlrev_b32 v37, 2, v37
	v_dual_mov_b32 v45, v135 :: v_dual_mov_b32 v46, v116
	v_or_b32_e32 v39, v39, v27
	s_delay_alu instid0(VALU_DEP_3) | instskip(SKIP_2) | instid1(VALU_DEP_4)
	v_and_b32_e32 v37, 0xfc, v37
	v_dual_mov_b32 v47, v117 :: v_dual_mov_b32 v58, v112
	v_dual_mov_b32 v57, v113 :: v_dual_mov_b32 v60, v146
	v_cmp_ne_u32_e32 vcc_lo, 0, v39
	v_and_b32_e32 v27, 3, v27
	v_dual_mov_b32 v59, v145 :: v_dual_mov_b32 v62, v118
	v_dual_mov_b32 v61, v102 :: v_dual_mov_b32 v72, v101
	s_delay_alu instid0(VALU_DEP_3) | instskip(SKIP_2) | instid1(VALU_DEP_3)
	v_or3_b32 v2, v37, v2, v27
	v_dual_mov_b32 v63, v98 :: v_dual_mov_b32 v74, v52
	v_dual_mov_b32 v53, v73 :: v_dual_mov_b32 v76, v71
	v_dual_cndmask_b32 v2, 0, v2 :: v_dual_mov_b32 v75, v70
	v_dual_mov_b32 v78, v81 :: v_dual_mov_b32 v77, v80
	v_dual_mov_b32 v88, v83 :: v_dual_mov_b32 v79, v82
	;; [unrolled: 1-line block ×11, first 2 shown]
	v_mov_b32_e32 v154, v97
	v_dual_mov_b32 v139, v177 :: v_dual_mov_b32 v152, v87
	v_dual_mov_b32 v141, v179 :: v_dual_mov_b32 v156, v86
	;; [unrolled: 1-line block ×7, first 2 shown]
	v_mov_b32_e32 v37, v168
	v_mov_b32_e32 v169, v120
	v_dual_mov_b32 v171, v121 :: v_dual_mov_b32 v188, v136
	v_mov_b32_e32 v173, v26
	v_mov_b32_e32 v27, v174
	v_mov_b32_e32 v175, v123
	v_mov_b32_e32 v185, v126
	v_mov_b32_e32 v187, v127
	v_mov_b32_e32 v133, v48
	v_mov_b32_e32 v51, v128
.LBB6_1652:                             ;   in Loop: Header=BB6_144 Depth=3
	s_or_b32 exec_lo, exec_lo, s36
.LBB6_1653:                             ;   in Loop: Header=BB6_144 Depth=3
	s_delay_alu instid0(SALU_CYCLE_1) | instskip(SKIP_3) | instid1(VALU_DEP_1)
	s_or_b32 exec_lo, exec_lo, s35
	v_lshrrev_b16 v54, 8, v11
	s_mov_b32 s35, 0
	s_mov_b32 s36, exec_lo
                                        ; implicit-def: $sgpr13
	v_cmpx_lt_i16_e32 0x7f, v54
	s_xor_b32 s36, exec_lo, s36
	s_cbranch_execnz .LBB6_2187
; %bb.1654:                             ;   in Loop: Header=BB6_144 Depth=3
	s_or_saveexec_b32 s36, s36
	v_mov_b32_e32 v55, s13
	s_xor_b32 exec_lo, exec_lo, s36
	s_cbranch_execnz .LBB6_2190
.LBB6_1655:                             ;   in Loop: Header=BB6_144 Depth=3
	s_or_b32 exec_lo, exec_lo, s36
	s_and_saveexec_b32 s13, s35
	s_cbranch_execz .LBB6_1657
.LBB6_1656:                             ;   in Loop: Header=BB6_144 Depth=3
	v_and_b32_e32 v55, 0xffff, v54
	v_lshlrev_b32_e32 v54, 24, v54
	s_delay_alu instid0(VALU_DEP_2) | instskip(SKIP_1) | instid1(VALU_DEP_3)
	v_and_b32_e32 v119, 3, v55
	v_bfe_u32 v51, v55, 2, 5
	v_and_b32_e32 v54, 0x80000000, v54
	s_delay_alu instid0(VALU_DEP_3) | instskip(NEXT) | instid1(VALU_DEP_3)
	v_clz_i32_u32_e32 v130, v119
	v_cmp_eq_u32_e32 vcc_lo, 0, v51
	s_delay_alu instid0(VALU_DEP_2) | instskip(NEXT) | instid1(VALU_DEP_1)
	v_min_u32_e32 v130, 32, v130
	v_subrev_nc_u32_e32 v50, 29, v130
	s_delay_alu instid0(VALU_DEP_1) | instskip(SKIP_1) | instid1(VALU_DEP_1)
	v_lshlrev_b32_e32 v50, v50, v55
	v_sub_nc_u32_e32 v55, 30, v130
	v_dual_cndmask_b32 v51, v51, v55 :: v_dual_and_b32 v50, 3, v50
	s_delay_alu instid0(VALU_DEP_1) | instskip(NEXT) | instid1(VALU_DEP_2)
	v_cndmask_b32_e32 v50, v119, v50, vcc_lo
	v_lshl_add_u32 v51, v51, 23, 0x37800000
	s_delay_alu instid0(VALU_DEP_2) | instskip(NEXT) | instid1(VALU_DEP_1)
	v_lshlrev_b32_e32 v50, 21, v50
	v_or3_b32 v55, v54, v51, v50
	v_mov_b32_e32 v51, v128
.LBB6_1657:                             ;   in Loop: Header=BB6_144 Depth=3
	s_or_b32 exec_lo, exec_lo, s13
	s_delay_alu instid0(VALU_DEP_2) | instskip(SKIP_1) | instid1(VALU_DEP_1)
	v_dual_mul_f32 v55, s34, v55 :: v_dual_mov_b32 v54, 0x8000
	s_mov_b32 s35, exec_lo
	v_and_b32_e32 v50, 0x7f800000, v55
	s_delay_alu instid0(VALU_DEP_1)
	v_cmpx_ne_u32_e32 0x7f800000, v50
	s_cbranch_execz .LBB6_1665
; %bb.1658:                             ;   in Loop: Header=BB6_144 Depth=3
	v_mov_b32_e32 v54, 0
	s_mov_b32 s36, exec_lo
	v_cmpx_ne_u32_e32 0, v55
	s_cbranch_execz .LBB6_1664
; %bb.1659:                             ;   in Loop: Header=BB6_144 Depth=3
	v_bfe_u32 v37, v55, 23, 8
	v_and_b32_e32 v27, 0x7fffff, v55
                                        ; implicit-def: $vgpr53
	s_delay_alu instid0(VALU_DEP_2) | instskip(SKIP_2) | instid1(VALU_DEP_4)
	v_cmp_gt_u32_e64 s13, 0x71, v37
	v_sub_nc_u32_e32 v39, 0x70, v37
	v_cmp_eq_u32_e32 vcc_lo, 0, v37
	v_or_b32_e32 v50, 0x800000, v27
	v_add_nc_u32_e32 v37, 0xffffff91, v37
	s_delay_alu instid0(VALU_DEP_4) | instskip(NEXT) | instid1(VALU_DEP_3)
	v_cndmask_b32_e64 v39, 0, v39, s13
	v_cndmask_b32_e32 v27, v50, v27, vcc_lo
	s_delay_alu instid0(VALU_DEP_2) | instskip(NEXT) | instid1(VALU_DEP_1)
	v_cndmask_b32_e64 v39, v39, 0x6f, vcc_lo
	v_lshl_add_u32 v50, 0x200000, v39, -1
	v_lshlrev_b32_e64 v51, v39, 0x100000
	s_delay_alu instid0(VALU_DEP_2) | instskip(NEXT) | instid1(VALU_DEP_1)
	v_and_b32_e32 v50, v50, v27
	v_cmp_eq_u32_e64 s13, v50, v51
	v_lshrrev_b32_e32 v50, v39, v27
	v_cndmask_b32_e64 v27, v37, 0xffffff92, vcc_lo
	s_delay_alu instid0(VALU_DEP_2) | instskip(NEXT) | instid1(VALU_DEP_2)
	v_lshrrev_b32_e32 v37, 23, v50
	v_add_nc_u32_e32 v27, v39, v27
	v_bfe_u32 v39, v50, 21, 1
	s_delay_alu instid0(VALU_DEP_3) | instskip(NEXT) | instid1(VALU_DEP_2)
	v_xor_b32_e32 v37, 1, v37
	v_add_nc_u32_e32 v39, -1, v39
	s_delay_alu instid0(VALU_DEP_1) | instskip(SKIP_1) | instid1(VALU_DEP_1)
	v_cndmask_b32_e64 v39, 0, v39, s13
	s_mov_b32 s13, exec_lo
	v_add_nc_u32_e32 v39, v39, v50
	s_delay_alu instid0(VALU_DEP_1) | instskip(NEXT) | instid1(VALU_DEP_1)
	v_and_b32_e32 v39, 0x1fffff, v39
	v_add_nc_u32_e32 v39, v39, v50
	v_cmpx_ne_u32_e64 v27, v37
	s_xor_b32 s13, exec_lo, s13
; %bb.1660:                             ;   in Loop: Header=BB6_144 Depth=3
	s_delay_alu instid0(VALU_DEP_2) | instskip(SKIP_2) | instid1(VALU_DEP_2)
	v_cmp_lt_u32_e32 vcc_lo, 0xffffff, v39
	v_sub_nc_u32_e32 v27, v27, v37
	v_cndmask_b32_e64 v37, 0, 1, vcc_lo
	v_add_co_ci_u32_e32 v53, vcc_lo, 0, v27, vcc_lo
	s_delay_alu instid0(VALU_DEP_2)
	v_lshrrev_b32_e32 v39, v37, v39
; %bb.1661:                             ;   in Loop: Header=BB6_144 Depth=3
	s_and_not1_saveexec_b32 s13, s13
; %bb.1662:                             ;   in Loop: Header=BB6_144 Depth=3
	s_delay_alu instid0(VALU_DEP_1)
	v_bfe_u32 v53, v39, 23, 1
; %bb.1663:                             ;   in Loop: Header=BB6_144 Depth=3
	s_or_b32 exec_lo, exec_lo, s13
	s_clause 0x2
	scratch_load_b32 v68, off, s33 offset:320
	scratch_load_b32 v40, off, s33 offset:324
	;; [unrolled: 1-line block ×3, first 2 shown]
	v_lshrrev_b32_e32 v37, 21, v39
	v_min_i32_e32 v39, 31, v53
	v_cmp_gt_i32_e32 vcc_lo, 32, v53
	v_lshrrev_b32_e32 v27, 24, v55
	v_mov_b32_e32 v46, v116
	s_delay_alu instid0(VALU_DEP_4) | instskip(SKIP_1) | instid1(VALU_DEP_4)
	v_dual_mov_b32 v42, v131 :: v_dual_lshlrev_b32 v39, 2, v39
	v_cndmask_b32_e32 v37, 3, v37, vcc_lo
	v_dual_mov_b32 v44, v134 :: v_dual_and_b32 v27, 0x80, v27
	s_delay_alu instid0(VALU_DEP_3) | instskip(NEXT) | instid1(VALU_DEP_3)
	v_dual_mov_b32 v56, v13 :: v_dual_and_b32 v39, 0xfc, v39
	v_or_b32_e32 v50, v53, v37
	v_and_b32_e32 v37, 3, v37
	v_dual_mov_b32 v43, v100 :: v_dual_mov_b32 v60, v146
	v_dual_mov_b32 v45, v135 :: v_dual_mov_b32 v62, v118
	s_delay_alu instid0(VALU_DEP_3) | instskip(SKIP_3) | instid1(VALU_DEP_4)
	v_or3_b32 v27, v27, v39, v37
	v_cmp_ne_u32_e32 vcc_lo, 0, v50
	v_dual_mov_b32 v47, v117 :: v_dual_mov_b32 v74, v52
	v_dual_mov_b32 v57, v113 :: v_dual_mov_b32 v76, v71
	v_dual_mov_b32 v58, v112 :: v_dual_lshlrev_b32 v27, 8, v27
	v_dual_mov_b32 v59, v145 :: v_dual_mov_b32 v88, v83
	v_dual_mov_b32 v61, v102 :: v_dual_mov_b32 v72, v101
	s_delay_alu instid0(VALU_DEP_3)
	v_dual_cndmask_b32 v54, 0, v27 :: v_dual_mov_b32 v63, v98
	v_mov_b32_e32 v78, v81
	v_dual_mov_b32 v53, v73 :: v_dual_mov_b32 v90, v84
	v_dual_mov_b32 v75, v70 :: v_dual_mov_b32 v92, v149
	;; [unrolled: 1-line block ×18, first 2 shown]
	v_mov_b32_e32 v39, v157
	v_mov_b32_e32 v159, v36
	;; [unrolled: 1-line block ×12, first 2 shown]
.LBB6_1664:                             ;   in Loop: Header=BB6_144 Depth=3
	s_or_b32 exec_lo, exec_lo, s36
.LBB6_1665:                             ;   in Loop: Header=BB6_144 Depth=3
	s_delay_alu instid0(SALU_CYCLE_1) | instskip(SKIP_3) | instid1(VALU_DEP_1)
	s_or_b32 exec_lo, exec_lo, s35
	v_lshrrev_b32_e32 v55, 16, v11
	s_mov_b32 s13, 0
	s_mov_b32 s36, exec_lo
                                        ; implicit-def: $sgpr35
	v_and_b32_e32 v119, 0xff, v55
	s_delay_alu instid0(VALU_DEP_1)
	v_cmpx_lt_i16_e32 0x7f, v119
	s_xor_b32 s36, exec_lo, s36
	s_cbranch_execnz .LBB6_2191
; %bb.1666:                             ;   in Loop: Header=BB6_144 Depth=3
	s_or_saveexec_b32 s36, s36
	v_mov_b32_e32 v130, s35
	s_xor_b32 exec_lo, exec_lo, s36
	s_cbranch_execnz .LBB6_2194
.LBB6_1667:                             ;   in Loop: Header=BB6_144 Depth=3
	s_or_b32 exec_lo, exec_lo, s36
	s_and_saveexec_b32 s35, s13
	s_cbranch_execz .LBB6_1669
.LBB6_1668:                             ;   in Loop: Header=BB6_144 Depth=3
	v_bfe_u32 v50, v11, 16, 2
	v_lshlrev_b32_e32 v130, 8, v11
	s_delay_alu instid0(VALU_DEP_2) | instskip(NEXT) | instid1(VALU_DEP_1)
	v_clz_i32_u32_e32 v51, v50
	v_min_u32_e32 v51, 32, v51
	s_delay_alu instid0(VALU_DEP_1) | instskip(SKIP_1) | instid1(VALU_DEP_2)
	v_subrev_nc_u32_e32 v119, 29, v51
	v_sub_nc_u32_e32 v51, 30, v51
	v_lshlrev_b32_e32 v55, v119, v55
	v_bfe_u32 v119, v11, 18, 5
	s_delay_alu instid0(VALU_DEP_2) | instskip(NEXT) | instid1(VALU_DEP_2)
	v_and_b32_e32 v55, 3, v55
	v_cmp_eq_u32_e32 vcc_lo, 0, v119
	s_delay_alu instid0(VALU_DEP_2) | instskip(NEXT) | instid1(VALU_DEP_1)
	v_dual_cndmask_b32 v50, v50, v55 :: v_dual_and_b32 v55, 0x80000000, v130
	v_dual_cndmask_b32 v51, v119, v51 :: v_dual_lshlrev_b32 v50, 21, v50
	s_delay_alu instid0(VALU_DEP_1) | instskip(NEXT) | instid1(VALU_DEP_1)
	v_lshl_add_u32 v51, v51, 23, 0x37800000
	v_or3_b32 v130, v55, v51, v50
	v_mov_b32_e32 v51, v128
.LBB6_1669:                             ;   in Loop: Header=BB6_144 Depth=3
	s_or_b32 exec_lo, exec_lo, s35
	s_delay_alu instid0(VALU_DEP_2) | instskip(SKIP_1) | instid1(VALU_DEP_1)
	v_dual_mul_f32 v130, s34, v130 :: v_dual_mov_b32 v55, 0x80
	s_mov_b32 s35, exec_lo
	v_and_b32_e32 v50, 0x7f800000, v130
	s_delay_alu instid0(VALU_DEP_1)
	v_cmpx_ne_u32_e32 0x7f800000, v50
	s_cbranch_execz .LBB6_1677
; %bb.1670:                             ;   in Loop: Header=BB6_144 Depth=3
	v_mov_b32_e32 v55, 0
	s_mov_b32 s36, exec_lo
	v_cmpx_ne_u32_e32 0, v130
	s_cbranch_execz .LBB6_1676
; %bb.1671:                             ;   in Loop: Header=BB6_144 Depth=3
	v_bfe_u32 v37, v130, 23, 8
	v_and_b32_e32 v27, 0x7fffff, v130
                                        ; implicit-def: $vgpr53
	s_delay_alu instid0(VALU_DEP_2) | instskip(SKIP_2) | instid1(VALU_DEP_4)
	v_cmp_gt_u32_e64 s13, 0x71, v37
	v_sub_nc_u32_e32 v39, 0x70, v37
	v_cmp_eq_u32_e32 vcc_lo, 0, v37
	v_or_b32_e32 v50, 0x800000, v27
	v_add_nc_u32_e32 v37, 0xffffff91, v37
	s_delay_alu instid0(VALU_DEP_4) | instskip(NEXT) | instid1(VALU_DEP_3)
	v_cndmask_b32_e64 v39, 0, v39, s13
	v_cndmask_b32_e32 v27, v50, v27, vcc_lo
	s_delay_alu instid0(VALU_DEP_2) | instskip(NEXT) | instid1(VALU_DEP_1)
	v_cndmask_b32_e64 v39, v39, 0x6f, vcc_lo
	v_lshl_add_u32 v50, 0x200000, v39, -1
	v_lshlrev_b32_e64 v51, v39, 0x100000
	s_delay_alu instid0(VALU_DEP_2) | instskip(NEXT) | instid1(VALU_DEP_1)
	v_and_b32_e32 v50, v50, v27
	v_cmp_eq_u32_e64 s13, v50, v51
	v_lshrrev_b32_e32 v50, v39, v27
	v_cndmask_b32_e64 v27, v37, 0xffffff92, vcc_lo
	s_delay_alu instid0(VALU_DEP_2) | instskip(NEXT) | instid1(VALU_DEP_2)
	v_lshrrev_b32_e32 v37, 23, v50
	v_add_nc_u32_e32 v27, v39, v27
	v_bfe_u32 v39, v50, 21, 1
	s_delay_alu instid0(VALU_DEP_3) | instskip(NEXT) | instid1(VALU_DEP_2)
	v_xor_b32_e32 v37, 1, v37
	v_add_nc_u32_e32 v39, -1, v39
	s_delay_alu instid0(VALU_DEP_1) | instskip(SKIP_1) | instid1(VALU_DEP_1)
	v_cndmask_b32_e64 v39, 0, v39, s13
	s_mov_b32 s13, exec_lo
	v_add_nc_u32_e32 v39, v39, v50
	s_delay_alu instid0(VALU_DEP_1) | instskip(NEXT) | instid1(VALU_DEP_1)
	v_and_b32_e32 v39, 0x1fffff, v39
	v_add_nc_u32_e32 v39, v39, v50
	v_cmpx_ne_u32_e64 v27, v37
	s_xor_b32 s13, exec_lo, s13
; %bb.1672:                             ;   in Loop: Header=BB6_144 Depth=3
	s_delay_alu instid0(VALU_DEP_2) | instskip(SKIP_2) | instid1(VALU_DEP_2)
	v_cmp_lt_u32_e32 vcc_lo, 0xffffff, v39
	v_sub_nc_u32_e32 v27, v27, v37
	v_cndmask_b32_e64 v37, 0, 1, vcc_lo
	v_add_co_ci_u32_e32 v53, vcc_lo, 0, v27, vcc_lo
	s_delay_alu instid0(VALU_DEP_2)
	v_lshrrev_b32_e32 v39, v37, v39
; %bb.1673:                             ;   in Loop: Header=BB6_144 Depth=3
	s_and_not1_saveexec_b32 s13, s13
; %bb.1674:                             ;   in Loop: Header=BB6_144 Depth=3
	s_delay_alu instid0(VALU_DEP_1)
	v_bfe_u32 v53, v39, 23, 1
; %bb.1675:                             ;   in Loop: Header=BB6_144 Depth=3
	s_or_b32 exec_lo, exec_lo, s13
	s_clause 0x2
	scratch_load_b32 v68, off, s33 offset:320
	scratch_load_b32 v40, off, s33 offset:324
	;; [unrolled: 1-line block ×3, first 2 shown]
	v_lshrrev_b32_e32 v37, 21, v39
	v_min_i32_e32 v39, 31, v53
	v_cmp_gt_i32_e32 vcc_lo, 32, v53
	v_lshrrev_b32_e32 v27, 24, v130
	v_mov_b32_e32 v44, v134
	s_delay_alu instid0(VALU_DEP_4) | instskip(SKIP_1) | instid1(VALU_DEP_4)
	v_dual_mov_b32 v56, v13 :: v_dual_lshlrev_b32 v39, 2, v39
	v_cndmask_b32_e32 v37, 3, v37, vcc_lo
	v_dual_mov_b32 v42, v131 :: v_dual_and_b32 v27, 0x80, v27
	s_delay_alu instid0(VALU_DEP_3) | instskip(SKIP_1) | instid1(VALU_DEP_4)
	v_dual_mov_b32 v46, v116 :: v_dual_and_b32 v39, 0xfc, v39
	v_mov_b32_e32 v58, v112
	v_or_b32_e32 v50, v53, v37
	v_and_b32_e32 v37, 3, v37
	v_dual_mov_b32 v43, v100 :: v_dual_mov_b32 v62, v118
	v_dual_mov_b32 v45, v135 :: v_dual_mov_b32 v72, v101
	s_delay_alu instid0(VALU_DEP_3) | instskip(SKIP_3) | instid1(VALU_DEP_4)
	v_or3_b32 v27, v39, v27, v37
	v_cmp_ne_u32_e32 vcc_lo, 0, v50
	v_dual_mov_b32 v47, v117 :: v_dual_mov_b32 v74, v52
	v_dual_mov_b32 v57, v113 :: v_dual_mov_b32 v76, v71
	v_dual_cndmask_b32 v55, 0, v27 :: v_dual_mov_b32 v60, v146
	v_dual_mov_b32 v59, v145 :: v_dual_mov_b32 v88, v83
	v_dual_mov_b32 v61, v102 :: v_dual_mov_b32 v78, v81
	;; [unrolled: 1-line block ×20, first 2 shown]
	v_mov_b32_e32 v155, v183
	v_mov_b32_e32 v39, v157
	;; [unrolled: 1-line block ×13, first 2 shown]
.LBB6_1676:                             ;   in Loop: Header=BB6_144 Depth=3
	s_or_b32 exec_lo, exec_lo, s36
.LBB6_1677:                             ;   in Loop: Header=BB6_144 Depth=3
	s_delay_alu instid0(SALU_CYCLE_1) | instskip(SKIP_3) | instid1(VALU_DEP_1)
	s_or_b32 exec_lo, exec_lo, s35
	v_lshrrev_b32_e32 v130, 24, v11
	s_mov_b32 s13, 0
	s_mov_b32 s36, exec_lo
                                        ; implicit-def: $sgpr35
	v_cmpx_lt_i16_e64 0x7f, v130
	s_xor_b32 s36, exec_lo, s36
	s_cbranch_execnz .LBB6_2195
; %bb.1678:                             ;   in Loop: Header=BB6_144 Depth=3
	s_or_saveexec_b32 s36, s36
	v_mov_b32_e32 v119, s35
	s_xor_b32 exec_lo, exec_lo, s36
	s_cbranch_execnz .LBB6_2198
.LBB6_1679:                             ;   in Loop: Header=BB6_144 Depth=3
	s_or_b32 exec_lo, exec_lo, s36
	s_and_saveexec_b32 s35, s13
	s_cbranch_execz .LBB6_1681
.LBB6_1680:                             ;   in Loop: Header=BB6_144 Depth=3
	v_bfe_u32 v50, v11, 24, 2
	s_delay_alu instid0(VALU_DEP_1) | instskip(NEXT) | instid1(VALU_DEP_1)
	v_clz_i32_u32_e32 v51, v50
	v_min_u32_e32 v51, 32, v51
	s_delay_alu instid0(VALU_DEP_1) | instskip(SKIP_1) | instid1(VALU_DEP_2)
	v_subrev_nc_u32_e32 v119, 29, v51
	v_sub_nc_u32_e32 v51, 30, v51
	v_lshlrev_b32_e32 v119, v119, v130
	v_bfe_u32 v130, v11, 26, 5
	v_and_b32_e32 v11, 0x80000000, v11
	s_delay_alu instid0(VALU_DEP_3) | instskip(NEXT) | instid1(VALU_DEP_3)
	v_and_b32_e32 v119, 3, v119
	v_cmp_eq_u32_e32 vcc_lo, 0, v130
	s_delay_alu instid0(VALU_DEP_2) | instskip(NEXT) | instid1(VALU_DEP_1)
	v_cndmask_b32_e32 v50, v50, v119, vcc_lo
	v_dual_cndmask_b32 v51, v130, v51 :: v_dual_lshlrev_b32 v50, 21, v50
	s_delay_alu instid0(VALU_DEP_1) | instskip(NEXT) | instid1(VALU_DEP_1)
	v_lshl_add_u32 v51, v51, 23, 0x37800000
	v_or3_b32 v119, v11, v51, v50
	v_mov_b32_e32 v51, v128
.LBB6_1681:                             ;   in Loop: Header=BB6_144 Depth=3
	s_or_b32 exec_lo, exec_lo, s35
	s_delay_alu instid0(VALU_DEP_2) | instskip(NEXT) | instid1(VALU_DEP_1)
	v_mul_f32_e32 v130, s34, v119
	v_and_b32_e32 v11, 0x7f800000, v130
	s_delay_alu instid0(VALU_DEP_1)
	v_cmp_ne_u32_e32 vcc_lo, 0x7f800000, v11
	v_mov_b32_e32 v11, 0x8000
	s_and_saveexec_b32 s34, vcc_lo
	s_cbranch_execz .LBB6_143
; %bb.1682:                             ;   in Loop: Header=BB6_144 Depth=3
	v_mov_b32_e32 v11, 0
	s_mov_b32 s35, exec_lo
	v_cmpx_ne_u32_e32 0, v130
	s_cbranch_execz .LBB6_142
; %bb.1683:                             ;   in Loop: Header=BB6_144 Depth=3
	v_bfe_u32 v27, v130, 23, 8
	v_and_b32_e32 v11, 0x7fffff, v130
	s_delay_alu instid0(VALU_DEP_2) | instskip(SKIP_2) | instid1(VALU_DEP_4)
	v_cmp_gt_u32_e64 s13, 0x71, v27
	v_sub_nc_u32_e32 v37, 0x70, v27
	v_cmp_eq_u32_e32 vcc_lo, 0, v27
	v_or_b32_e32 v39, 0x800000, v11
	v_add_nc_u32_e32 v27, 0xffffff91, v27
	s_delay_alu instid0(VALU_DEP_4) | instskip(NEXT) | instid1(VALU_DEP_3)
	v_cndmask_b32_e64 v37, 0, v37, s13
	v_cndmask_b32_e32 v11, v39, v11, vcc_lo
	s_delay_alu instid0(VALU_DEP_2) | instskip(NEXT) | instid1(VALU_DEP_1)
	v_cndmask_b32_e64 v37, v37, 0x6f, vcc_lo
	v_lshl_add_u32 v39, 0x200000, v37, -1
	v_lshlrev_b32_e64 v50, v37, 0x100000
	s_delay_alu instid0(VALU_DEP_2) | instskip(NEXT) | instid1(VALU_DEP_1)
	v_and_b32_e32 v39, v39, v11
	v_cmp_eq_u32_e64 s13, v39, v50
	v_lshrrev_b32_e32 v39, v37, v11
	v_cndmask_b32_e64 v11, v27, 0xffffff92, vcc_lo
	s_delay_alu instid0(VALU_DEP_2) | instskip(NEXT) | instid1(VALU_DEP_2)
	v_lshrrev_b32_e32 v27, 23, v39
	v_add_nc_u32_e32 v11, v37, v11
	v_bfe_u32 v37, v39, 21, 1
	s_delay_alu instid0(VALU_DEP_3) | instskip(NEXT) | instid1(VALU_DEP_2)
	v_xor_b32_e32 v27, 1, v27
	v_add_nc_u32_e32 v37, -1, v37
	s_delay_alu instid0(VALU_DEP_1) | instskip(SKIP_1) | instid1(VALU_DEP_1)
	v_cndmask_b32_e64 v37, 0, v37, s13
	s_mov_b32 s13, exec_lo
	v_add_nc_u32_e32 v37, v37, v39
	s_delay_alu instid0(VALU_DEP_1) | instskip(NEXT) | instid1(VALU_DEP_1)
	v_and_b32_e32 v37, 0x1fffff, v37
	v_add_nc_u32_e32 v37, v37, v39
                                        ; implicit-def: $vgpr39
	v_cmpx_ne_u32_e64 v11, v27
	s_xor_b32 s13, exec_lo, s13
; %bb.1684:                             ;   in Loop: Header=BB6_144 Depth=3
	s_delay_alu instid0(VALU_DEP_2) | instskip(SKIP_2) | instid1(VALU_DEP_2)
	v_cmp_lt_u32_e32 vcc_lo, 0xffffff, v37
	v_sub_nc_u32_e32 v11, v11, v27
	v_cndmask_b32_e64 v27, 0, 1, vcc_lo
	v_add_co_ci_u32_e32 v39, vcc_lo, 0, v11, vcc_lo
	s_delay_alu instid0(VALU_DEP_2)
	v_lshrrev_b32_e32 v37, v27, v37
; %bb.1685:                             ;   in Loop: Header=BB6_144 Depth=3
	s_and_not1_saveexec_b32 s13, s13
	s_cbranch_execz .LBB6_141
; %bb.1686:                             ;   in Loop: Header=BB6_144 Depth=3
	s_delay_alu instid0(VALU_DEP_1)
	v_bfe_u32 v39, v37, 23, 1
	s_branch .LBB6_141
.LBB6_1687:                             ;   in Loop: Header=BB6_144 Depth=3
	s_mov_b32 s13, -1
	s_mov_b32 s37, exec_lo
                                        ; implicit-def: $sgpr35
	v_cmpx_eq_u16_e32 0x80, v13
; %bb.1688:                             ;   in Loop: Header=BB6_144 Depth=3
	s_mov_b32 s35, 0x7f800001
	s_xor_b32 s13, exec_lo, -1
; %bb.1689:                             ;   in Loop: Header=BB6_144 Depth=3
	s_or_b32 exec_lo, exec_lo, s37
	s_delay_alu instid0(SALU_CYCLE_1)
	s_and_b32 s13, s13, exec_lo
                                        ; implicit-def: $vgpr13
	s_or_saveexec_b32 s36, s36
	v_mov_b32_e32 v2, s35
	s_xor_b32 exec_lo, exec_lo, s36
	s_cbranch_execz .LBB6_155
.LBB6_1690:                             ;   in Loop: Header=BB6_144 Depth=3
	v_cmp_ne_u16_e32 vcc_lo, 0, v13
	v_mov_b32_e32 v2, 0
	s_and_not1_b32 s13, s13, exec_lo
	s_and_b32 vcc_lo, vcc_lo, exec_lo
	s_delay_alu instid0(SALU_CYCLE_1)
	s_or_b32 s13, s13, vcc_lo
	s_or_b32 exec_lo, exec_lo, s36
	s_and_saveexec_b32 s35, s13
	s_cbranch_execnz .LBB6_156
	s_branch .LBB6_157
.LBB6_1691:                             ;   in Loop: Header=BB6_144 Depth=3
	s_mov_b32 s13, -1
	s_mov_b32 s37, exec_lo
                                        ; implicit-def: $sgpr35
	v_cmpx_eq_u16_e32 0x80, v2
; %bb.1692:                             ;   in Loop: Header=BB6_144 Depth=3
	s_mov_b32 s35, 0x7f800001
	s_xor_b32 s13, exec_lo, -1
; %bb.1693:                             ;   in Loop: Header=BB6_144 Depth=3
	s_or_b32 exec_lo, exec_lo, s37
	s_delay_alu instid0(SALU_CYCLE_1)
	s_and_b32 s13, s13, exec_lo
	s_or_saveexec_b32 s36, s36
	v_mov_b32_e32 v13, s35
	s_xor_b32 exec_lo, exec_lo, s36
	s_cbranch_execz .LBB6_167
.LBB6_1694:                             ;   in Loop: Header=BB6_144 Depth=3
	v_cmp_ne_u16_e32 vcc_lo, 0, v2
	v_mov_b32_e32 v13, 0
	s_and_not1_b32 s13, s13, exec_lo
	s_and_b32 vcc_lo, vcc_lo, exec_lo
	s_delay_alu instid0(SALU_CYCLE_1)
	s_or_b32 s13, s13, vcc_lo
	s_or_b32 exec_lo, exec_lo, s36
	s_and_saveexec_b32 s35, s13
	s_cbranch_execnz .LBB6_168
	s_branch .LBB6_169
.LBB6_1695:                             ;   in Loop: Header=BB6_144 Depth=3
	s_mov_b32 s13, -1
	s_mov_b32 s37, exec_lo
                                        ; implicit-def: $sgpr35
	v_cmpx_eq_u16_e32 0x80, v26
; %bb.1696:                             ;   in Loop: Header=BB6_144 Depth=3
	s_mov_b32 s35, 0x7f800001
	s_xor_b32 s13, exec_lo, -1
; %bb.1697:                             ;   in Loop: Header=BB6_144 Depth=3
	s_or_b32 exec_lo, exec_lo, s37
	s_delay_alu instid0(SALU_CYCLE_1)
	s_and_b32 s13, s13, exec_lo
                                        ; implicit-def: $vgpr26
	s_or_saveexec_b32 s36, s36
	v_mov_b32_e32 v13, s35
	s_xor_b32 exec_lo, exec_lo, s36
	s_cbranch_execz .LBB6_179
.LBB6_1698:                             ;   in Loop: Header=BB6_144 Depth=3
	v_cmp_ne_u16_e32 vcc_lo, 0, v26
	v_mov_b32_e32 v13, 0
	s_and_not1_b32 s13, s13, exec_lo
	s_and_b32 vcc_lo, vcc_lo, exec_lo
	s_delay_alu instid0(SALU_CYCLE_1)
	s_or_b32 s13, s13, vcc_lo
	s_or_b32 exec_lo, exec_lo, s36
	s_and_saveexec_b32 s35, s13
	s_cbranch_execnz .LBB6_180
	s_branch .LBB6_181
.LBB6_1699:                             ;   in Loop: Header=BB6_144 Depth=3
	s_mov_b32 s13, -1
	s_mov_b32 s37, exec_lo
                                        ; implicit-def: $sgpr35
	v_cmpx_eq_u16_e32 0x80, v2
; %bb.1700:                             ;   in Loop: Header=BB6_144 Depth=3
	s_mov_b32 s35, 0x7f800001
	s_xor_b32 s13, exec_lo, -1
; %bb.1701:                             ;   in Loop: Header=BB6_144 Depth=3
	s_or_b32 exec_lo, exec_lo, s37
	s_delay_alu instid0(SALU_CYCLE_1)
	s_and_b32 s13, s13, exec_lo
	s_or_saveexec_b32 s36, s36
	v_mov_b32_e32 v13, s35
	s_xor_b32 exec_lo, exec_lo, s36
	s_cbranch_execz .LBB6_191
.LBB6_1702:                             ;   in Loop: Header=BB6_144 Depth=3
	v_cmp_ne_u16_e32 vcc_lo, 0, v2
	v_mov_b32_e32 v13, 0
	s_and_not1_b32 s13, s13, exec_lo
	s_and_b32 vcc_lo, vcc_lo, exec_lo
	s_delay_alu instid0(SALU_CYCLE_1)
	s_or_b32 s13, s13, vcc_lo
	s_or_b32 exec_lo, exec_lo, s36
	s_and_saveexec_b32 s35, s13
	s_cbranch_execnz .LBB6_192
	s_branch .LBB6_193
.LBB6_1703:                             ;   in Loop: Header=BB6_144 Depth=3
	s_mov_b32 s13, -1
	s_mov_b32 s37, exec_lo
                                        ; implicit-def: $sgpr35
	v_cmpx_eq_u16_e32 0x80, v8
; %bb.1704:                             ;   in Loop: Header=BB6_144 Depth=3
	s_mov_b32 s35, 0x7f800001
	s_xor_b32 s13, exec_lo, -1
; %bb.1705:                             ;   in Loop: Header=BB6_144 Depth=3
	s_or_b32 exec_lo, exec_lo, s37
	s_delay_alu instid0(SALU_CYCLE_1)
	s_and_b32 s13, s13, exec_lo
                                        ; implicit-def: $vgpr8
	s_or_saveexec_b32 s36, s36
	v_mov_b32_e32 v2, s35
	s_xor_b32 exec_lo, exec_lo, s36
	s_cbranch_execz .LBB6_203
.LBB6_1706:                             ;   in Loop: Header=BB6_144 Depth=3
	v_cmp_ne_u16_e32 vcc_lo, 0, v8
	v_mov_b32_e32 v2, 0
	s_and_not1_b32 s13, s13, exec_lo
	s_and_b32 vcc_lo, vcc_lo, exec_lo
	s_delay_alu instid0(SALU_CYCLE_1)
	s_or_b32 s13, s13, vcc_lo
	s_or_b32 exec_lo, exec_lo, s36
	s_and_saveexec_b32 s35, s13
	s_cbranch_execnz .LBB6_204
	s_branch .LBB6_205
.LBB6_1707:                             ;   in Loop: Header=BB6_144 Depth=3
	s_mov_b32 s13, -1
	s_mov_b32 s37, exec_lo
                                        ; implicit-def: $sgpr35
	v_cmpx_eq_u16_e32 0x80, v2
; %bb.1708:                             ;   in Loop: Header=BB6_144 Depth=3
	s_mov_b32 s35, 0x7f800001
	s_xor_b32 s13, exec_lo, -1
; %bb.1709:                             ;   in Loop: Header=BB6_144 Depth=3
	s_or_b32 exec_lo, exec_lo, s37
	s_delay_alu instid0(SALU_CYCLE_1)
	s_and_b32 s13, s13, exec_lo
	s_or_saveexec_b32 s36, s36
	v_mov_b32_e32 v8, s35
	s_xor_b32 exec_lo, exec_lo, s36
	s_cbranch_execz .LBB6_215
.LBB6_1710:                             ;   in Loop: Header=BB6_144 Depth=3
	v_cmp_ne_u16_e32 vcc_lo, 0, v2
	v_mov_b32_e32 v8, 0
	s_and_not1_b32 s13, s13, exec_lo
	s_and_b32 vcc_lo, vcc_lo, exec_lo
	s_delay_alu instid0(SALU_CYCLE_1)
	s_or_b32 s13, s13, vcc_lo
	s_or_b32 exec_lo, exec_lo, s36
	s_and_saveexec_b32 s35, s13
	s_cbranch_execnz .LBB6_216
	s_branch .LBB6_217
.LBB6_1711:                             ;   in Loop: Header=BB6_144 Depth=3
	s_mov_b32 s13, -1
	s_mov_b32 s37, exec_lo
                                        ; implicit-def: $sgpr35
	v_cmpx_eq_u16_e32 0x80, v13
; %bb.1712:                             ;   in Loop: Header=BB6_144 Depth=3
	s_mov_b32 s35, 0x7f800001
	s_xor_b32 s13, exec_lo, -1
; %bb.1713:                             ;   in Loop: Header=BB6_144 Depth=3
	s_or_b32 exec_lo, exec_lo, s37
	s_delay_alu instid0(SALU_CYCLE_1)
	s_and_b32 s13, s13, exec_lo
                                        ; implicit-def: $vgpr13
	s_or_saveexec_b32 s36, s36
	v_mov_b32_e32 v8, s35
	s_xor_b32 exec_lo, exec_lo, s36
	s_cbranch_execz .LBB6_227
.LBB6_1714:                             ;   in Loop: Header=BB6_144 Depth=3
	v_cmp_ne_u16_e32 vcc_lo, 0, v13
	v_mov_b32_e32 v8, 0
	s_and_not1_b32 s13, s13, exec_lo
	s_and_b32 vcc_lo, vcc_lo, exec_lo
	s_delay_alu instid0(SALU_CYCLE_1)
	s_or_b32 s13, s13, vcc_lo
	s_or_b32 exec_lo, exec_lo, s36
	s_and_saveexec_b32 s35, s13
	s_cbranch_execnz .LBB6_228
	s_branch .LBB6_229
.LBB6_1715:                             ;   in Loop: Header=BB6_144 Depth=3
	s_mov_b32 s13, -1
	s_mov_b32 s37, exec_lo
                                        ; implicit-def: $sgpr35
	v_cmpx_eq_u16_e32 0x80, v2
; %bb.1716:                             ;   in Loop: Header=BB6_144 Depth=3
	s_mov_b32 s35, 0x7f800001
	s_xor_b32 s13, exec_lo, -1
; %bb.1717:                             ;   in Loop: Header=BB6_144 Depth=3
	s_or_b32 exec_lo, exec_lo, s37
	s_delay_alu instid0(SALU_CYCLE_1)
	s_and_b32 s13, s13, exec_lo
	s_or_saveexec_b32 s36, s36
	v_mov_b32_e32 v8, s35
	s_xor_b32 exec_lo, exec_lo, s36
	s_cbranch_execz .LBB6_239
.LBB6_1718:                             ;   in Loop: Header=BB6_144 Depth=3
	v_cmp_ne_u16_e32 vcc_lo, 0, v2
	v_mov_b32_e32 v8, 0
	s_and_not1_b32 s13, s13, exec_lo
	s_and_b32 vcc_lo, vcc_lo, exec_lo
	s_delay_alu instid0(SALU_CYCLE_1)
	s_or_b32 s13, s13, vcc_lo
	s_or_b32 exec_lo, exec_lo, s36
	s_and_saveexec_b32 s35, s13
	s_cbranch_execnz .LBB6_240
	s_branch .LBB6_241
.LBB6_1719:                             ;   in Loop: Header=BB6_144 Depth=3
	s_mov_b32 s13, -1
	s_mov_b32 s37, exec_lo
                                        ; implicit-def: $sgpr35
	v_cmpx_eq_u16_e32 0x80, v8
; %bb.1720:                             ;   in Loop: Header=BB6_144 Depth=3
	s_mov_b32 s35, 0x7f800001
	s_xor_b32 s13, exec_lo, -1
; %bb.1721:                             ;   in Loop: Header=BB6_144 Depth=3
	s_or_b32 exec_lo, exec_lo, s37
	s_delay_alu instid0(SALU_CYCLE_1)
	s_and_b32 s13, s13, exec_lo
                                        ; implicit-def: $vgpr8
	s_or_saveexec_b32 s36, s36
	v_mov_b32_e32 v2, s35
	s_xor_b32 exec_lo, exec_lo, s36
	s_cbranch_execz .LBB6_251
.LBB6_1722:                             ;   in Loop: Header=BB6_144 Depth=3
	v_cmp_ne_u16_e32 vcc_lo, 0, v8
	v_mov_b32_e32 v2, 0
	s_and_not1_b32 s13, s13, exec_lo
	s_and_b32 vcc_lo, vcc_lo, exec_lo
	s_delay_alu instid0(SALU_CYCLE_1)
	s_or_b32 s13, s13, vcc_lo
	s_or_b32 exec_lo, exec_lo, s36
	s_and_saveexec_b32 s35, s13
	s_cbranch_execnz .LBB6_252
	s_branch .LBB6_253
.LBB6_1723:                             ;   in Loop: Header=BB6_144 Depth=3
	s_mov_b32 s13, -1
	s_mov_b32 s37, exec_lo
                                        ; implicit-def: $sgpr35
	v_cmpx_eq_u16_e32 0x80, v2
; %bb.1724:                             ;   in Loop: Header=BB6_144 Depth=3
	s_mov_b32 s35, 0x7f800001
	s_xor_b32 s13, exec_lo, -1
; %bb.1725:                             ;   in Loop: Header=BB6_144 Depth=3
	s_or_b32 exec_lo, exec_lo, s37
	s_delay_alu instid0(SALU_CYCLE_1)
	s_and_b32 s13, s13, exec_lo
	s_or_saveexec_b32 s36, s36
	v_mov_b32_e32 v8, s35
	s_xor_b32 exec_lo, exec_lo, s36
	s_cbranch_execz .LBB6_263
.LBB6_1726:                             ;   in Loop: Header=BB6_144 Depth=3
	v_cmp_ne_u16_e32 vcc_lo, 0, v2
	v_mov_b32_e32 v8, 0
	s_and_not1_b32 s13, s13, exec_lo
	s_and_b32 vcc_lo, vcc_lo, exec_lo
	s_delay_alu instid0(SALU_CYCLE_1)
	s_or_b32 s13, s13, vcc_lo
	s_or_b32 exec_lo, exec_lo, s36
	s_and_saveexec_b32 s35, s13
	s_cbranch_execnz .LBB6_264
	s_branch .LBB6_265
.LBB6_1727:                             ;   in Loop: Header=BB6_144 Depth=3
	s_mov_b32 s13, -1
	s_mov_b32 s37, exec_lo
                                        ; implicit-def: $sgpr35
	v_cmpx_eq_u16_e32 0x80, v9
; %bb.1728:                             ;   in Loop: Header=BB6_144 Depth=3
	s_mov_b32 s35, 0x7f800001
	s_xor_b32 s13, exec_lo, -1
; %bb.1729:                             ;   in Loop: Header=BB6_144 Depth=3
	s_or_b32 exec_lo, exec_lo, s37
	s_delay_alu instid0(SALU_CYCLE_1)
	s_and_b32 s13, s13, exec_lo
                                        ; implicit-def: $vgpr9
	s_or_saveexec_b32 s36, s36
	v_mov_b32_e32 v8, s35
	s_xor_b32 exec_lo, exec_lo, s36
	s_cbranch_execz .LBB6_275
.LBB6_1730:                             ;   in Loop: Header=BB6_144 Depth=3
	v_cmp_ne_u16_e32 vcc_lo, 0, v9
	v_mov_b32_e32 v8, 0
	s_and_not1_b32 s13, s13, exec_lo
	s_and_b32 vcc_lo, vcc_lo, exec_lo
	s_delay_alu instid0(SALU_CYCLE_1)
	s_or_b32 s13, s13, vcc_lo
	s_or_b32 exec_lo, exec_lo, s36
	s_and_saveexec_b32 s35, s13
	s_cbranch_execnz .LBB6_276
	s_branch .LBB6_277
.LBB6_1731:                             ;   in Loop: Header=BB6_144 Depth=3
	s_mov_b32 s13, -1
	s_mov_b32 s37, exec_lo
                                        ; implicit-def: $sgpr35
	v_cmpx_eq_u16_e32 0x80, v2
; %bb.1732:                             ;   in Loop: Header=BB6_144 Depth=3
	s_mov_b32 s35, 0x7f800001
	s_xor_b32 s13, exec_lo, -1
; %bb.1733:                             ;   in Loop: Header=BB6_144 Depth=3
	s_or_b32 exec_lo, exec_lo, s37
	s_delay_alu instid0(SALU_CYCLE_1)
	s_and_b32 s13, s13, exec_lo
	s_or_saveexec_b32 s36, s36
	v_mov_b32_e32 v8, s35
	s_xor_b32 exec_lo, exec_lo, s36
	s_cbranch_execz .LBB6_287
.LBB6_1734:                             ;   in Loop: Header=BB6_144 Depth=3
	v_cmp_ne_u16_e32 vcc_lo, 0, v2
	v_mov_b32_e32 v8, 0
	s_and_not1_b32 s13, s13, exec_lo
	s_and_b32 vcc_lo, vcc_lo, exec_lo
	s_delay_alu instid0(SALU_CYCLE_1)
	s_or_b32 s13, s13, vcc_lo
	s_or_b32 exec_lo, exec_lo, s36
	s_and_saveexec_b32 s35, s13
	s_cbranch_execnz .LBB6_288
	s_branch .LBB6_289
.LBB6_1735:                             ;   in Loop: Header=BB6_144 Depth=3
	s_mov_b32 s13, -1
	s_mov_b32 s37, exec_lo
                                        ; implicit-def: $sgpr35
	v_cmpx_eq_u16_e32 0x80, v8
; %bb.1736:                             ;   in Loop: Header=BB6_144 Depth=3
	s_mov_b32 s35, 0x7f800001
	s_xor_b32 s13, exec_lo, -1
; %bb.1737:                             ;   in Loop: Header=BB6_144 Depth=3
	s_or_b32 exec_lo, exec_lo, s37
	s_delay_alu instid0(SALU_CYCLE_1)
	s_and_b32 s13, s13, exec_lo
                                        ; implicit-def: $vgpr8
	s_or_saveexec_b32 s36, s36
	v_mov_b32_e32 v2, s35
	s_xor_b32 exec_lo, exec_lo, s36
	s_cbranch_execz .LBB6_299
.LBB6_1738:                             ;   in Loop: Header=BB6_144 Depth=3
	v_cmp_ne_u16_e32 vcc_lo, 0, v8
	v_mov_b32_e32 v2, 0
	s_and_not1_b32 s13, s13, exec_lo
	s_and_b32 vcc_lo, vcc_lo, exec_lo
	s_delay_alu instid0(SALU_CYCLE_1)
	s_or_b32 s13, s13, vcc_lo
	s_or_b32 exec_lo, exec_lo, s36
	s_and_saveexec_b32 s35, s13
	s_cbranch_execnz .LBB6_300
	s_branch .LBB6_301
.LBB6_1739:                             ;   in Loop: Header=BB6_144 Depth=3
	s_mov_b32 s13, -1
	s_mov_b32 s37, exec_lo
                                        ; implicit-def: $sgpr35
	v_cmpx_eq_u16_e32 0x80, v2
; %bb.1740:                             ;   in Loop: Header=BB6_144 Depth=3
	s_mov_b32 s35, 0x7f800001
	s_xor_b32 s13, exec_lo, -1
; %bb.1741:                             ;   in Loop: Header=BB6_144 Depth=3
	s_or_b32 exec_lo, exec_lo, s37
	s_delay_alu instid0(SALU_CYCLE_1)
	s_and_b32 s13, s13, exec_lo
	s_or_saveexec_b32 s36, s36
	v_mov_b32_e32 v8, s35
	s_xor_b32 exec_lo, exec_lo, s36
	s_cbranch_execz .LBB6_311
.LBB6_1742:                             ;   in Loop: Header=BB6_144 Depth=3
	v_cmp_ne_u16_e32 vcc_lo, 0, v2
	v_mov_b32_e32 v8, 0
	s_and_not1_b32 s13, s13, exec_lo
	s_and_b32 vcc_lo, vcc_lo, exec_lo
	s_delay_alu instid0(SALU_CYCLE_1)
	s_or_b32 s13, s13, vcc_lo
	s_or_b32 exec_lo, exec_lo, s36
	s_and_saveexec_b32 s35, s13
	s_cbranch_execnz .LBB6_312
	s_branch .LBB6_313
.LBB6_1743:                             ;   in Loop: Header=BB6_144 Depth=3
	s_mov_b32 s13, -1
	s_mov_b32 s37, exec_lo
                                        ; implicit-def: $sgpr35
	v_cmpx_eq_u16_e32 0x80, v9
; %bb.1744:                             ;   in Loop: Header=BB6_144 Depth=3
	s_mov_b32 s35, 0x7f800001
	s_xor_b32 s13, exec_lo, -1
; %bb.1745:                             ;   in Loop: Header=BB6_144 Depth=3
	s_or_b32 exec_lo, exec_lo, s37
	s_delay_alu instid0(SALU_CYCLE_1)
	s_and_b32 s13, s13, exec_lo
                                        ; implicit-def: $vgpr9
	s_or_saveexec_b32 s36, s36
	v_mov_b32_e32 v8, s35
	s_xor_b32 exec_lo, exec_lo, s36
	s_cbranch_execz .LBB6_323
.LBB6_1746:                             ;   in Loop: Header=BB6_144 Depth=3
	v_cmp_ne_u16_e32 vcc_lo, 0, v9
	v_mov_b32_e32 v8, 0
	s_and_not1_b32 s13, s13, exec_lo
	s_and_b32 vcc_lo, vcc_lo, exec_lo
	s_delay_alu instid0(SALU_CYCLE_1)
	s_or_b32 s13, s13, vcc_lo
	s_or_b32 exec_lo, exec_lo, s36
	s_and_saveexec_b32 s35, s13
	s_cbranch_execnz .LBB6_324
	s_branch .LBB6_325
.LBB6_1747:                             ;   in Loop: Header=BB6_144 Depth=3
	s_mov_b32 s13, -1
	s_mov_b32 s37, exec_lo
                                        ; implicit-def: $sgpr35
	v_cmpx_eq_u16_e32 0x80, v2
; %bb.1748:                             ;   in Loop: Header=BB6_144 Depth=3
	s_mov_b32 s35, 0x7f800001
	s_xor_b32 s13, exec_lo, -1
; %bb.1749:                             ;   in Loop: Header=BB6_144 Depth=3
	s_or_b32 exec_lo, exec_lo, s37
	s_delay_alu instid0(SALU_CYCLE_1)
	s_and_b32 s13, s13, exec_lo
	s_or_saveexec_b32 s36, s36
	v_mov_b32_e32 v8, s35
	s_xor_b32 exec_lo, exec_lo, s36
	s_cbranch_execz .LBB6_335
.LBB6_1750:                             ;   in Loop: Header=BB6_144 Depth=3
	v_cmp_ne_u16_e32 vcc_lo, 0, v2
	v_mov_b32_e32 v8, 0
	s_and_not1_b32 s13, s13, exec_lo
	s_and_b32 vcc_lo, vcc_lo, exec_lo
	s_delay_alu instid0(SALU_CYCLE_1)
	s_or_b32 s13, s13, vcc_lo
	s_or_b32 exec_lo, exec_lo, s36
	s_and_saveexec_b32 s35, s13
	s_cbranch_execnz .LBB6_336
	s_branch .LBB6_337
.LBB6_1751:                             ;   in Loop: Header=BB6_144 Depth=3
	s_mov_b32 s13, -1
	s_mov_b32 s37, exec_lo
                                        ; implicit-def: $sgpr35
	v_cmpx_eq_u16_e32 0x80, v13
; %bb.1752:                             ;   in Loop: Header=BB6_144 Depth=3
	s_mov_b32 s35, 0x7f800001
	s_xor_b32 s13, exec_lo, -1
; %bb.1753:                             ;   in Loop: Header=BB6_144 Depth=3
	s_or_b32 exec_lo, exec_lo, s37
	s_delay_alu instid0(SALU_CYCLE_1)
	s_and_b32 s13, s13, exec_lo
                                        ; implicit-def: $vgpr13
	s_or_saveexec_b32 s36, s36
	v_mov_b32_e32 v2, s35
	s_xor_b32 exec_lo, exec_lo, s36
	s_cbranch_execz .LBB6_347
.LBB6_1754:                             ;   in Loop: Header=BB6_144 Depth=3
	v_cmp_ne_u16_e32 vcc_lo, 0, v13
	v_mov_b32_e32 v2, 0
	s_and_not1_b32 s13, s13, exec_lo
	s_and_b32 vcc_lo, vcc_lo, exec_lo
	s_delay_alu instid0(SALU_CYCLE_1)
	s_or_b32 s13, s13, vcc_lo
	s_or_b32 exec_lo, exec_lo, s36
	s_and_saveexec_b32 s35, s13
	s_cbranch_execnz .LBB6_348
	s_branch .LBB6_349
.LBB6_1755:                             ;   in Loop: Header=BB6_144 Depth=3
	s_mov_b32 s13, -1
	s_mov_b32 s37, exec_lo
                                        ; implicit-def: $sgpr35
	v_cmpx_eq_u16_e32 0x80, v2
; %bb.1756:                             ;   in Loop: Header=BB6_144 Depth=3
	s_mov_b32 s35, 0x7f800001
	s_xor_b32 s13, exec_lo, -1
; %bb.1757:                             ;   in Loop: Header=BB6_144 Depth=3
	s_or_b32 exec_lo, exec_lo, s37
	s_delay_alu instid0(SALU_CYCLE_1)
	s_and_b32 s13, s13, exec_lo
	s_or_saveexec_b32 s36, s36
	v_mov_b32_e32 v13, s35
	s_xor_b32 exec_lo, exec_lo, s36
	s_cbranch_execz .LBB6_359
.LBB6_1758:                             ;   in Loop: Header=BB6_144 Depth=3
	v_cmp_ne_u16_e32 vcc_lo, 0, v2
	v_mov_b32_e32 v13, 0
	s_and_not1_b32 s13, s13, exec_lo
	s_and_b32 vcc_lo, vcc_lo, exec_lo
	s_delay_alu instid0(SALU_CYCLE_1)
	s_or_b32 s13, s13, vcc_lo
	s_or_b32 exec_lo, exec_lo, s36
	s_and_saveexec_b32 s35, s13
	s_cbranch_execnz .LBB6_360
	s_branch .LBB6_361
.LBB6_1759:                             ;   in Loop: Header=BB6_144 Depth=3
	s_mov_b32 s13, -1
	s_mov_b32 s37, exec_lo
                                        ; implicit-def: $sgpr35
	v_cmpx_eq_u16_e32 0x80, v26
; %bb.1760:                             ;   in Loop: Header=BB6_144 Depth=3
	s_mov_b32 s35, 0x7f800001
	s_xor_b32 s13, exec_lo, -1
; %bb.1761:                             ;   in Loop: Header=BB6_144 Depth=3
	s_or_b32 exec_lo, exec_lo, s37
	s_delay_alu instid0(SALU_CYCLE_1)
	s_and_b32 s13, s13, exec_lo
                                        ; implicit-def: $vgpr26
	s_or_saveexec_b32 s36, s36
	v_mov_b32_e32 v13, s35
	s_xor_b32 exec_lo, exec_lo, s36
	s_cbranch_execz .LBB6_371
.LBB6_1762:                             ;   in Loop: Header=BB6_144 Depth=3
	v_cmp_ne_u16_e32 vcc_lo, 0, v26
	v_mov_b32_e32 v13, 0
	s_and_not1_b32 s13, s13, exec_lo
	s_and_b32 vcc_lo, vcc_lo, exec_lo
	s_delay_alu instid0(SALU_CYCLE_1)
	s_or_b32 s13, s13, vcc_lo
	s_or_b32 exec_lo, exec_lo, s36
	s_and_saveexec_b32 s35, s13
	s_cbranch_execnz .LBB6_372
	s_branch .LBB6_373
.LBB6_1763:                             ;   in Loop: Header=BB6_144 Depth=3
	s_mov_b32 s13, -1
	s_mov_b32 s37, exec_lo
                                        ; implicit-def: $sgpr35
	v_cmpx_eq_u16_e32 0x80, v2
; %bb.1764:                             ;   in Loop: Header=BB6_144 Depth=3
	s_mov_b32 s35, 0x7f800001
	s_xor_b32 s13, exec_lo, -1
; %bb.1765:                             ;   in Loop: Header=BB6_144 Depth=3
	s_or_b32 exec_lo, exec_lo, s37
	s_delay_alu instid0(SALU_CYCLE_1)
	s_and_b32 s13, s13, exec_lo
	s_or_saveexec_b32 s36, s36
	v_mov_b32_e32 v13, s35
	s_xor_b32 exec_lo, exec_lo, s36
	s_cbranch_execz .LBB6_383
.LBB6_1766:                             ;   in Loop: Header=BB6_144 Depth=3
	v_cmp_ne_u16_e32 vcc_lo, 0, v2
	v_mov_b32_e32 v13, 0
	s_and_not1_b32 s13, s13, exec_lo
	s_and_b32 vcc_lo, vcc_lo, exec_lo
	s_delay_alu instid0(SALU_CYCLE_1)
	s_or_b32 s13, s13, vcc_lo
	s_or_b32 exec_lo, exec_lo, s36
	s_and_saveexec_b32 s35, s13
	s_cbranch_execnz .LBB6_384
	s_branch .LBB6_385
.LBB6_1767:                             ;   in Loop: Header=BB6_144 Depth=3
	s_mov_b32 s13, -1
	s_mov_b32 s37, exec_lo
                                        ; implicit-def: $sgpr35
	v_cmpx_eq_u16_e32 0x80, v8
; %bb.1768:                             ;   in Loop: Header=BB6_144 Depth=3
	s_mov_b32 s35, 0x7f800001
	s_xor_b32 s13, exec_lo, -1
; %bb.1769:                             ;   in Loop: Header=BB6_144 Depth=3
	s_or_b32 exec_lo, exec_lo, s37
	s_delay_alu instid0(SALU_CYCLE_1)
	s_and_b32 s13, s13, exec_lo
                                        ; implicit-def: $vgpr8
	s_or_saveexec_b32 s36, s36
	v_mov_b32_e32 v2, s35
	s_xor_b32 exec_lo, exec_lo, s36
	s_cbranch_execz .LBB6_395
.LBB6_1770:                             ;   in Loop: Header=BB6_144 Depth=3
	v_cmp_ne_u16_e32 vcc_lo, 0, v8
	v_mov_b32_e32 v2, 0
	s_and_not1_b32 s13, s13, exec_lo
	s_and_b32 vcc_lo, vcc_lo, exec_lo
	s_delay_alu instid0(SALU_CYCLE_1)
	s_or_b32 s13, s13, vcc_lo
	s_or_b32 exec_lo, exec_lo, s36
	s_and_saveexec_b32 s35, s13
	s_cbranch_execnz .LBB6_396
	s_branch .LBB6_397
.LBB6_1771:                             ;   in Loop: Header=BB6_144 Depth=3
	s_mov_b32 s13, -1
	s_mov_b32 s37, exec_lo
                                        ; implicit-def: $sgpr35
	v_cmpx_eq_u16_e32 0x80, v2
; %bb.1772:                             ;   in Loop: Header=BB6_144 Depth=3
	s_mov_b32 s35, 0x7f800001
	s_xor_b32 s13, exec_lo, -1
; %bb.1773:                             ;   in Loop: Header=BB6_144 Depth=3
	s_or_b32 exec_lo, exec_lo, s37
	s_delay_alu instid0(SALU_CYCLE_1)
	s_and_b32 s13, s13, exec_lo
	s_or_saveexec_b32 s36, s36
	v_mov_b32_e32 v8, s35
	s_xor_b32 exec_lo, exec_lo, s36
	s_cbranch_execz .LBB6_407
.LBB6_1774:                             ;   in Loop: Header=BB6_144 Depth=3
	v_cmp_ne_u16_e32 vcc_lo, 0, v2
	v_mov_b32_e32 v8, 0
	s_and_not1_b32 s13, s13, exec_lo
	s_and_b32 vcc_lo, vcc_lo, exec_lo
	s_delay_alu instid0(SALU_CYCLE_1)
	s_or_b32 s13, s13, vcc_lo
	s_or_b32 exec_lo, exec_lo, s36
	s_and_saveexec_b32 s35, s13
	s_cbranch_execnz .LBB6_408
	s_branch .LBB6_409
.LBB6_1775:                             ;   in Loop: Header=BB6_144 Depth=3
	s_mov_b32 s13, -1
	s_mov_b32 s37, exec_lo
                                        ; implicit-def: $sgpr35
	v_cmpx_eq_u16_e32 0x80, v13
; %bb.1776:                             ;   in Loop: Header=BB6_144 Depth=3
	s_mov_b32 s35, 0x7f800001
	s_xor_b32 s13, exec_lo, -1
; %bb.1777:                             ;   in Loop: Header=BB6_144 Depth=3
	s_or_b32 exec_lo, exec_lo, s37
	s_delay_alu instid0(SALU_CYCLE_1)
	s_and_b32 s13, s13, exec_lo
                                        ; implicit-def: $vgpr13
	s_or_saveexec_b32 s36, s36
	v_mov_b32_e32 v8, s35
	s_xor_b32 exec_lo, exec_lo, s36
	s_cbranch_execz .LBB6_419
.LBB6_1778:                             ;   in Loop: Header=BB6_144 Depth=3
	v_cmp_ne_u16_e32 vcc_lo, 0, v13
	v_mov_b32_e32 v8, 0
	s_and_not1_b32 s13, s13, exec_lo
	s_and_b32 vcc_lo, vcc_lo, exec_lo
	s_delay_alu instid0(SALU_CYCLE_1)
	s_or_b32 s13, s13, vcc_lo
	s_or_b32 exec_lo, exec_lo, s36
	s_and_saveexec_b32 s35, s13
	s_cbranch_execnz .LBB6_420
	s_branch .LBB6_421
.LBB6_1779:                             ;   in Loop: Header=BB6_144 Depth=3
	s_mov_b32 s13, -1
	s_mov_b32 s37, exec_lo
                                        ; implicit-def: $sgpr35
	v_cmpx_eq_u16_e32 0x80, v2
; %bb.1780:                             ;   in Loop: Header=BB6_144 Depth=3
	s_mov_b32 s35, 0x7f800001
	s_xor_b32 s13, exec_lo, -1
; %bb.1781:                             ;   in Loop: Header=BB6_144 Depth=3
	s_or_b32 exec_lo, exec_lo, s37
	s_delay_alu instid0(SALU_CYCLE_1)
	s_and_b32 s13, s13, exec_lo
	s_or_saveexec_b32 s36, s36
	v_mov_b32_e32 v8, s35
	s_xor_b32 exec_lo, exec_lo, s36
	s_cbranch_execz .LBB6_431
.LBB6_1782:                             ;   in Loop: Header=BB6_144 Depth=3
	v_cmp_ne_u16_e32 vcc_lo, 0, v2
	v_mov_b32_e32 v8, 0
	s_and_not1_b32 s13, s13, exec_lo
	s_and_b32 vcc_lo, vcc_lo, exec_lo
	s_delay_alu instid0(SALU_CYCLE_1)
	s_or_b32 s13, s13, vcc_lo
	s_or_b32 exec_lo, exec_lo, s36
	s_and_saveexec_b32 s35, s13
	s_cbranch_execnz .LBB6_432
	s_branch .LBB6_433
.LBB6_1783:                             ;   in Loop: Header=BB6_144 Depth=3
	s_mov_b32 s13, -1
	s_mov_b32 s37, exec_lo
                                        ; implicit-def: $sgpr35
	v_cmpx_eq_u16_e32 0x80, v8
; %bb.1784:                             ;   in Loop: Header=BB6_144 Depth=3
	s_mov_b32 s35, 0x7f800001
	s_xor_b32 s13, exec_lo, -1
; %bb.1785:                             ;   in Loop: Header=BB6_144 Depth=3
	s_or_b32 exec_lo, exec_lo, s37
	s_delay_alu instid0(SALU_CYCLE_1)
	s_and_b32 s13, s13, exec_lo
                                        ; implicit-def: $vgpr8
	s_or_saveexec_b32 s36, s36
	v_mov_b32_e32 v2, s35
	s_xor_b32 exec_lo, exec_lo, s36
	s_cbranch_execz .LBB6_443
.LBB6_1786:                             ;   in Loop: Header=BB6_144 Depth=3
	v_cmp_ne_u16_e32 vcc_lo, 0, v8
	v_mov_b32_e32 v2, 0
	s_and_not1_b32 s13, s13, exec_lo
	s_and_b32 vcc_lo, vcc_lo, exec_lo
	s_delay_alu instid0(SALU_CYCLE_1)
	s_or_b32 s13, s13, vcc_lo
	s_or_b32 exec_lo, exec_lo, s36
	s_and_saveexec_b32 s35, s13
	s_cbranch_execnz .LBB6_444
	s_branch .LBB6_445
.LBB6_1787:                             ;   in Loop: Header=BB6_144 Depth=3
	s_mov_b32 s13, -1
	s_mov_b32 s37, exec_lo
                                        ; implicit-def: $sgpr35
	v_cmpx_eq_u16_e32 0x80, v2
; %bb.1788:                             ;   in Loop: Header=BB6_144 Depth=3
	s_mov_b32 s35, 0x7f800001
	s_xor_b32 s13, exec_lo, -1
; %bb.1789:                             ;   in Loop: Header=BB6_144 Depth=3
	s_or_b32 exec_lo, exec_lo, s37
	s_delay_alu instid0(SALU_CYCLE_1)
	s_and_b32 s13, s13, exec_lo
	s_or_saveexec_b32 s36, s36
	v_mov_b32_e32 v8, s35
	s_xor_b32 exec_lo, exec_lo, s36
	s_cbranch_execz .LBB6_455
.LBB6_1790:                             ;   in Loop: Header=BB6_144 Depth=3
	v_cmp_ne_u16_e32 vcc_lo, 0, v2
	v_mov_b32_e32 v8, 0
	s_and_not1_b32 s13, s13, exec_lo
	s_and_b32 vcc_lo, vcc_lo, exec_lo
	s_delay_alu instid0(SALU_CYCLE_1)
	s_or_b32 s13, s13, vcc_lo
	s_or_b32 exec_lo, exec_lo, s36
	s_and_saveexec_b32 s35, s13
	s_cbranch_execnz .LBB6_456
	s_branch .LBB6_457
.LBB6_1791:                             ;   in Loop: Header=BB6_144 Depth=3
	s_mov_b32 s13, -1
	s_mov_b32 s37, exec_lo
                                        ; implicit-def: $sgpr35
	v_cmpx_eq_u16_e32 0x80, v9
; %bb.1792:                             ;   in Loop: Header=BB6_144 Depth=3
	s_mov_b32 s35, 0x7f800001
	s_xor_b32 s13, exec_lo, -1
; %bb.1793:                             ;   in Loop: Header=BB6_144 Depth=3
	s_or_b32 exec_lo, exec_lo, s37
	s_delay_alu instid0(SALU_CYCLE_1)
	s_and_b32 s13, s13, exec_lo
                                        ; implicit-def: $vgpr9
	s_or_saveexec_b32 s36, s36
	v_mov_b32_e32 v8, s35
	s_xor_b32 exec_lo, exec_lo, s36
	s_cbranch_execz .LBB6_467
.LBB6_1794:                             ;   in Loop: Header=BB6_144 Depth=3
	v_cmp_ne_u16_e32 vcc_lo, 0, v9
	v_mov_b32_e32 v8, 0
	s_and_not1_b32 s13, s13, exec_lo
	s_and_b32 vcc_lo, vcc_lo, exec_lo
	s_delay_alu instid0(SALU_CYCLE_1)
	s_or_b32 s13, s13, vcc_lo
	s_or_b32 exec_lo, exec_lo, s36
	s_and_saveexec_b32 s35, s13
	s_cbranch_execnz .LBB6_468
	s_branch .LBB6_469
.LBB6_1795:                             ;   in Loop: Header=BB6_144 Depth=3
	s_mov_b32 s13, -1
	s_mov_b32 s37, exec_lo
                                        ; implicit-def: $sgpr35
	v_cmpx_eq_u16_e32 0x80, v2
; %bb.1796:                             ;   in Loop: Header=BB6_144 Depth=3
	s_mov_b32 s35, 0x7f800001
	s_xor_b32 s13, exec_lo, -1
; %bb.1797:                             ;   in Loop: Header=BB6_144 Depth=3
	s_or_b32 exec_lo, exec_lo, s37
	s_delay_alu instid0(SALU_CYCLE_1)
	s_and_b32 s13, s13, exec_lo
	s_or_saveexec_b32 s36, s36
	v_mov_b32_e32 v8, s35
	s_xor_b32 exec_lo, exec_lo, s36
	s_cbranch_execz .LBB6_479
.LBB6_1798:                             ;   in Loop: Header=BB6_144 Depth=3
	v_cmp_ne_u16_e32 vcc_lo, 0, v2
	v_mov_b32_e32 v8, 0
	s_and_not1_b32 s13, s13, exec_lo
	s_and_b32 vcc_lo, vcc_lo, exec_lo
	s_delay_alu instid0(SALU_CYCLE_1)
	s_or_b32 s13, s13, vcc_lo
	s_or_b32 exec_lo, exec_lo, s36
	s_and_saveexec_b32 s35, s13
	s_cbranch_execnz .LBB6_480
	s_branch .LBB6_481
.LBB6_1799:                             ;   in Loop: Header=BB6_144 Depth=3
	s_mov_b32 s13, -1
	s_mov_b32 s37, exec_lo
                                        ; implicit-def: $sgpr35
	v_cmpx_eq_u16_e32 0x80, v8
; %bb.1800:                             ;   in Loop: Header=BB6_144 Depth=3
	s_mov_b32 s35, 0x7f800001
	s_xor_b32 s13, exec_lo, -1
; %bb.1801:                             ;   in Loop: Header=BB6_144 Depth=3
	s_or_b32 exec_lo, exec_lo, s37
	s_delay_alu instid0(SALU_CYCLE_1)
	s_and_b32 s13, s13, exec_lo
                                        ; implicit-def: $vgpr8
	s_or_saveexec_b32 s36, s36
	v_mov_b32_e32 v2, s35
	s_xor_b32 exec_lo, exec_lo, s36
	s_cbranch_execz .LBB6_491
.LBB6_1802:                             ;   in Loop: Header=BB6_144 Depth=3
	v_cmp_ne_u16_e32 vcc_lo, 0, v8
	v_mov_b32_e32 v2, 0
	s_and_not1_b32 s13, s13, exec_lo
	s_and_b32 vcc_lo, vcc_lo, exec_lo
	s_delay_alu instid0(SALU_CYCLE_1)
	s_or_b32 s13, s13, vcc_lo
	s_or_b32 exec_lo, exec_lo, s36
	s_and_saveexec_b32 s35, s13
	s_cbranch_execnz .LBB6_492
	s_branch .LBB6_493
.LBB6_1803:                             ;   in Loop: Header=BB6_144 Depth=3
	s_mov_b32 s13, -1
	s_mov_b32 s37, exec_lo
                                        ; implicit-def: $sgpr35
	v_cmpx_eq_u16_e32 0x80, v2
; %bb.1804:                             ;   in Loop: Header=BB6_144 Depth=3
	s_mov_b32 s35, 0x7f800001
	s_xor_b32 s13, exec_lo, -1
; %bb.1805:                             ;   in Loop: Header=BB6_144 Depth=3
	s_or_b32 exec_lo, exec_lo, s37
	s_delay_alu instid0(SALU_CYCLE_1)
	s_and_b32 s13, s13, exec_lo
	s_or_saveexec_b32 s36, s36
	v_mov_b32_e32 v8, s35
	s_xor_b32 exec_lo, exec_lo, s36
	s_cbranch_execz .LBB6_503
.LBB6_1806:                             ;   in Loop: Header=BB6_144 Depth=3
	v_cmp_ne_u16_e32 vcc_lo, 0, v2
	v_mov_b32_e32 v8, 0
	s_and_not1_b32 s13, s13, exec_lo
	s_and_b32 vcc_lo, vcc_lo, exec_lo
	s_delay_alu instid0(SALU_CYCLE_1)
	s_or_b32 s13, s13, vcc_lo
	s_or_b32 exec_lo, exec_lo, s36
	s_and_saveexec_b32 s35, s13
	s_cbranch_execnz .LBB6_504
	s_branch .LBB6_505
.LBB6_1807:                             ;   in Loop: Header=BB6_144 Depth=3
	s_mov_b32 s13, -1
	s_mov_b32 s37, exec_lo
                                        ; implicit-def: $sgpr35
	v_cmpx_eq_u16_e32 0x80, v9
; %bb.1808:                             ;   in Loop: Header=BB6_144 Depth=3
	s_mov_b32 s35, 0x7f800001
	s_xor_b32 s13, exec_lo, -1
; %bb.1809:                             ;   in Loop: Header=BB6_144 Depth=3
	s_or_b32 exec_lo, exec_lo, s37
	s_delay_alu instid0(SALU_CYCLE_1)
	s_and_b32 s13, s13, exec_lo
                                        ; implicit-def: $vgpr9
	s_or_saveexec_b32 s36, s36
	v_mov_b32_e32 v8, s35
	s_xor_b32 exec_lo, exec_lo, s36
	s_cbranch_execz .LBB6_515
.LBB6_1810:                             ;   in Loop: Header=BB6_144 Depth=3
	v_cmp_ne_u16_e32 vcc_lo, 0, v9
	v_mov_b32_e32 v8, 0
	s_and_not1_b32 s13, s13, exec_lo
	s_and_b32 vcc_lo, vcc_lo, exec_lo
	s_delay_alu instid0(SALU_CYCLE_1)
	s_or_b32 s13, s13, vcc_lo
	s_or_b32 exec_lo, exec_lo, s36
	s_and_saveexec_b32 s35, s13
	s_cbranch_execnz .LBB6_516
	s_branch .LBB6_517
.LBB6_1811:                             ;   in Loop: Header=BB6_144 Depth=3
	s_mov_b32 s13, -1
	s_mov_b32 s37, exec_lo
                                        ; implicit-def: $sgpr35
	v_cmpx_eq_u16_e32 0x80, v2
; %bb.1812:                             ;   in Loop: Header=BB6_144 Depth=3
	s_mov_b32 s35, 0x7f800001
	s_xor_b32 s13, exec_lo, -1
; %bb.1813:                             ;   in Loop: Header=BB6_144 Depth=3
	s_or_b32 exec_lo, exec_lo, s37
	s_delay_alu instid0(SALU_CYCLE_1)
	s_and_b32 s13, s13, exec_lo
	s_or_saveexec_b32 s36, s36
	v_mov_b32_e32 v8, s35
	s_xor_b32 exec_lo, exec_lo, s36
	s_cbranch_execz .LBB6_527
.LBB6_1814:                             ;   in Loop: Header=BB6_144 Depth=3
	v_cmp_ne_u16_e32 vcc_lo, 0, v2
	v_mov_b32_e32 v8, 0
	s_and_not1_b32 s13, s13, exec_lo
	s_and_b32 vcc_lo, vcc_lo, exec_lo
	s_delay_alu instid0(SALU_CYCLE_1)
	s_or_b32 s13, s13, vcc_lo
	s_or_b32 exec_lo, exec_lo, s36
	s_and_saveexec_b32 s35, s13
	s_cbranch_execnz .LBB6_528
	s_branch .LBB6_529
.LBB6_1815:                             ;   in Loop: Header=BB6_144 Depth=3
	s_mov_b32 s13, -1
	s_mov_b32 s37, exec_lo
                                        ; implicit-def: $sgpr35
	v_cmpx_eq_u16_e32 0x80, v13
; %bb.1816:                             ;   in Loop: Header=BB6_144 Depth=3
	s_mov_b32 s35, 0x7f800001
	s_xor_b32 s13, exec_lo, -1
; %bb.1817:                             ;   in Loop: Header=BB6_144 Depth=3
	s_or_b32 exec_lo, exec_lo, s37
	s_delay_alu instid0(SALU_CYCLE_1)
	s_and_b32 s13, s13, exec_lo
                                        ; implicit-def: $vgpr13
	s_or_saveexec_b32 s36, s36
	v_mov_b32_e32 v2, s35
	s_xor_b32 exec_lo, exec_lo, s36
	s_cbranch_execz .LBB6_539
.LBB6_1818:                             ;   in Loop: Header=BB6_144 Depth=3
	v_cmp_ne_u16_e32 vcc_lo, 0, v13
	v_mov_b32_e32 v2, 0
	s_and_not1_b32 s13, s13, exec_lo
	s_and_b32 vcc_lo, vcc_lo, exec_lo
	s_delay_alu instid0(SALU_CYCLE_1)
	s_or_b32 s13, s13, vcc_lo
	s_or_b32 exec_lo, exec_lo, s36
	s_and_saveexec_b32 s35, s13
	s_cbranch_execnz .LBB6_540
	s_branch .LBB6_541
.LBB6_1819:                             ;   in Loop: Header=BB6_144 Depth=3
	s_mov_b32 s13, -1
	s_mov_b32 s37, exec_lo
                                        ; implicit-def: $sgpr35
	v_cmpx_eq_u16_e32 0x80, v2
; %bb.1820:                             ;   in Loop: Header=BB6_144 Depth=3
	s_mov_b32 s35, 0x7f800001
	s_xor_b32 s13, exec_lo, -1
; %bb.1821:                             ;   in Loop: Header=BB6_144 Depth=3
	s_or_b32 exec_lo, exec_lo, s37
	s_delay_alu instid0(SALU_CYCLE_1)
	s_and_b32 s13, s13, exec_lo
	s_or_saveexec_b32 s36, s36
	v_mov_b32_e32 v13, s35
	s_xor_b32 exec_lo, exec_lo, s36
	s_cbranch_execz .LBB6_551
.LBB6_1822:                             ;   in Loop: Header=BB6_144 Depth=3
	v_cmp_ne_u16_e32 vcc_lo, 0, v2
	v_mov_b32_e32 v13, 0
	s_and_not1_b32 s13, s13, exec_lo
	s_and_b32 vcc_lo, vcc_lo, exec_lo
	s_delay_alu instid0(SALU_CYCLE_1)
	s_or_b32 s13, s13, vcc_lo
	s_or_b32 exec_lo, exec_lo, s36
	s_and_saveexec_b32 s35, s13
	s_cbranch_execnz .LBB6_552
	s_branch .LBB6_553
.LBB6_1823:                             ;   in Loop: Header=BB6_144 Depth=3
	s_mov_b32 s13, -1
	s_mov_b32 s37, exec_lo
                                        ; implicit-def: $sgpr35
	v_cmpx_eq_u16_e32 0x80, v26
; %bb.1824:                             ;   in Loop: Header=BB6_144 Depth=3
	s_mov_b32 s35, 0x7f800001
	s_xor_b32 s13, exec_lo, -1
; %bb.1825:                             ;   in Loop: Header=BB6_144 Depth=3
	s_or_b32 exec_lo, exec_lo, s37
	s_delay_alu instid0(SALU_CYCLE_1)
	s_and_b32 s13, s13, exec_lo
                                        ; implicit-def: $vgpr26
	s_or_saveexec_b32 s36, s36
	v_mov_b32_e32 v13, s35
	s_xor_b32 exec_lo, exec_lo, s36
	s_cbranch_execz .LBB6_563
.LBB6_1826:                             ;   in Loop: Header=BB6_144 Depth=3
	v_cmp_ne_u16_e32 vcc_lo, 0, v26
	v_mov_b32_e32 v13, 0
	s_and_not1_b32 s13, s13, exec_lo
	s_and_b32 vcc_lo, vcc_lo, exec_lo
	s_delay_alu instid0(SALU_CYCLE_1)
	s_or_b32 s13, s13, vcc_lo
	s_or_b32 exec_lo, exec_lo, s36
	s_and_saveexec_b32 s35, s13
	s_cbranch_execnz .LBB6_564
	s_branch .LBB6_565
.LBB6_1827:                             ;   in Loop: Header=BB6_144 Depth=3
	s_mov_b32 s13, -1
	s_mov_b32 s37, exec_lo
                                        ; implicit-def: $sgpr35
	v_cmpx_eq_u16_e32 0x80, v2
; %bb.1828:                             ;   in Loop: Header=BB6_144 Depth=3
	s_mov_b32 s35, 0x7f800001
	s_xor_b32 s13, exec_lo, -1
; %bb.1829:                             ;   in Loop: Header=BB6_144 Depth=3
	s_or_b32 exec_lo, exec_lo, s37
	s_delay_alu instid0(SALU_CYCLE_1)
	s_and_b32 s13, s13, exec_lo
	s_or_saveexec_b32 s36, s36
	v_mov_b32_e32 v13, s35
	s_xor_b32 exec_lo, exec_lo, s36
	s_cbranch_execz .LBB6_575
.LBB6_1830:                             ;   in Loop: Header=BB6_144 Depth=3
	v_cmp_ne_u16_e32 vcc_lo, 0, v2
	v_mov_b32_e32 v13, 0
	s_and_not1_b32 s13, s13, exec_lo
	s_and_b32 vcc_lo, vcc_lo, exec_lo
	s_delay_alu instid0(SALU_CYCLE_1)
	s_or_b32 s13, s13, vcc_lo
	s_or_b32 exec_lo, exec_lo, s36
	s_and_saveexec_b32 s35, s13
	s_cbranch_execnz .LBB6_576
	s_branch .LBB6_577
.LBB6_1831:                             ;   in Loop: Header=BB6_144 Depth=3
	s_mov_b32 s13, -1
	s_mov_b32 s37, exec_lo
                                        ; implicit-def: $sgpr35
	v_cmpx_eq_u16_e32 0x80, v8
; %bb.1832:                             ;   in Loop: Header=BB6_144 Depth=3
	s_mov_b32 s35, 0x7f800001
	s_xor_b32 s13, exec_lo, -1
; %bb.1833:                             ;   in Loop: Header=BB6_144 Depth=3
	s_or_b32 exec_lo, exec_lo, s37
	s_delay_alu instid0(SALU_CYCLE_1)
	s_and_b32 s13, s13, exec_lo
                                        ; implicit-def: $vgpr8
	s_or_saveexec_b32 s36, s36
	v_mov_b32_e32 v2, s35
	s_xor_b32 exec_lo, exec_lo, s36
	s_cbranch_execz .LBB6_587
.LBB6_1834:                             ;   in Loop: Header=BB6_144 Depth=3
	v_cmp_ne_u16_e32 vcc_lo, 0, v8
	v_mov_b32_e32 v2, 0
	s_and_not1_b32 s13, s13, exec_lo
	s_and_b32 vcc_lo, vcc_lo, exec_lo
	s_delay_alu instid0(SALU_CYCLE_1)
	s_or_b32 s13, s13, vcc_lo
	s_or_b32 exec_lo, exec_lo, s36
	s_and_saveexec_b32 s35, s13
	s_cbranch_execnz .LBB6_588
	s_branch .LBB6_589
.LBB6_1835:                             ;   in Loop: Header=BB6_144 Depth=3
	s_mov_b32 s13, -1
	s_mov_b32 s37, exec_lo
                                        ; implicit-def: $sgpr35
	v_cmpx_eq_u16_e32 0x80, v2
; %bb.1836:                             ;   in Loop: Header=BB6_144 Depth=3
	s_mov_b32 s35, 0x7f800001
	s_xor_b32 s13, exec_lo, -1
; %bb.1837:                             ;   in Loop: Header=BB6_144 Depth=3
	s_or_b32 exec_lo, exec_lo, s37
	s_delay_alu instid0(SALU_CYCLE_1)
	s_and_b32 s13, s13, exec_lo
	s_or_saveexec_b32 s36, s36
	v_mov_b32_e32 v8, s35
	s_xor_b32 exec_lo, exec_lo, s36
	s_cbranch_execz .LBB6_599
.LBB6_1838:                             ;   in Loop: Header=BB6_144 Depth=3
	v_cmp_ne_u16_e32 vcc_lo, 0, v2
	v_mov_b32_e32 v8, 0
	s_and_not1_b32 s13, s13, exec_lo
	s_and_b32 vcc_lo, vcc_lo, exec_lo
	s_delay_alu instid0(SALU_CYCLE_1)
	s_or_b32 s13, s13, vcc_lo
	s_or_b32 exec_lo, exec_lo, s36
	s_and_saveexec_b32 s35, s13
	s_cbranch_execnz .LBB6_600
	s_branch .LBB6_601
.LBB6_1839:                             ;   in Loop: Header=BB6_144 Depth=3
	s_mov_b32 s13, -1
	s_mov_b32 s37, exec_lo
                                        ; implicit-def: $sgpr35
	v_cmpx_eq_u16_e32 0x80, v13
; %bb.1840:                             ;   in Loop: Header=BB6_144 Depth=3
	s_mov_b32 s35, 0x7f800001
	s_xor_b32 s13, exec_lo, -1
; %bb.1841:                             ;   in Loop: Header=BB6_144 Depth=3
	s_or_b32 exec_lo, exec_lo, s37
	s_delay_alu instid0(SALU_CYCLE_1)
	s_and_b32 s13, s13, exec_lo
                                        ; implicit-def: $vgpr13
	s_or_saveexec_b32 s36, s36
	v_mov_b32_e32 v8, s35
	s_xor_b32 exec_lo, exec_lo, s36
	s_cbranch_execz .LBB6_611
.LBB6_1842:                             ;   in Loop: Header=BB6_144 Depth=3
	v_cmp_ne_u16_e32 vcc_lo, 0, v13
	v_mov_b32_e32 v8, 0
	s_and_not1_b32 s13, s13, exec_lo
	s_and_b32 vcc_lo, vcc_lo, exec_lo
	s_delay_alu instid0(SALU_CYCLE_1)
	s_or_b32 s13, s13, vcc_lo
	s_or_b32 exec_lo, exec_lo, s36
	s_and_saveexec_b32 s35, s13
	s_cbranch_execnz .LBB6_612
	s_branch .LBB6_613
.LBB6_1843:                             ;   in Loop: Header=BB6_144 Depth=3
	s_mov_b32 s13, -1
	s_mov_b32 s37, exec_lo
                                        ; implicit-def: $sgpr35
	v_cmpx_eq_u16_e32 0x80, v2
; %bb.1844:                             ;   in Loop: Header=BB6_144 Depth=3
	s_mov_b32 s35, 0x7f800001
	s_xor_b32 s13, exec_lo, -1
; %bb.1845:                             ;   in Loop: Header=BB6_144 Depth=3
	s_or_b32 exec_lo, exec_lo, s37
	s_delay_alu instid0(SALU_CYCLE_1)
	s_and_b32 s13, s13, exec_lo
	s_or_saveexec_b32 s36, s36
	v_mov_b32_e32 v8, s35
	s_xor_b32 exec_lo, exec_lo, s36
	s_cbranch_execz .LBB6_623
.LBB6_1846:                             ;   in Loop: Header=BB6_144 Depth=3
	v_cmp_ne_u16_e32 vcc_lo, 0, v2
	v_mov_b32_e32 v8, 0
	s_and_not1_b32 s13, s13, exec_lo
	s_and_b32 vcc_lo, vcc_lo, exec_lo
	s_delay_alu instid0(SALU_CYCLE_1)
	s_or_b32 s13, s13, vcc_lo
	s_or_b32 exec_lo, exec_lo, s36
	s_and_saveexec_b32 s35, s13
	s_cbranch_execnz .LBB6_624
	s_branch .LBB6_625
.LBB6_1847:                             ;   in Loop: Header=BB6_144 Depth=3
	s_mov_b32 s13, -1
	s_mov_b32 s37, exec_lo
                                        ; implicit-def: $sgpr35
	v_cmpx_eq_u16_e32 0x80, v8
; %bb.1848:                             ;   in Loop: Header=BB6_144 Depth=3
	s_mov_b32 s35, 0x7f800001
	s_xor_b32 s13, exec_lo, -1
; %bb.1849:                             ;   in Loop: Header=BB6_144 Depth=3
	s_or_b32 exec_lo, exec_lo, s37
	s_delay_alu instid0(SALU_CYCLE_1)
	s_and_b32 s13, s13, exec_lo
                                        ; implicit-def: $vgpr8
	s_or_saveexec_b32 s36, s36
	v_mov_b32_e32 v2, s35
	s_xor_b32 exec_lo, exec_lo, s36
	s_cbranch_execz .LBB6_635
.LBB6_1850:                             ;   in Loop: Header=BB6_144 Depth=3
	v_cmp_ne_u16_e32 vcc_lo, 0, v8
	v_mov_b32_e32 v2, 0
	s_and_not1_b32 s13, s13, exec_lo
	s_and_b32 vcc_lo, vcc_lo, exec_lo
	s_delay_alu instid0(SALU_CYCLE_1)
	s_or_b32 s13, s13, vcc_lo
	s_or_b32 exec_lo, exec_lo, s36
	s_and_saveexec_b32 s35, s13
	s_cbranch_execnz .LBB6_636
	s_branch .LBB6_637
.LBB6_1851:                             ;   in Loop: Header=BB6_144 Depth=3
	s_mov_b32 s13, -1
	s_mov_b32 s37, exec_lo
                                        ; implicit-def: $sgpr35
	v_cmpx_eq_u16_e32 0x80, v2
; %bb.1852:                             ;   in Loop: Header=BB6_144 Depth=3
	s_mov_b32 s35, 0x7f800001
	s_xor_b32 s13, exec_lo, -1
; %bb.1853:                             ;   in Loop: Header=BB6_144 Depth=3
	s_or_b32 exec_lo, exec_lo, s37
	s_delay_alu instid0(SALU_CYCLE_1)
	s_and_b32 s13, s13, exec_lo
	s_or_saveexec_b32 s36, s36
	v_mov_b32_e32 v8, s35
	s_xor_b32 exec_lo, exec_lo, s36
	s_cbranch_execz .LBB6_647
.LBB6_1854:                             ;   in Loop: Header=BB6_144 Depth=3
	v_cmp_ne_u16_e32 vcc_lo, 0, v2
	v_mov_b32_e32 v8, 0
	s_and_not1_b32 s13, s13, exec_lo
	s_and_b32 vcc_lo, vcc_lo, exec_lo
	s_delay_alu instid0(SALU_CYCLE_1)
	s_or_b32 s13, s13, vcc_lo
	s_or_b32 exec_lo, exec_lo, s36
	s_and_saveexec_b32 s35, s13
	s_cbranch_execnz .LBB6_648
	s_branch .LBB6_649
.LBB6_1855:                             ;   in Loop: Header=BB6_144 Depth=3
	s_mov_b32 s13, -1
	s_mov_b32 s37, exec_lo
                                        ; implicit-def: $sgpr35
	v_cmpx_eq_u16_e32 0x80, v9
; %bb.1856:                             ;   in Loop: Header=BB6_144 Depth=3
	s_mov_b32 s35, 0x7f800001
	s_xor_b32 s13, exec_lo, -1
; %bb.1857:                             ;   in Loop: Header=BB6_144 Depth=3
	s_or_b32 exec_lo, exec_lo, s37
	s_delay_alu instid0(SALU_CYCLE_1)
	s_and_b32 s13, s13, exec_lo
                                        ; implicit-def: $vgpr9
	s_or_saveexec_b32 s36, s36
	v_mov_b32_e32 v8, s35
	s_xor_b32 exec_lo, exec_lo, s36
	s_cbranch_execz .LBB6_659
.LBB6_1858:                             ;   in Loop: Header=BB6_144 Depth=3
	v_cmp_ne_u16_e32 vcc_lo, 0, v9
	v_mov_b32_e32 v8, 0
	s_and_not1_b32 s13, s13, exec_lo
	s_and_b32 vcc_lo, vcc_lo, exec_lo
	s_delay_alu instid0(SALU_CYCLE_1)
	s_or_b32 s13, s13, vcc_lo
	s_or_b32 exec_lo, exec_lo, s36
	s_and_saveexec_b32 s35, s13
	s_cbranch_execnz .LBB6_660
	s_branch .LBB6_661
.LBB6_1859:                             ;   in Loop: Header=BB6_144 Depth=3
	s_mov_b32 s13, -1
	s_mov_b32 s37, exec_lo
                                        ; implicit-def: $sgpr35
	v_cmpx_eq_u16_e32 0x80, v2
; %bb.1860:                             ;   in Loop: Header=BB6_144 Depth=3
	s_mov_b32 s35, 0x7f800001
	s_xor_b32 s13, exec_lo, -1
; %bb.1861:                             ;   in Loop: Header=BB6_144 Depth=3
	s_or_b32 exec_lo, exec_lo, s37
	s_delay_alu instid0(SALU_CYCLE_1)
	s_and_b32 s13, s13, exec_lo
	s_or_saveexec_b32 s36, s36
	v_mov_b32_e32 v8, s35
	s_xor_b32 exec_lo, exec_lo, s36
	s_cbranch_execz .LBB6_671
.LBB6_1862:                             ;   in Loop: Header=BB6_144 Depth=3
	v_cmp_ne_u16_e32 vcc_lo, 0, v2
	v_mov_b32_e32 v8, 0
	s_and_not1_b32 s13, s13, exec_lo
	s_and_b32 vcc_lo, vcc_lo, exec_lo
	s_delay_alu instid0(SALU_CYCLE_1)
	s_or_b32 s13, s13, vcc_lo
	s_or_b32 exec_lo, exec_lo, s36
	s_and_saveexec_b32 s35, s13
	s_cbranch_execnz .LBB6_672
	s_branch .LBB6_673
.LBB6_1863:                             ;   in Loop: Header=BB6_144 Depth=3
	s_mov_b32 s13, -1
	s_mov_b32 s37, exec_lo
                                        ; implicit-def: $sgpr35
	v_cmpx_eq_u16_e32 0x80, v8
; %bb.1864:                             ;   in Loop: Header=BB6_144 Depth=3
	s_mov_b32 s35, 0x7f800001
	s_xor_b32 s13, exec_lo, -1
; %bb.1865:                             ;   in Loop: Header=BB6_144 Depth=3
	s_or_b32 exec_lo, exec_lo, s37
	s_delay_alu instid0(SALU_CYCLE_1)
	s_and_b32 s13, s13, exec_lo
                                        ; implicit-def: $vgpr8
	s_or_saveexec_b32 s36, s36
	v_mov_b32_e32 v2, s35
	s_xor_b32 exec_lo, exec_lo, s36
	s_cbranch_execz .LBB6_683
.LBB6_1866:                             ;   in Loop: Header=BB6_144 Depth=3
	v_cmp_ne_u16_e32 vcc_lo, 0, v8
	v_mov_b32_e32 v2, 0
	s_and_not1_b32 s13, s13, exec_lo
	s_and_b32 vcc_lo, vcc_lo, exec_lo
	s_delay_alu instid0(SALU_CYCLE_1)
	s_or_b32 s13, s13, vcc_lo
	s_or_b32 exec_lo, exec_lo, s36
	s_and_saveexec_b32 s35, s13
	s_cbranch_execnz .LBB6_684
	s_branch .LBB6_685
.LBB6_1867:                             ;   in Loop: Header=BB6_144 Depth=3
	s_mov_b32 s13, -1
	s_mov_b32 s37, exec_lo
                                        ; implicit-def: $sgpr35
	v_cmpx_eq_u16_e32 0x80, v2
; %bb.1868:                             ;   in Loop: Header=BB6_144 Depth=3
	s_mov_b32 s35, 0x7f800001
	s_xor_b32 s13, exec_lo, -1
; %bb.1869:                             ;   in Loop: Header=BB6_144 Depth=3
	s_or_b32 exec_lo, exec_lo, s37
	s_delay_alu instid0(SALU_CYCLE_1)
	s_and_b32 s13, s13, exec_lo
	s_or_saveexec_b32 s36, s36
	v_mov_b32_e32 v8, s35
	s_xor_b32 exec_lo, exec_lo, s36
	s_cbranch_execz .LBB6_695
.LBB6_1870:                             ;   in Loop: Header=BB6_144 Depth=3
	v_cmp_ne_u16_e32 vcc_lo, 0, v2
	v_mov_b32_e32 v8, 0
	s_and_not1_b32 s13, s13, exec_lo
	s_and_b32 vcc_lo, vcc_lo, exec_lo
	s_delay_alu instid0(SALU_CYCLE_1)
	s_or_b32 s13, s13, vcc_lo
	s_or_b32 exec_lo, exec_lo, s36
	s_and_saveexec_b32 s35, s13
	s_cbranch_execnz .LBB6_696
	s_branch .LBB6_697
.LBB6_1871:                             ;   in Loop: Header=BB6_144 Depth=3
	s_mov_b32 s13, -1
	s_mov_b32 s37, exec_lo
                                        ; implicit-def: $sgpr35
	v_cmpx_eq_u16_e32 0x80, v9
; %bb.1872:                             ;   in Loop: Header=BB6_144 Depth=3
	s_mov_b32 s35, 0x7f800001
	s_xor_b32 s13, exec_lo, -1
; %bb.1873:                             ;   in Loop: Header=BB6_144 Depth=3
	s_or_b32 exec_lo, exec_lo, s37
	s_delay_alu instid0(SALU_CYCLE_1)
	s_and_b32 s13, s13, exec_lo
                                        ; implicit-def: $vgpr9
	s_or_saveexec_b32 s36, s36
	v_mov_b32_e32 v8, s35
	s_xor_b32 exec_lo, exec_lo, s36
	s_cbranch_execz .LBB6_707
.LBB6_1874:                             ;   in Loop: Header=BB6_144 Depth=3
	v_cmp_ne_u16_e32 vcc_lo, 0, v9
	v_mov_b32_e32 v8, 0
	s_and_not1_b32 s13, s13, exec_lo
	s_and_b32 vcc_lo, vcc_lo, exec_lo
	s_delay_alu instid0(SALU_CYCLE_1)
	s_or_b32 s13, s13, vcc_lo
	s_or_b32 exec_lo, exec_lo, s36
	s_and_saveexec_b32 s35, s13
	s_cbranch_execnz .LBB6_708
	s_branch .LBB6_709
.LBB6_1875:                             ;   in Loop: Header=BB6_144 Depth=3
	s_mov_b32 s13, -1
	s_mov_b32 s37, exec_lo
                                        ; implicit-def: $sgpr35
	v_cmpx_eq_u16_e32 0x80, v2
; %bb.1876:                             ;   in Loop: Header=BB6_144 Depth=3
	s_mov_b32 s35, 0x7f800001
	s_xor_b32 s13, exec_lo, -1
; %bb.1877:                             ;   in Loop: Header=BB6_144 Depth=3
	s_or_b32 exec_lo, exec_lo, s37
	s_delay_alu instid0(SALU_CYCLE_1)
	s_and_b32 s13, s13, exec_lo
	s_or_saveexec_b32 s36, s36
	v_mov_b32_e32 v8, s35
	s_xor_b32 exec_lo, exec_lo, s36
	s_cbranch_execz .LBB6_719
.LBB6_1878:                             ;   in Loop: Header=BB6_144 Depth=3
	v_cmp_ne_u16_e32 vcc_lo, 0, v2
	v_mov_b32_e32 v8, 0
	s_and_not1_b32 s13, s13, exec_lo
	s_and_b32 vcc_lo, vcc_lo, exec_lo
	s_delay_alu instid0(SALU_CYCLE_1)
	s_or_b32 s13, s13, vcc_lo
	s_or_b32 exec_lo, exec_lo, s36
	s_and_saveexec_b32 s35, s13
	s_cbranch_execnz .LBB6_720
	s_branch .LBB6_721
.LBB6_1879:                             ;   in Loop: Header=BB6_144 Depth=3
	s_mov_b32 s13, -1
	s_mov_b32 s37, exec_lo
                                        ; implicit-def: $sgpr35
	v_cmpx_eq_u16_e32 0x80, v26
; %bb.1880:                             ;   in Loop: Header=BB6_144 Depth=3
	s_mov_b32 s35, 0x7f800001
	s_xor_b32 s13, exec_lo, -1
; %bb.1881:                             ;   in Loop: Header=BB6_144 Depth=3
	s_or_b32 exec_lo, exec_lo, s37
	s_delay_alu instid0(SALU_CYCLE_1)
	s_and_b32 s13, s13, exec_lo
                                        ; implicit-def: $vgpr26
	s_or_saveexec_b32 s36, s36
	v_mov_b32_e32 v2, s35
	s_xor_b32 exec_lo, exec_lo, s36
	s_cbranch_execz .LBB6_731
.LBB6_1882:                             ;   in Loop: Header=BB6_144 Depth=3
	v_cmp_ne_u16_e32 vcc_lo, 0, v26
	v_mov_b32_e32 v2, 0
	s_and_not1_b32 s13, s13, exec_lo
	s_and_b32 vcc_lo, vcc_lo, exec_lo
	s_delay_alu instid0(SALU_CYCLE_1)
	s_or_b32 s13, s13, vcc_lo
	s_or_b32 exec_lo, exec_lo, s36
	s_and_saveexec_b32 s35, s13
	s_cbranch_execnz .LBB6_732
	s_branch .LBB6_733
.LBB6_1883:                             ;   in Loop: Header=BB6_144 Depth=3
	s_mov_b32 s13, -1
	s_mov_b32 s37, exec_lo
                                        ; implicit-def: $sgpr35
	v_cmpx_eq_u16_e32 0x80, v2
; %bb.1884:                             ;   in Loop: Header=BB6_144 Depth=3
	s_mov_b32 s35, 0x7f800001
	s_xor_b32 s13, exec_lo, -1
; %bb.1885:                             ;   in Loop: Header=BB6_144 Depth=3
	s_or_b32 exec_lo, exec_lo, s37
	s_delay_alu instid0(SALU_CYCLE_1)
	s_and_b32 s13, s13, exec_lo
	s_or_saveexec_b32 s36, s36
	v_mov_b32_e32 v26, s35
	s_xor_b32 exec_lo, exec_lo, s36
	s_cbranch_execz .LBB6_743
.LBB6_1886:                             ;   in Loop: Header=BB6_144 Depth=3
	v_cmp_ne_u16_e32 vcc_lo, 0, v2
	v_mov_b32_e32 v26, 0
	s_and_not1_b32 s13, s13, exec_lo
	s_and_b32 vcc_lo, vcc_lo, exec_lo
	s_delay_alu instid0(SALU_CYCLE_1)
	s_or_b32 s13, s13, vcc_lo
	s_or_b32 exec_lo, exec_lo, s36
	s_and_saveexec_b32 s35, s13
	s_cbranch_execnz .LBB6_744
	s_branch .LBB6_745
.LBB6_1887:                             ;   in Loop: Header=BB6_144 Depth=3
	s_mov_b32 s13, -1
	s_mov_b32 s37, exec_lo
                                        ; implicit-def: $sgpr35
	v_cmpx_eq_u16_e32 0x80, v27
; %bb.1888:                             ;   in Loop: Header=BB6_144 Depth=3
	s_mov_b32 s35, 0x7f800001
	s_xor_b32 s13, exec_lo, -1
; %bb.1889:                             ;   in Loop: Header=BB6_144 Depth=3
	s_or_b32 exec_lo, exec_lo, s37
	s_delay_alu instid0(SALU_CYCLE_1)
	s_and_b32 s13, s13, exec_lo
                                        ; implicit-def: $vgpr27
	s_or_saveexec_b32 s36, s36
	v_mov_b32_e32 v26, s35
	s_xor_b32 exec_lo, exec_lo, s36
	s_cbranch_execz .LBB6_755
.LBB6_1890:                             ;   in Loop: Header=BB6_144 Depth=3
	v_cmp_ne_u16_e32 vcc_lo, 0, v27
	v_mov_b32_e32 v26, 0
	s_and_not1_b32 s13, s13, exec_lo
	s_and_b32 vcc_lo, vcc_lo, exec_lo
	s_delay_alu instid0(SALU_CYCLE_1)
	s_or_b32 s13, s13, vcc_lo
	s_or_b32 exec_lo, exec_lo, s36
	s_and_saveexec_b32 s35, s13
	s_cbranch_execnz .LBB6_756
	s_branch .LBB6_757
.LBB6_1891:                             ;   in Loop: Header=BB6_144 Depth=3
	s_mov_b32 s13, -1
	s_mov_b32 s37, exec_lo
                                        ; implicit-def: $sgpr35
	v_cmpx_eq_u16_e32 0x80, v2
; %bb.1892:                             ;   in Loop: Header=BB6_144 Depth=3
	s_mov_b32 s35, 0x7f800001
	s_xor_b32 s13, exec_lo, -1
; %bb.1893:                             ;   in Loop: Header=BB6_144 Depth=3
	s_or_b32 exec_lo, exec_lo, s37
	s_delay_alu instid0(SALU_CYCLE_1)
	s_and_b32 s13, s13, exec_lo
	s_or_saveexec_b32 s36, s36
	v_mov_b32_e32 v26, s35
	s_xor_b32 exec_lo, exec_lo, s36
	s_cbranch_execz .LBB6_767
.LBB6_1894:                             ;   in Loop: Header=BB6_144 Depth=3
	v_cmp_ne_u16_e32 vcc_lo, 0, v2
	v_mov_b32_e32 v26, 0
	s_and_not1_b32 s13, s13, exec_lo
	s_and_b32 vcc_lo, vcc_lo, exec_lo
	s_delay_alu instid0(SALU_CYCLE_1)
	s_or_b32 s13, s13, vcc_lo
	s_or_b32 exec_lo, exec_lo, s36
	s_and_saveexec_b32 s35, s13
	s_cbranch_execnz .LBB6_768
	s_branch .LBB6_769
.LBB6_1895:                             ;   in Loop: Header=BB6_144 Depth=3
	s_mov_b32 s13, -1
	s_mov_b32 s37, exec_lo
                                        ; implicit-def: $sgpr35
	v_cmpx_eq_u16_e32 0x80, v8
; %bb.1896:                             ;   in Loop: Header=BB6_144 Depth=3
	s_mov_b32 s35, 0x7f800001
	s_xor_b32 s13, exec_lo, -1
; %bb.1897:                             ;   in Loop: Header=BB6_144 Depth=3
	s_or_b32 exec_lo, exec_lo, s37
	s_delay_alu instid0(SALU_CYCLE_1)
	s_and_b32 s13, s13, exec_lo
                                        ; implicit-def: $vgpr8
	s_or_saveexec_b32 s36, s36
	v_mov_b32_e32 v2, s35
	s_xor_b32 exec_lo, exec_lo, s36
	s_cbranch_execz .LBB6_779
.LBB6_1898:                             ;   in Loop: Header=BB6_144 Depth=3
	v_cmp_ne_u16_e32 vcc_lo, 0, v8
	v_mov_b32_e32 v2, 0
	s_and_not1_b32 s13, s13, exec_lo
	s_and_b32 vcc_lo, vcc_lo, exec_lo
	s_delay_alu instid0(SALU_CYCLE_1)
	s_or_b32 s13, s13, vcc_lo
	s_or_b32 exec_lo, exec_lo, s36
	s_and_saveexec_b32 s35, s13
	s_cbranch_execnz .LBB6_780
	s_branch .LBB6_781
.LBB6_1899:                             ;   in Loop: Header=BB6_144 Depth=3
	s_mov_b32 s13, -1
	s_mov_b32 s37, exec_lo
                                        ; implicit-def: $sgpr35
	v_cmpx_eq_u16_e32 0x80, v2
; %bb.1900:                             ;   in Loop: Header=BB6_144 Depth=3
	s_mov_b32 s35, 0x7f800001
	s_xor_b32 s13, exec_lo, -1
; %bb.1901:                             ;   in Loop: Header=BB6_144 Depth=3
	s_or_b32 exec_lo, exec_lo, s37
	s_delay_alu instid0(SALU_CYCLE_1)
	s_and_b32 s13, s13, exec_lo
	s_or_saveexec_b32 s36, s36
	v_mov_b32_e32 v8, s35
	s_xor_b32 exec_lo, exec_lo, s36
	s_cbranch_execz .LBB6_791
.LBB6_1902:                             ;   in Loop: Header=BB6_144 Depth=3
	v_cmp_ne_u16_e32 vcc_lo, 0, v2
	v_mov_b32_e32 v8, 0
	s_and_not1_b32 s13, s13, exec_lo
	s_and_b32 vcc_lo, vcc_lo, exec_lo
	s_delay_alu instid0(SALU_CYCLE_1)
	s_or_b32 s13, s13, vcc_lo
	s_or_b32 exec_lo, exec_lo, s36
	s_and_saveexec_b32 s35, s13
	s_cbranch_execnz .LBB6_792
	s_branch .LBB6_793
.LBB6_1903:                             ;   in Loop: Header=BB6_144 Depth=3
	s_mov_b32 s13, -1
	s_mov_b32 s37, exec_lo
                                        ; implicit-def: $sgpr35
	v_cmpx_eq_u16_e32 0x80, v26
; %bb.1904:                             ;   in Loop: Header=BB6_144 Depth=3
	s_mov_b32 s35, 0x7f800001
	s_xor_b32 s13, exec_lo, -1
; %bb.1905:                             ;   in Loop: Header=BB6_144 Depth=3
	s_or_b32 exec_lo, exec_lo, s37
	s_delay_alu instid0(SALU_CYCLE_1)
	s_and_b32 s13, s13, exec_lo
                                        ; implicit-def: $vgpr26
	s_or_saveexec_b32 s36, s36
	v_mov_b32_e32 v8, s35
	s_xor_b32 exec_lo, exec_lo, s36
	s_cbranch_execz .LBB6_803
.LBB6_1906:                             ;   in Loop: Header=BB6_144 Depth=3
	v_cmp_ne_u16_e32 vcc_lo, 0, v26
	v_mov_b32_e32 v8, 0
	s_and_not1_b32 s13, s13, exec_lo
	s_and_b32 vcc_lo, vcc_lo, exec_lo
	s_delay_alu instid0(SALU_CYCLE_1)
	s_or_b32 s13, s13, vcc_lo
	s_or_b32 exec_lo, exec_lo, s36
	s_and_saveexec_b32 s35, s13
	s_cbranch_execnz .LBB6_804
	s_branch .LBB6_805
.LBB6_1907:                             ;   in Loop: Header=BB6_144 Depth=3
	s_mov_b32 s13, -1
	s_mov_b32 s37, exec_lo
                                        ; implicit-def: $sgpr35
	v_cmpx_eq_u16_e32 0x80, v2
; %bb.1908:                             ;   in Loop: Header=BB6_144 Depth=3
	s_mov_b32 s35, 0x7f800001
	s_xor_b32 s13, exec_lo, -1
; %bb.1909:                             ;   in Loop: Header=BB6_144 Depth=3
	s_or_b32 exec_lo, exec_lo, s37
	s_delay_alu instid0(SALU_CYCLE_1)
	s_and_b32 s13, s13, exec_lo
	s_or_saveexec_b32 s36, s36
	v_mov_b32_e32 v8, s35
	s_xor_b32 exec_lo, exec_lo, s36
	s_cbranch_execz .LBB6_815
.LBB6_1910:                             ;   in Loop: Header=BB6_144 Depth=3
	v_cmp_ne_u16_e32 vcc_lo, 0, v2
	v_mov_b32_e32 v8, 0
	s_and_not1_b32 s13, s13, exec_lo
	s_and_b32 vcc_lo, vcc_lo, exec_lo
	s_delay_alu instid0(SALU_CYCLE_1)
	s_or_b32 s13, s13, vcc_lo
	s_or_b32 exec_lo, exec_lo, s36
	s_and_saveexec_b32 s35, s13
	s_cbranch_execnz .LBB6_816
	s_branch .LBB6_817
.LBB6_1911:                             ;   in Loop: Header=BB6_144 Depth=3
	s_mov_b32 s13, -1
	s_mov_b32 s37, exec_lo
                                        ; implicit-def: $sgpr35
	v_cmpx_eq_u16_e32 0x80, v8
; %bb.1912:                             ;   in Loop: Header=BB6_144 Depth=3
	s_mov_b32 s35, 0x7f800001
	s_xor_b32 s13, exec_lo, -1
; %bb.1913:                             ;   in Loop: Header=BB6_144 Depth=3
	s_or_b32 exec_lo, exec_lo, s37
	s_delay_alu instid0(SALU_CYCLE_1)
	s_and_b32 s13, s13, exec_lo
                                        ; implicit-def: $vgpr8
	s_or_saveexec_b32 s36, s36
	v_mov_b32_e32 v2, s35
	s_xor_b32 exec_lo, exec_lo, s36
	s_cbranch_execz .LBB6_827
.LBB6_1914:                             ;   in Loop: Header=BB6_144 Depth=3
	v_cmp_ne_u16_e32 vcc_lo, 0, v8
	v_mov_b32_e32 v2, 0
	s_and_not1_b32 s13, s13, exec_lo
	s_and_b32 vcc_lo, vcc_lo, exec_lo
	s_delay_alu instid0(SALU_CYCLE_1)
	s_or_b32 s13, s13, vcc_lo
	s_or_b32 exec_lo, exec_lo, s36
	s_and_saveexec_b32 s35, s13
	s_cbranch_execnz .LBB6_828
	s_branch .LBB6_829
.LBB6_1915:                             ;   in Loop: Header=BB6_144 Depth=3
	s_mov_b32 s13, -1
	s_mov_b32 s37, exec_lo
                                        ; implicit-def: $sgpr35
	v_cmpx_eq_u16_e32 0x80, v2
; %bb.1916:                             ;   in Loop: Header=BB6_144 Depth=3
	s_mov_b32 s35, 0x7f800001
	s_xor_b32 s13, exec_lo, -1
; %bb.1917:                             ;   in Loop: Header=BB6_144 Depth=3
	s_or_b32 exec_lo, exec_lo, s37
	s_delay_alu instid0(SALU_CYCLE_1)
	s_and_b32 s13, s13, exec_lo
	s_or_saveexec_b32 s36, s36
	v_mov_b32_e32 v8, s35
	s_xor_b32 exec_lo, exec_lo, s36
	s_cbranch_execz .LBB6_839
.LBB6_1918:                             ;   in Loop: Header=BB6_144 Depth=3
	v_cmp_ne_u16_e32 vcc_lo, 0, v2
	v_mov_b32_e32 v8, 0
	s_and_not1_b32 s13, s13, exec_lo
	s_and_b32 vcc_lo, vcc_lo, exec_lo
	s_delay_alu instid0(SALU_CYCLE_1)
	s_or_b32 s13, s13, vcc_lo
	s_or_b32 exec_lo, exec_lo, s36
	s_and_saveexec_b32 s35, s13
	s_cbranch_execnz .LBB6_840
	s_branch .LBB6_841
.LBB6_1919:                             ;   in Loop: Header=BB6_144 Depth=3
	s_mov_b32 s13, -1
	s_mov_b32 s37, exec_lo
                                        ; implicit-def: $sgpr35
	v_cmpx_eq_u16_e32 0x80, v9
; %bb.1920:                             ;   in Loop: Header=BB6_144 Depth=3
	s_mov_b32 s35, 0x7f800001
	s_xor_b32 s13, exec_lo, -1
; %bb.1921:                             ;   in Loop: Header=BB6_144 Depth=3
	s_or_b32 exec_lo, exec_lo, s37
	s_delay_alu instid0(SALU_CYCLE_1)
	s_and_b32 s13, s13, exec_lo
                                        ; implicit-def: $vgpr9
	s_or_saveexec_b32 s36, s36
	v_mov_b32_e32 v8, s35
	s_xor_b32 exec_lo, exec_lo, s36
	s_cbranch_execz .LBB6_851
.LBB6_1922:                             ;   in Loop: Header=BB6_144 Depth=3
	v_cmp_ne_u16_e32 vcc_lo, 0, v9
	v_mov_b32_e32 v8, 0
	s_and_not1_b32 s13, s13, exec_lo
	s_and_b32 vcc_lo, vcc_lo, exec_lo
	s_delay_alu instid0(SALU_CYCLE_1)
	s_or_b32 s13, s13, vcc_lo
	s_or_b32 exec_lo, exec_lo, s36
	s_and_saveexec_b32 s35, s13
	s_cbranch_execnz .LBB6_852
	s_branch .LBB6_853
.LBB6_1923:                             ;   in Loop: Header=BB6_144 Depth=3
	s_mov_b32 s13, -1
	s_mov_b32 s37, exec_lo
                                        ; implicit-def: $sgpr35
	v_cmpx_eq_u16_e32 0x80, v2
; %bb.1924:                             ;   in Loop: Header=BB6_144 Depth=3
	s_mov_b32 s35, 0x7f800001
	s_xor_b32 s13, exec_lo, -1
; %bb.1925:                             ;   in Loop: Header=BB6_144 Depth=3
	s_or_b32 exec_lo, exec_lo, s37
	s_delay_alu instid0(SALU_CYCLE_1)
	s_and_b32 s13, s13, exec_lo
	s_or_saveexec_b32 s36, s36
	v_mov_b32_e32 v8, s35
	s_xor_b32 exec_lo, exec_lo, s36
	s_cbranch_execz .LBB6_863
.LBB6_1926:                             ;   in Loop: Header=BB6_144 Depth=3
	v_cmp_ne_u16_e32 vcc_lo, 0, v2
	v_mov_b32_e32 v8, 0
	s_and_not1_b32 s13, s13, exec_lo
	s_and_b32 vcc_lo, vcc_lo, exec_lo
	s_delay_alu instid0(SALU_CYCLE_1)
	s_or_b32 s13, s13, vcc_lo
	s_or_b32 exec_lo, exec_lo, s36
	s_and_saveexec_b32 s35, s13
	s_cbranch_execnz .LBB6_864
	s_branch .LBB6_865
.LBB6_1927:                             ;   in Loop: Header=BB6_144 Depth=3
	s_mov_b32 s13, -1
	s_mov_b32 s37, exec_lo
                                        ; implicit-def: $sgpr35
	v_cmpx_eq_u16_e32 0x80, v8
; %bb.1928:                             ;   in Loop: Header=BB6_144 Depth=3
	s_mov_b32 s35, 0x7f800001
	s_xor_b32 s13, exec_lo, -1
; %bb.1929:                             ;   in Loop: Header=BB6_144 Depth=3
	s_or_b32 exec_lo, exec_lo, s37
	s_delay_alu instid0(SALU_CYCLE_1)
	s_and_b32 s13, s13, exec_lo
                                        ; implicit-def: $vgpr8
	s_or_saveexec_b32 s36, s36
	v_mov_b32_e32 v2, s35
	s_xor_b32 exec_lo, exec_lo, s36
	s_cbranch_execz .LBB6_875
.LBB6_1930:                             ;   in Loop: Header=BB6_144 Depth=3
	v_cmp_ne_u16_e32 vcc_lo, 0, v8
	v_mov_b32_e32 v2, 0
	s_and_not1_b32 s13, s13, exec_lo
	s_and_b32 vcc_lo, vcc_lo, exec_lo
	s_delay_alu instid0(SALU_CYCLE_1)
	s_or_b32 s13, s13, vcc_lo
	s_or_b32 exec_lo, exec_lo, s36
	s_and_saveexec_b32 s35, s13
	s_cbranch_execnz .LBB6_876
	s_branch .LBB6_877
.LBB6_1931:                             ;   in Loop: Header=BB6_144 Depth=3
	s_mov_b32 s13, -1
	s_mov_b32 s37, exec_lo
                                        ; implicit-def: $sgpr35
	v_cmpx_eq_u16_e32 0x80, v2
; %bb.1932:                             ;   in Loop: Header=BB6_144 Depth=3
	s_mov_b32 s35, 0x7f800001
	s_xor_b32 s13, exec_lo, -1
; %bb.1933:                             ;   in Loop: Header=BB6_144 Depth=3
	s_or_b32 exec_lo, exec_lo, s37
	s_delay_alu instid0(SALU_CYCLE_1)
	s_and_b32 s13, s13, exec_lo
	s_or_saveexec_b32 s36, s36
	v_mov_b32_e32 v8, s35
	s_xor_b32 exec_lo, exec_lo, s36
	s_cbranch_execz .LBB6_887
.LBB6_1934:                             ;   in Loop: Header=BB6_144 Depth=3
	v_cmp_ne_u16_e32 vcc_lo, 0, v2
	v_mov_b32_e32 v8, 0
	s_and_not1_b32 s13, s13, exec_lo
	s_and_b32 vcc_lo, vcc_lo, exec_lo
	s_delay_alu instid0(SALU_CYCLE_1)
	s_or_b32 s13, s13, vcc_lo
	s_or_b32 exec_lo, exec_lo, s36
	s_and_saveexec_b32 s35, s13
	s_cbranch_execnz .LBB6_888
	s_branch .LBB6_889
.LBB6_1935:                             ;   in Loop: Header=BB6_144 Depth=3
	s_mov_b32 s13, -1
	s_mov_b32 s37, exec_lo
                                        ; implicit-def: $sgpr35
	v_cmpx_eq_u16_e32 0x80, v9
; %bb.1936:                             ;   in Loop: Header=BB6_144 Depth=3
	s_mov_b32 s35, 0x7f800001
	s_xor_b32 s13, exec_lo, -1
; %bb.1937:                             ;   in Loop: Header=BB6_144 Depth=3
	s_or_b32 exec_lo, exec_lo, s37
	s_delay_alu instid0(SALU_CYCLE_1)
	s_and_b32 s13, s13, exec_lo
                                        ; implicit-def: $vgpr9
	s_or_saveexec_b32 s36, s36
	v_mov_b32_e32 v8, s35
	s_xor_b32 exec_lo, exec_lo, s36
	s_cbranch_execz .LBB6_899
.LBB6_1938:                             ;   in Loop: Header=BB6_144 Depth=3
	v_cmp_ne_u16_e32 vcc_lo, 0, v9
	v_mov_b32_e32 v8, 0
	s_and_not1_b32 s13, s13, exec_lo
	s_and_b32 vcc_lo, vcc_lo, exec_lo
	s_delay_alu instid0(SALU_CYCLE_1)
	s_or_b32 s13, s13, vcc_lo
	s_or_b32 exec_lo, exec_lo, s36
	s_and_saveexec_b32 s35, s13
	s_cbranch_execnz .LBB6_900
	s_branch .LBB6_901
.LBB6_1939:                             ;   in Loop: Header=BB6_144 Depth=3
	s_mov_b32 s13, -1
	s_mov_b32 s37, exec_lo
                                        ; implicit-def: $sgpr35
	v_cmpx_eq_u16_e32 0x80, v2
; %bb.1940:                             ;   in Loop: Header=BB6_144 Depth=3
	s_mov_b32 s35, 0x7f800001
	s_xor_b32 s13, exec_lo, -1
; %bb.1941:                             ;   in Loop: Header=BB6_144 Depth=3
	s_or_b32 exec_lo, exec_lo, s37
	s_delay_alu instid0(SALU_CYCLE_1)
	s_and_b32 s13, s13, exec_lo
	s_or_saveexec_b32 s36, s36
	v_mov_b32_e32 v8, s35
	s_xor_b32 exec_lo, exec_lo, s36
	s_cbranch_execz .LBB6_911
.LBB6_1942:                             ;   in Loop: Header=BB6_144 Depth=3
	v_cmp_ne_u16_e32 vcc_lo, 0, v2
	v_mov_b32_e32 v8, 0
	s_and_not1_b32 s13, s13, exec_lo
	s_and_b32 vcc_lo, vcc_lo, exec_lo
	s_delay_alu instid0(SALU_CYCLE_1)
	s_or_b32 s13, s13, vcc_lo
	s_or_b32 exec_lo, exec_lo, s36
	s_and_saveexec_b32 s35, s13
	s_cbranch_execnz .LBB6_912
	s_branch .LBB6_913
.LBB6_1943:                             ;   in Loop: Header=BB6_144 Depth=3
	s_mov_b32 s13, -1
	s_mov_b32 s37, exec_lo
                                        ; implicit-def: $sgpr35
	v_cmpx_eq_u16_e32 0x80, v26
; %bb.1944:                             ;   in Loop: Header=BB6_144 Depth=3
	s_mov_b32 s35, 0x7f800001
	s_xor_b32 s13, exec_lo, -1
; %bb.1945:                             ;   in Loop: Header=BB6_144 Depth=3
	s_or_b32 exec_lo, exec_lo, s37
	s_delay_alu instid0(SALU_CYCLE_1)
	s_and_b32 s13, s13, exec_lo
                                        ; implicit-def: $vgpr26
	s_or_saveexec_b32 s36, s36
	v_mov_b32_e32 v2, s35
	s_xor_b32 exec_lo, exec_lo, s36
	s_cbranch_execz .LBB6_923
.LBB6_1946:                             ;   in Loop: Header=BB6_144 Depth=3
	v_cmp_ne_u16_e32 vcc_lo, 0, v26
	v_mov_b32_e32 v2, 0
	s_and_not1_b32 s13, s13, exec_lo
	s_and_b32 vcc_lo, vcc_lo, exec_lo
	s_delay_alu instid0(SALU_CYCLE_1)
	s_or_b32 s13, s13, vcc_lo
	s_or_b32 exec_lo, exec_lo, s36
	s_and_saveexec_b32 s35, s13
	s_cbranch_execnz .LBB6_924
	s_branch .LBB6_925
.LBB6_1947:                             ;   in Loop: Header=BB6_144 Depth=3
	s_mov_b32 s13, -1
	s_mov_b32 s37, exec_lo
                                        ; implicit-def: $sgpr35
	v_cmpx_eq_u16_e32 0x80, v2
; %bb.1948:                             ;   in Loop: Header=BB6_144 Depth=3
	s_mov_b32 s35, 0x7f800001
	s_xor_b32 s13, exec_lo, -1
; %bb.1949:                             ;   in Loop: Header=BB6_144 Depth=3
	s_or_b32 exec_lo, exec_lo, s37
	s_delay_alu instid0(SALU_CYCLE_1)
	s_and_b32 s13, s13, exec_lo
	s_or_saveexec_b32 s36, s36
	v_mov_b32_e32 v26, s35
	s_xor_b32 exec_lo, exec_lo, s36
	s_cbranch_execz .LBB6_935
.LBB6_1950:                             ;   in Loop: Header=BB6_144 Depth=3
	v_cmp_ne_u16_e32 vcc_lo, 0, v2
	v_mov_b32_e32 v26, 0
	s_and_not1_b32 s13, s13, exec_lo
	s_and_b32 vcc_lo, vcc_lo, exec_lo
	s_delay_alu instid0(SALU_CYCLE_1)
	s_or_b32 s13, s13, vcc_lo
	s_or_b32 exec_lo, exec_lo, s36
	s_and_saveexec_b32 s35, s13
	s_cbranch_execnz .LBB6_936
	s_branch .LBB6_937
.LBB6_1951:                             ;   in Loop: Header=BB6_144 Depth=3
	s_mov_b32 s13, -1
	s_mov_b32 s37, exec_lo
                                        ; implicit-def: $sgpr35
	v_cmpx_eq_u16_e32 0x80, v27
; %bb.1952:                             ;   in Loop: Header=BB6_144 Depth=3
	s_mov_b32 s35, 0x7f800001
	s_xor_b32 s13, exec_lo, -1
; %bb.1953:                             ;   in Loop: Header=BB6_144 Depth=3
	s_or_b32 exec_lo, exec_lo, s37
	s_delay_alu instid0(SALU_CYCLE_1)
	s_and_b32 s13, s13, exec_lo
                                        ; implicit-def: $vgpr27
	s_or_saveexec_b32 s36, s36
	v_mov_b32_e32 v26, s35
	s_xor_b32 exec_lo, exec_lo, s36
	s_cbranch_execz .LBB6_947
.LBB6_1954:                             ;   in Loop: Header=BB6_144 Depth=3
	v_cmp_ne_u16_e32 vcc_lo, 0, v27
	v_mov_b32_e32 v26, 0
	s_and_not1_b32 s13, s13, exec_lo
	s_and_b32 vcc_lo, vcc_lo, exec_lo
	s_delay_alu instid0(SALU_CYCLE_1)
	s_or_b32 s13, s13, vcc_lo
	s_or_b32 exec_lo, exec_lo, s36
	s_and_saveexec_b32 s35, s13
	s_cbranch_execnz .LBB6_948
	s_branch .LBB6_949
.LBB6_1955:                             ;   in Loop: Header=BB6_144 Depth=3
	s_mov_b32 s13, -1
	s_mov_b32 s37, exec_lo
                                        ; implicit-def: $sgpr35
	v_cmpx_eq_u16_e32 0x80, v2
; %bb.1956:                             ;   in Loop: Header=BB6_144 Depth=3
	s_mov_b32 s35, 0x7f800001
	s_xor_b32 s13, exec_lo, -1
; %bb.1957:                             ;   in Loop: Header=BB6_144 Depth=3
	s_or_b32 exec_lo, exec_lo, s37
	s_delay_alu instid0(SALU_CYCLE_1)
	s_and_b32 s13, s13, exec_lo
	s_or_saveexec_b32 s36, s36
	v_mov_b32_e32 v26, s35
	s_xor_b32 exec_lo, exec_lo, s36
	s_cbranch_execz .LBB6_959
.LBB6_1958:                             ;   in Loop: Header=BB6_144 Depth=3
	v_cmp_ne_u16_e32 vcc_lo, 0, v2
	v_mov_b32_e32 v26, 0
	s_and_not1_b32 s13, s13, exec_lo
	s_and_b32 vcc_lo, vcc_lo, exec_lo
	s_delay_alu instid0(SALU_CYCLE_1)
	s_or_b32 s13, s13, vcc_lo
	s_or_b32 exec_lo, exec_lo, s36
	s_and_saveexec_b32 s35, s13
	s_cbranch_execnz .LBB6_960
	s_branch .LBB6_961
.LBB6_1959:                             ;   in Loop: Header=BB6_144 Depth=3
	s_mov_b32 s13, -1
	s_mov_b32 s37, exec_lo
                                        ; implicit-def: $sgpr35
	v_cmpx_eq_u16_e32 0x80, v8
; %bb.1960:                             ;   in Loop: Header=BB6_144 Depth=3
	s_mov_b32 s35, 0x7f800001
	s_xor_b32 s13, exec_lo, -1
; %bb.1961:                             ;   in Loop: Header=BB6_144 Depth=3
	s_or_b32 exec_lo, exec_lo, s37
	s_delay_alu instid0(SALU_CYCLE_1)
	s_and_b32 s13, s13, exec_lo
                                        ; implicit-def: $vgpr8
	s_or_saveexec_b32 s36, s36
	v_mov_b32_e32 v2, s35
	s_xor_b32 exec_lo, exec_lo, s36
	s_cbranch_execz .LBB6_971
.LBB6_1962:                             ;   in Loop: Header=BB6_144 Depth=3
	v_cmp_ne_u16_e32 vcc_lo, 0, v8
	v_mov_b32_e32 v2, 0
	s_and_not1_b32 s13, s13, exec_lo
	s_and_b32 vcc_lo, vcc_lo, exec_lo
	s_delay_alu instid0(SALU_CYCLE_1)
	s_or_b32 s13, s13, vcc_lo
	s_or_b32 exec_lo, exec_lo, s36
	s_and_saveexec_b32 s35, s13
	s_cbranch_execnz .LBB6_972
	s_branch .LBB6_973
.LBB6_1963:                             ;   in Loop: Header=BB6_144 Depth=3
	s_mov_b32 s13, -1
	s_mov_b32 s37, exec_lo
                                        ; implicit-def: $sgpr35
	v_cmpx_eq_u16_e32 0x80, v2
; %bb.1964:                             ;   in Loop: Header=BB6_144 Depth=3
	s_mov_b32 s35, 0x7f800001
	s_xor_b32 s13, exec_lo, -1
; %bb.1965:                             ;   in Loop: Header=BB6_144 Depth=3
	s_or_b32 exec_lo, exec_lo, s37
	s_delay_alu instid0(SALU_CYCLE_1)
	s_and_b32 s13, s13, exec_lo
	s_or_saveexec_b32 s36, s36
	v_mov_b32_e32 v8, s35
	s_xor_b32 exec_lo, exec_lo, s36
	s_cbranch_execz .LBB6_983
.LBB6_1966:                             ;   in Loop: Header=BB6_144 Depth=3
	v_cmp_ne_u16_e32 vcc_lo, 0, v2
	v_mov_b32_e32 v8, 0
	s_and_not1_b32 s13, s13, exec_lo
	s_and_b32 vcc_lo, vcc_lo, exec_lo
	s_delay_alu instid0(SALU_CYCLE_1)
	s_or_b32 s13, s13, vcc_lo
	s_or_b32 exec_lo, exec_lo, s36
	s_and_saveexec_b32 s35, s13
	s_cbranch_execnz .LBB6_984
	s_branch .LBB6_985
.LBB6_1967:                             ;   in Loop: Header=BB6_144 Depth=3
	s_mov_b32 s13, -1
	s_mov_b32 s37, exec_lo
                                        ; implicit-def: $sgpr35
	v_cmpx_eq_u16_e32 0x80, v26
; %bb.1968:                             ;   in Loop: Header=BB6_144 Depth=3
	s_mov_b32 s35, 0x7f800001
	s_xor_b32 s13, exec_lo, -1
; %bb.1969:                             ;   in Loop: Header=BB6_144 Depth=3
	s_or_b32 exec_lo, exec_lo, s37
	s_delay_alu instid0(SALU_CYCLE_1)
	s_and_b32 s13, s13, exec_lo
                                        ; implicit-def: $vgpr26
	s_or_saveexec_b32 s36, s36
	v_mov_b32_e32 v8, s35
	s_xor_b32 exec_lo, exec_lo, s36
	s_cbranch_execz .LBB6_995
.LBB6_1970:                             ;   in Loop: Header=BB6_144 Depth=3
	v_cmp_ne_u16_e32 vcc_lo, 0, v26
	v_mov_b32_e32 v8, 0
	s_and_not1_b32 s13, s13, exec_lo
	s_and_b32 vcc_lo, vcc_lo, exec_lo
	s_delay_alu instid0(SALU_CYCLE_1)
	s_or_b32 s13, s13, vcc_lo
	s_or_b32 exec_lo, exec_lo, s36
	s_and_saveexec_b32 s35, s13
	s_cbranch_execnz .LBB6_996
	s_branch .LBB6_997
.LBB6_1971:                             ;   in Loop: Header=BB6_144 Depth=3
	s_mov_b32 s13, -1
	s_mov_b32 s37, exec_lo
                                        ; implicit-def: $sgpr35
	v_cmpx_eq_u16_e32 0x80, v2
; %bb.1972:                             ;   in Loop: Header=BB6_144 Depth=3
	s_mov_b32 s35, 0x7f800001
	s_xor_b32 s13, exec_lo, -1
; %bb.1973:                             ;   in Loop: Header=BB6_144 Depth=3
	s_or_b32 exec_lo, exec_lo, s37
	s_delay_alu instid0(SALU_CYCLE_1)
	s_and_b32 s13, s13, exec_lo
	s_or_saveexec_b32 s36, s36
	v_mov_b32_e32 v8, s35
	s_xor_b32 exec_lo, exec_lo, s36
	s_cbranch_execz .LBB6_1007
.LBB6_1974:                             ;   in Loop: Header=BB6_144 Depth=3
	v_cmp_ne_u16_e32 vcc_lo, 0, v2
	v_mov_b32_e32 v8, 0
	s_and_not1_b32 s13, s13, exec_lo
	s_and_b32 vcc_lo, vcc_lo, exec_lo
	s_delay_alu instid0(SALU_CYCLE_1)
	s_or_b32 s13, s13, vcc_lo
	s_or_b32 exec_lo, exec_lo, s36
	s_and_saveexec_b32 s35, s13
	s_cbranch_execnz .LBB6_1008
	s_branch .LBB6_1009
.LBB6_1975:                             ;   in Loop: Header=BB6_144 Depth=3
	s_mov_b32 s13, -1
	s_mov_b32 s37, exec_lo
                                        ; implicit-def: $sgpr35
	v_cmpx_eq_u16_e32 0x80, v8
; %bb.1976:                             ;   in Loop: Header=BB6_144 Depth=3
	s_mov_b32 s35, 0x7f800001
	s_xor_b32 s13, exec_lo, -1
; %bb.1977:                             ;   in Loop: Header=BB6_144 Depth=3
	s_or_b32 exec_lo, exec_lo, s37
	s_delay_alu instid0(SALU_CYCLE_1)
	s_and_b32 s13, s13, exec_lo
                                        ; implicit-def: $vgpr8
	s_or_saveexec_b32 s36, s36
	v_mov_b32_e32 v2, s35
	s_xor_b32 exec_lo, exec_lo, s36
	s_cbranch_execz .LBB6_1019
.LBB6_1978:                             ;   in Loop: Header=BB6_144 Depth=3
	v_cmp_ne_u16_e32 vcc_lo, 0, v8
	v_mov_b32_e32 v2, 0
	s_and_not1_b32 s13, s13, exec_lo
	s_and_b32 vcc_lo, vcc_lo, exec_lo
	s_delay_alu instid0(SALU_CYCLE_1)
	s_or_b32 s13, s13, vcc_lo
	s_or_b32 exec_lo, exec_lo, s36
	s_and_saveexec_b32 s35, s13
	s_cbranch_execnz .LBB6_1020
	s_branch .LBB6_1021
.LBB6_1979:                             ;   in Loop: Header=BB6_144 Depth=3
	s_mov_b32 s13, -1
	s_mov_b32 s37, exec_lo
                                        ; implicit-def: $sgpr35
	v_cmpx_eq_u16_e32 0x80, v2
; %bb.1980:                             ;   in Loop: Header=BB6_144 Depth=3
	s_mov_b32 s35, 0x7f800001
	s_xor_b32 s13, exec_lo, -1
; %bb.1981:                             ;   in Loop: Header=BB6_144 Depth=3
	s_or_b32 exec_lo, exec_lo, s37
	s_delay_alu instid0(SALU_CYCLE_1)
	s_and_b32 s13, s13, exec_lo
	s_or_saveexec_b32 s36, s36
	v_mov_b32_e32 v8, s35
	s_xor_b32 exec_lo, exec_lo, s36
	s_cbranch_execz .LBB6_1031
.LBB6_1982:                             ;   in Loop: Header=BB6_144 Depth=3
	v_cmp_ne_u16_e32 vcc_lo, 0, v2
	v_mov_b32_e32 v8, 0
	s_and_not1_b32 s13, s13, exec_lo
	s_and_b32 vcc_lo, vcc_lo, exec_lo
	s_delay_alu instid0(SALU_CYCLE_1)
	s_or_b32 s13, s13, vcc_lo
	s_or_b32 exec_lo, exec_lo, s36
	s_and_saveexec_b32 s35, s13
	s_cbranch_execnz .LBB6_1032
	s_branch .LBB6_1033
.LBB6_1983:                             ;   in Loop: Header=BB6_144 Depth=3
	s_mov_b32 s13, -1
	s_mov_b32 s37, exec_lo
                                        ; implicit-def: $sgpr35
	v_cmpx_eq_u16_e32 0x80, v9
; %bb.1984:                             ;   in Loop: Header=BB6_144 Depth=3
	s_mov_b32 s35, 0x7f800001
	s_xor_b32 s13, exec_lo, -1
; %bb.1985:                             ;   in Loop: Header=BB6_144 Depth=3
	s_or_b32 exec_lo, exec_lo, s37
	s_delay_alu instid0(SALU_CYCLE_1)
	s_and_b32 s13, s13, exec_lo
                                        ; implicit-def: $vgpr9
	s_or_saveexec_b32 s36, s36
	v_mov_b32_e32 v8, s35
	s_xor_b32 exec_lo, exec_lo, s36
	s_cbranch_execz .LBB6_1043
.LBB6_1986:                             ;   in Loop: Header=BB6_144 Depth=3
	v_cmp_ne_u16_e32 vcc_lo, 0, v9
	v_mov_b32_e32 v8, 0
	s_and_not1_b32 s13, s13, exec_lo
	s_and_b32 vcc_lo, vcc_lo, exec_lo
	s_delay_alu instid0(SALU_CYCLE_1)
	s_or_b32 s13, s13, vcc_lo
	s_or_b32 exec_lo, exec_lo, s36
	s_and_saveexec_b32 s35, s13
	s_cbranch_execnz .LBB6_1044
	s_branch .LBB6_1045
.LBB6_1987:                             ;   in Loop: Header=BB6_144 Depth=3
	s_mov_b32 s13, -1
	s_mov_b32 s37, exec_lo
                                        ; implicit-def: $sgpr35
	v_cmpx_eq_u16_e32 0x80, v2
; %bb.1988:                             ;   in Loop: Header=BB6_144 Depth=3
	s_mov_b32 s35, 0x7f800001
	s_xor_b32 s13, exec_lo, -1
; %bb.1989:                             ;   in Loop: Header=BB6_144 Depth=3
	s_or_b32 exec_lo, exec_lo, s37
	s_delay_alu instid0(SALU_CYCLE_1)
	s_and_b32 s13, s13, exec_lo
	s_or_saveexec_b32 s36, s36
	v_mov_b32_e32 v8, s35
	s_xor_b32 exec_lo, exec_lo, s36
	s_cbranch_execz .LBB6_1055
.LBB6_1990:                             ;   in Loop: Header=BB6_144 Depth=3
	v_cmp_ne_u16_e32 vcc_lo, 0, v2
	v_mov_b32_e32 v8, 0
	s_and_not1_b32 s13, s13, exec_lo
	s_and_b32 vcc_lo, vcc_lo, exec_lo
	s_delay_alu instid0(SALU_CYCLE_1)
	s_or_b32 s13, s13, vcc_lo
	s_or_b32 exec_lo, exec_lo, s36
	s_and_saveexec_b32 s35, s13
	s_cbranch_execnz .LBB6_1056
	s_branch .LBB6_1057
.LBB6_1991:                             ;   in Loop: Header=BB6_144 Depth=3
	s_mov_b32 s13, -1
	s_mov_b32 s37, exec_lo
                                        ; implicit-def: $sgpr35
	v_cmpx_eq_u16_e32 0x80, v8
; %bb.1992:                             ;   in Loop: Header=BB6_144 Depth=3
	s_mov_b32 s35, 0x7f800001
	s_xor_b32 s13, exec_lo, -1
; %bb.1993:                             ;   in Loop: Header=BB6_144 Depth=3
	s_or_b32 exec_lo, exec_lo, s37
	s_delay_alu instid0(SALU_CYCLE_1)
	s_and_b32 s13, s13, exec_lo
                                        ; implicit-def: $vgpr8
	s_or_saveexec_b32 s36, s36
	v_mov_b32_e32 v2, s35
	s_xor_b32 exec_lo, exec_lo, s36
	s_cbranch_execz .LBB6_1067
.LBB6_1994:                             ;   in Loop: Header=BB6_144 Depth=3
	v_cmp_ne_u16_e32 vcc_lo, 0, v8
	v_mov_b32_e32 v2, 0
	s_and_not1_b32 s13, s13, exec_lo
	s_and_b32 vcc_lo, vcc_lo, exec_lo
	s_delay_alu instid0(SALU_CYCLE_1)
	s_or_b32 s13, s13, vcc_lo
	s_or_b32 exec_lo, exec_lo, s36
	s_and_saveexec_b32 s35, s13
	s_cbranch_execnz .LBB6_1068
	s_branch .LBB6_1069
.LBB6_1995:                             ;   in Loop: Header=BB6_144 Depth=3
	s_mov_b32 s13, -1
	s_mov_b32 s37, exec_lo
                                        ; implicit-def: $sgpr35
	v_cmpx_eq_u16_e32 0x80, v2
; %bb.1996:                             ;   in Loop: Header=BB6_144 Depth=3
	s_mov_b32 s35, 0x7f800001
	s_xor_b32 s13, exec_lo, -1
; %bb.1997:                             ;   in Loop: Header=BB6_144 Depth=3
	s_or_b32 exec_lo, exec_lo, s37
	s_delay_alu instid0(SALU_CYCLE_1)
	s_and_b32 s13, s13, exec_lo
	s_or_saveexec_b32 s36, s36
	v_mov_b32_e32 v8, s35
	s_xor_b32 exec_lo, exec_lo, s36
	s_cbranch_execz .LBB6_1079
.LBB6_1998:                             ;   in Loop: Header=BB6_144 Depth=3
	v_cmp_ne_u16_e32 vcc_lo, 0, v2
	v_mov_b32_e32 v8, 0
	s_and_not1_b32 s13, s13, exec_lo
	s_and_b32 vcc_lo, vcc_lo, exec_lo
	s_delay_alu instid0(SALU_CYCLE_1)
	s_or_b32 s13, s13, vcc_lo
	s_or_b32 exec_lo, exec_lo, s36
	s_and_saveexec_b32 s35, s13
	s_cbranch_execnz .LBB6_1080
	s_branch .LBB6_1081
.LBB6_1999:                             ;   in Loop: Header=BB6_144 Depth=3
	s_mov_b32 s13, -1
	s_mov_b32 s37, exec_lo
                                        ; implicit-def: $sgpr35
	v_cmpx_eq_u16_e32 0x80, v9
; %bb.2000:                             ;   in Loop: Header=BB6_144 Depth=3
	s_mov_b32 s35, 0x7f800001
	s_xor_b32 s13, exec_lo, -1
; %bb.2001:                             ;   in Loop: Header=BB6_144 Depth=3
	s_or_b32 exec_lo, exec_lo, s37
	s_delay_alu instid0(SALU_CYCLE_1)
	s_and_b32 s13, s13, exec_lo
                                        ; implicit-def: $vgpr9
	s_or_saveexec_b32 s36, s36
	v_mov_b32_e32 v8, s35
	s_xor_b32 exec_lo, exec_lo, s36
	s_cbranch_execz .LBB6_1091
.LBB6_2002:                             ;   in Loop: Header=BB6_144 Depth=3
	v_cmp_ne_u16_e32 vcc_lo, 0, v9
	v_mov_b32_e32 v8, 0
	s_and_not1_b32 s13, s13, exec_lo
	s_and_b32 vcc_lo, vcc_lo, exec_lo
	s_delay_alu instid0(SALU_CYCLE_1)
	s_or_b32 s13, s13, vcc_lo
	s_or_b32 exec_lo, exec_lo, s36
	s_and_saveexec_b32 s35, s13
	s_cbranch_execnz .LBB6_1092
	s_branch .LBB6_1093
.LBB6_2003:                             ;   in Loop: Header=BB6_144 Depth=3
	s_mov_b32 s13, -1
	s_mov_b32 s37, exec_lo
                                        ; implicit-def: $sgpr35
	v_cmpx_eq_u16_e32 0x80, v2
; %bb.2004:                             ;   in Loop: Header=BB6_144 Depth=3
	s_mov_b32 s35, 0x7f800001
	s_xor_b32 s13, exec_lo, -1
; %bb.2005:                             ;   in Loop: Header=BB6_144 Depth=3
	s_or_b32 exec_lo, exec_lo, s37
	s_delay_alu instid0(SALU_CYCLE_1)
	s_and_b32 s13, s13, exec_lo
	s_or_saveexec_b32 s36, s36
	v_mov_b32_e32 v8, s35
	s_xor_b32 exec_lo, exec_lo, s36
	s_cbranch_execz .LBB6_1103
.LBB6_2006:                             ;   in Loop: Header=BB6_144 Depth=3
	v_cmp_ne_u16_e32 vcc_lo, 0, v2
	v_mov_b32_e32 v8, 0
	s_and_not1_b32 s13, s13, exec_lo
	s_and_b32 vcc_lo, vcc_lo, exec_lo
	s_delay_alu instid0(SALU_CYCLE_1)
	s_or_b32 s13, s13, vcc_lo
	s_or_b32 exec_lo, exec_lo, s36
	s_and_saveexec_b32 s35, s13
	s_cbranch_execnz .LBB6_1104
	s_branch .LBB6_1105
.LBB6_2007:                             ;   in Loop: Header=BB6_144 Depth=3
	s_mov_b32 s13, -1
	s_mov_b32 s37, exec_lo
                                        ; implicit-def: $sgpr35
	v_cmpx_eq_u16_e32 0x80, v26
; %bb.2008:                             ;   in Loop: Header=BB6_144 Depth=3
	s_mov_b32 s35, 0x7f800001
	s_xor_b32 s13, exec_lo, -1
; %bb.2009:                             ;   in Loop: Header=BB6_144 Depth=3
	s_or_b32 exec_lo, exec_lo, s37
	s_delay_alu instid0(SALU_CYCLE_1)
	s_and_b32 s13, s13, exec_lo
                                        ; implicit-def: $vgpr26
	s_or_saveexec_b32 s36, s36
	v_mov_b32_e32 v2, s35
	s_xor_b32 exec_lo, exec_lo, s36
	s_cbranch_execz .LBB6_1115
.LBB6_2010:                             ;   in Loop: Header=BB6_144 Depth=3
	v_cmp_ne_u16_e32 vcc_lo, 0, v26
	v_mov_b32_e32 v2, 0
	s_and_not1_b32 s13, s13, exec_lo
	s_and_b32 vcc_lo, vcc_lo, exec_lo
	s_delay_alu instid0(SALU_CYCLE_1)
	s_or_b32 s13, s13, vcc_lo
	s_or_b32 exec_lo, exec_lo, s36
	s_and_saveexec_b32 s35, s13
	s_cbranch_execnz .LBB6_1116
	s_branch .LBB6_1117
.LBB6_2011:                             ;   in Loop: Header=BB6_144 Depth=3
	s_mov_b32 s13, -1
	s_mov_b32 s37, exec_lo
                                        ; implicit-def: $sgpr35
	v_cmpx_eq_u16_e32 0x80, v2
; %bb.2012:                             ;   in Loop: Header=BB6_144 Depth=3
	s_mov_b32 s35, 0x7f800001
	s_xor_b32 s13, exec_lo, -1
; %bb.2013:                             ;   in Loop: Header=BB6_144 Depth=3
	s_or_b32 exec_lo, exec_lo, s37
	s_delay_alu instid0(SALU_CYCLE_1)
	s_and_b32 s13, s13, exec_lo
	s_or_saveexec_b32 s36, s36
	v_mov_b32_e32 v26, s35
	s_xor_b32 exec_lo, exec_lo, s36
	s_cbranch_execz .LBB6_1127
.LBB6_2014:                             ;   in Loop: Header=BB6_144 Depth=3
	v_cmp_ne_u16_e32 vcc_lo, 0, v2
	v_mov_b32_e32 v26, 0
	s_and_not1_b32 s13, s13, exec_lo
	s_and_b32 vcc_lo, vcc_lo, exec_lo
	s_delay_alu instid0(SALU_CYCLE_1)
	s_or_b32 s13, s13, vcc_lo
	s_or_b32 exec_lo, exec_lo, s36
	s_and_saveexec_b32 s35, s13
	s_cbranch_execnz .LBB6_1128
	s_branch .LBB6_1129
.LBB6_2015:                             ;   in Loop: Header=BB6_144 Depth=3
	s_mov_b32 s13, -1
	s_mov_b32 s37, exec_lo
                                        ; implicit-def: $sgpr35
	v_cmpx_eq_u16_e32 0x80, v27
; %bb.2016:                             ;   in Loop: Header=BB6_144 Depth=3
	s_mov_b32 s35, 0x7f800001
	s_xor_b32 s13, exec_lo, -1
; %bb.2017:                             ;   in Loop: Header=BB6_144 Depth=3
	s_or_b32 exec_lo, exec_lo, s37
	s_delay_alu instid0(SALU_CYCLE_1)
	s_and_b32 s13, s13, exec_lo
                                        ; implicit-def: $vgpr27
	s_or_saveexec_b32 s36, s36
	v_mov_b32_e32 v26, s35
	s_xor_b32 exec_lo, exec_lo, s36
	s_cbranch_execz .LBB6_1139
.LBB6_2018:                             ;   in Loop: Header=BB6_144 Depth=3
	v_cmp_ne_u16_e32 vcc_lo, 0, v27
	v_mov_b32_e32 v26, 0
	s_and_not1_b32 s13, s13, exec_lo
	s_and_b32 vcc_lo, vcc_lo, exec_lo
	s_delay_alu instid0(SALU_CYCLE_1)
	s_or_b32 s13, s13, vcc_lo
	s_or_b32 exec_lo, exec_lo, s36
	s_and_saveexec_b32 s35, s13
	s_cbranch_execnz .LBB6_1140
	s_branch .LBB6_1141
.LBB6_2019:                             ;   in Loop: Header=BB6_144 Depth=3
	s_mov_b32 s13, -1
	s_mov_b32 s37, exec_lo
                                        ; implicit-def: $sgpr35
	v_cmpx_eq_u16_e32 0x80, v2
; %bb.2020:                             ;   in Loop: Header=BB6_144 Depth=3
	s_mov_b32 s35, 0x7f800001
	s_xor_b32 s13, exec_lo, -1
; %bb.2021:                             ;   in Loop: Header=BB6_144 Depth=3
	s_or_b32 exec_lo, exec_lo, s37
	s_delay_alu instid0(SALU_CYCLE_1)
	s_and_b32 s13, s13, exec_lo
	s_or_saveexec_b32 s36, s36
	v_mov_b32_e32 v26, s35
	s_xor_b32 exec_lo, exec_lo, s36
	s_cbranch_execz .LBB6_1151
.LBB6_2022:                             ;   in Loop: Header=BB6_144 Depth=3
	v_cmp_ne_u16_e32 vcc_lo, 0, v2
	v_mov_b32_e32 v26, 0
	s_and_not1_b32 s13, s13, exec_lo
	s_and_b32 vcc_lo, vcc_lo, exec_lo
	s_delay_alu instid0(SALU_CYCLE_1)
	s_or_b32 s13, s13, vcc_lo
	s_or_b32 exec_lo, exec_lo, s36
	s_and_saveexec_b32 s35, s13
	s_cbranch_execnz .LBB6_1152
	s_branch .LBB6_1153
.LBB6_2023:                             ;   in Loop: Header=BB6_144 Depth=3
	s_mov_b32 s13, -1
	s_mov_b32 s37, exec_lo
                                        ; implicit-def: $sgpr35
	v_cmpx_eq_u16_e32 0x80, v8
; %bb.2024:                             ;   in Loop: Header=BB6_144 Depth=3
	s_mov_b32 s35, 0x7f800001
	s_xor_b32 s13, exec_lo, -1
; %bb.2025:                             ;   in Loop: Header=BB6_144 Depth=3
	s_or_b32 exec_lo, exec_lo, s37
	s_delay_alu instid0(SALU_CYCLE_1)
	s_and_b32 s13, s13, exec_lo
                                        ; implicit-def: $vgpr8
	s_or_saveexec_b32 s36, s36
	v_mov_b32_e32 v2, s35
	s_xor_b32 exec_lo, exec_lo, s36
	s_cbranch_execz .LBB6_1163
.LBB6_2026:                             ;   in Loop: Header=BB6_144 Depth=3
	v_cmp_ne_u16_e32 vcc_lo, 0, v8
	v_mov_b32_e32 v2, 0
	s_and_not1_b32 s13, s13, exec_lo
	s_and_b32 vcc_lo, vcc_lo, exec_lo
	s_delay_alu instid0(SALU_CYCLE_1)
	s_or_b32 s13, s13, vcc_lo
	s_or_b32 exec_lo, exec_lo, s36
	s_and_saveexec_b32 s35, s13
	s_cbranch_execnz .LBB6_1164
	s_branch .LBB6_1165
.LBB6_2027:                             ;   in Loop: Header=BB6_144 Depth=3
	s_mov_b32 s13, -1
	s_mov_b32 s37, exec_lo
                                        ; implicit-def: $sgpr35
	v_cmpx_eq_u16_e32 0x80, v2
; %bb.2028:                             ;   in Loop: Header=BB6_144 Depth=3
	s_mov_b32 s35, 0x7f800001
	s_xor_b32 s13, exec_lo, -1
; %bb.2029:                             ;   in Loop: Header=BB6_144 Depth=3
	s_or_b32 exec_lo, exec_lo, s37
	s_delay_alu instid0(SALU_CYCLE_1)
	s_and_b32 s13, s13, exec_lo
	s_or_saveexec_b32 s36, s36
	v_mov_b32_e32 v8, s35
	s_xor_b32 exec_lo, exec_lo, s36
	s_cbranch_execz .LBB6_1175
.LBB6_2030:                             ;   in Loop: Header=BB6_144 Depth=3
	v_cmp_ne_u16_e32 vcc_lo, 0, v2
	v_mov_b32_e32 v8, 0
	s_and_not1_b32 s13, s13, exec_lo
	s_and_b32 vcc_lo, vcc_lo, exec_lo
	s_delay_alu instid0(SALU_CYCLE_1)
	s_or_b32 s13, s13, vcc_lo
	s_or_b32 exec_lo, exec_lo, s36
	s_and_saveexec_b32 s35, s13
	s_cbranch_execnz .LBB6_1176
	s_branch .LBB6_1177
.LBB6_2031:                             ;   in Loop: Header=BB6_144 Depth=3
	s_mov_b32 s13, -1
	s_mov_b32 s37, exec_lo
                                        ; implicit-def: $sgpr35
	v_cmpx_eq_u16_e32 0x80, v26
; %bb.2032:                             ;   in Loop: Header=BB6_144 Depth=3
	s_mov_b32 s35, 0x7f800001
	s_xor_b32 s13, exec_lo, -1
; %bb.2033:                             ;   in Loop: Header=BB6_144 Depth=3
	s_or_b32 exec_lo, exec_lo, s37
	s_delay_alu instid0(SALU_CYCLE_1)
	s_and_b32 s13, s13, exec_lo
                                        ; implicit-def: $vgpr26
	s_or_saveexec_b32 s36, s36
	v_mov_b32_e32 v8, s35
	s_xor_b32 exec_lo, exec_lo, s36
	s_cbranch_execz .LBB6_1187
.LBB6_2034:                             ;   in Loop: Header=BB6_144 Depth=3
	v_cmp_ne_u16_e32 vcc_lo, 0, v26
	v_mov_b32_e32 v8, 0
	s_and_not1_b32 s13, s13, exec_lo
	s_and_b32 vcc_lo, vcc_lo, exec_lo
	s_delay_alu instid0(SALU_CYCLE_1)
	s_or_b32 s13, s13, vcc_lo
	s_or_b32 exec_lo, exec_lo, s36
	s_and_saveexec_b32 s35, s13
	s_cbranch_execnz .LBB6_1188
	s_branch .LBB6_1189
.LBB6_2035:                             ;   in Loop: Header=BB6_144 Depth=3
	s_mov_b32 s13, -1
	s_mov_b32 s37, exec_lo
                                        ; implicit-def: $sgpr35
	v_cmpx_eq_u16_e32 0x80, v2
; %bb.2036:                             ;   in Loop: Header=BB6_144 Depth=3
	s_mov_b32 s35, 0x7f800001
	s_xor_b32 s13, exec_lo, -1
; %bb.2037:                             ;   in Loop: Header=BB6_144 Depth=3
	s_or_b32 exec_lo, exec_lo, s37
	s_delay_alu instid0(SALU_CYCLE_1)
	s_and_b32 s13, s13, exec_lo
	s_or_saveexec_b32 s36, s36
	v_mov_b32_e32 v8, s35
	s_xor_b32 exec_lo, exec_lo, s36
	s_cbranch_execz .LBB6_1199
.LBB6_2038:                             ;   in Loop: Header=BB6_144 Depth=3
	v_cmp_ne_u16_e32 vcc_lo, 0, v2
	v_mov_b32_e32 v8, 0
	s_and_not1_b32 s13, s13, exec_lo
	s_and_b32 vcc_lo, vcc_lo, exec_lo
	s_delay_alu instid0(SALU_CYCLE_1)
	s_or_b32 s13, s13, vcc_lo
	s_or_b32 exec_lo, exec_lo, s36
	s_and_saveexec_b32 s35, s13
	s_cbranch_execnz .LBB6_1200
	s_branch .LBB6_1201
.LBB6_2039:                             ;   in Loop: Header=BB6_144 Depth=3
	s_mov_b32 s13, -1
	s_mov_b32 s37, exec_lo
                                        ; implicit-def: $sgpr35
	v_cmpx_eq_u16_e32 0x80, v8
; %bb.2040:                             ;   in Loop: Header=BB6_144 Depth=3
	s_mov_b32 s35, 0x7f800001
	s_xor_b32 s13, exec_lo, -1
; %bb.2041:                             ;   in Loop: Header=BB6_144 Depth=3
	s_or_b32 exec_lo, exec_lo, s37
	s_delay_alu instid0(SALU_CYCLE_1)
	s_and_b32 s13, s13, exec_lo
                                        ; implicit-def: $vgpr8
	s_or_saveexec_b32 s36, s36
	v_mov_b32_e32 v2, s35
	s_xor_b32 exec_lo, exec_lo, s36
	s_cbranch_execz .LBB6_1211
.LBB6_2042:                             ;   in Loop: Header=BB6_144 Depth=3
	v_cmp_ne_u16_e32 vcc_lo, 0, v8
	v_mov_b32_e32 v2, 0
	s_and_not1_b32 s13, s13, exec_lo
	s_and_b32 vcc_lo, vcc_lo, exec_lo
	s_delay_alu instid0(SALU_CYCLE_1)
	s_or_b32 s13, s13, vcc_lo
	s_or_b32 exec_lo, exec_lo, s36
	s_and_saveexec_b32 s35, s13
	s_cbranch_execnz .LBB6_1212
	s_branch .LBB6_1213
.LBB6_2043:                             ;   in Loop: Header=BB6_144 Depth=3
	s_mov_b32 s13, -1
	s_mov_b32 s37, exec_lo
                                        ; implicit-def: $sgpr35
	v_cmpx_eq_u16_e32 0x80, v2
; %bb.2044:                             ;   in Loop: Header=BB6_144 Depth=3
	s_mov_b32 s35, 0x7f800001
	s_xor_b32 s13, exec_lo, -1
; %bb.2045:                             ;   in Loop: Header=BB6_144 Depth=3
	s_or_b32 exec_lo, exec_lo, s37
	s_delay_alu instid0(SALU_CYCLE_1)
	s_and_b32 s13, s13, exec_lo
	s_or_saveexec_b32 s36, s36
	v_mov_b32_e32 v8, s35
	s_xor_b32 exec_lo, exec_lo, s36
	s_cbranch_execz .LBB6_1223
.LBB6_2046:                             ;   in Loop: Header=BB6_144 Depth=3
	v_cmp_ne_u16_e32 vcc_lo, 0, v2
	v_mov_b32_e32 v8, 0
	s_and_not1_b32 s13, s13, exec_lo
	s_and_b32 vcc_lo, vcc_lo, exec_lo
	s_delay_alu instid0(SALU_CYCLE_1)
	s_or_b32 s13, s13, vcc_lo
	s_or_b32 exec_lo, exec_lo, s36
	s_and_saveexec_b32 s35, s13
	s_cbranch_execnz .LBB6_1224
	s_branch .LBB6_1225
.LBB6_2047:                             ;   in Loop: Header=BB6_144 Depth=3
	s_mov_b32 s13, -1
	s_mov_b32 s37, exec_lo
                                        ; implicit-def: $sgpr35
	v_cmpx_eq_u16_e32 0x80, v9
; %bb.2048:                             ;   in Loop: Header=BB6_144 Depth=3
	s_mov_b32 s35, 0x7f800001
	s_xor_b32 s13, exec_lo, -1
; %bb.2049:                             ;   in Loop: Header=BB6_144 Depth=3
	s_or_b32 exec_lo, exec_lo, s37
	s_delay_alu instid0(SALU_CYCLE_1)
	s_and_b32 s13, s13, exec_lo
                                        ; implicit-def: $vgpr9
	s_or_saveexec_b32 s36, s36
	v_mov_b32_e32 v8, s35
	s_xor_b32 exec_lo, exec_lo, s36
	s_cbranch_execz .LBB6_1235
.LBB6_2050:                             ;   in Loop: Header=BB6_144 Depth=3
	v_cmp_ne_u16_e32 vcc_lo, 0, v9
	v_mov_b32_e32 v8, 0
	s_and_not1_b32 s13, s13, exec_lo
	s_and_b32 vcc_lo, vcc_lo, exec_lo
	s_delay_alu instid0(SALU_CYCLE_1)
	s_or_b32 s13, s13, vcc_lo
	s_or_b32 exec_lo, exec_lo, s36
	s_and_saveexec_b32 s35, s13
	s_cbranch_execnz .LBB6_1236
	s_branch .LBB6_1237
.LBB6_2051:                             ;   in Loop: Header=BB6_144 Depth=3
	s_mov_b32 s13, -1
	s_mov_b32 s37, exec_lo
                                        ; implicit-def: $sgpr35
	v_cmpx_eq_u16_e32 0x80, v2
; %bb.2052:                             ;   in Loop: Header=BB6_144 Depth=3
	s_mov_b32 s35, 0x7f800001
	s_xor_b32 s13, exec_lo, -1
; %bb.2053:                             ;   in Loop: Header=BB6_144 Depth=3
	s_or_b32 exec_lo, exec_lo, s37
	s_delay_alu instid0(SALU_CYCLE_1)
	s_and_b32 s13, s13, exec_lo
	s_or_saveexec_b32 s36, s36
	v_mov_b32_e32 v8, s35
	s_xor_b32 exec_lo, exec_lo, s36
	s_cbranch_execz .LBB6_1247
.LBB6_2054:                             ;   in Loop: Header=BB6_144 Depth=3
	v_cmp_ne_u16_e32 vcc_lo, 0, v2
	v_mov_b32_e32 v8, 0
	s_and_not1_b32 s13, s13, exec_lo
	s_and_b32 vcc_lo, vcc_lo, exec_lo
	s_delay_alu instid0(SALU_CYCLE_1)
	s_or_b32 s13, s13, vcc_lo
	s_or_b32 exec_lo, exec_lo, s36
	s_and_saveexec_b32 s35, s13
	s_cbranch_execnz .LBB6_1248
	s_branch .LBB6_1249
.LBB6_2055:                             ;   in Loop: Header=BB6_144 Depth=3
	s_mov_b32 s13, -1
	s_mov_b32 s37, exec_lo
                                        ; implicit-def: $sgpr35
	v_cmpx_eq_u16_e32 0x80, v8
; %bb.2056:                             ;   in Loop: Header=BB6_144 Depth=3
	s_mov_b32 s35, 0x7f800001
	s_xor_b32 s13, exec_lo, -1
; %bb.2057:                             ;   in Loop: Header=BB6_144 Depth=3
	s_or_b32 exec_lo, exec_lo, s37
	s_delay_alu instid0(SALU_CYCLE_1)
	s_and_b32 s13, s13, exec_lo
                                        ; implicit-def: $vgpr8
	s_or_saveexec_b32 s36, s36
	v_mov_b32_e32 v2, s35
	s_xor_b32 exec_lo, exec_lo, s36
	s_cbranch_execz .LBB6_1259
.LBB6_2058:                             ;   in Loop: Header=BB6_144 Depth=3
	v_cmp_ne_u16_e32 vcc_lo, 0, v8
	v_mov_b32_e32 v2, 0
	s_and_not1_b32 s13, s13, exec_lo
	s_and_b32 vcc_lo, vcc_lo, exec_lo
	s_delay_alu instid0(SALU_CYCLE_1)
	s_or_b32 s13, s13, vcc_lo
	s_or_b32 exec_lo, exec_lo, s36
	s_and_saveexec_b32 s35, s13
	s_cbranch_execnz .LBB6_1260
	s_branch .LBB6_1261
.LBB6_2059:                             ;   in Loop: Header=BB6_144 Depth=3
	s_mov_b32 s13, -1
	s_mov_b32 s37, exec_lo
                                        ; implicit-def: $sgpr35
	v_cmpx_eq_u16_e32 0x80, v2
; %bb.2060:                             ;   in Loop: Header=BB6_144 Depth=3
	s_mov_b32 s35, 0x7f800001
	s_xor_b32 s13, exec_lo, -1
; %bb.2061:                             ;   in Loop: Header=BB6_144 Depth=3
	s_or_b32 exec_lo, exec_lo, s37
	s_delay_alu instid0(SALU_CYCLE_1)
	s_and_b32 s13, s13, exec_lo
	s_or_saveexec_b32 s36, s36
	v_mov_b32_e32 v8, s35
	s_xor_b32 exec_lo, exec_lo, s36
	s_cbranch_execz .LBB6_1271
.LBB6_2062:                             ;   in Loop: Header=BB6_144 Depth=3
	v_cmp_ne_u16_e32 vcc_lo, 0, v2
	v_mov_b32_e32 v8, 0
	s_and_not1_b32 s13, s13, exec_lo
	s_and_b32 vcc_lo, vcc_lo, exec_lo
	s_delay_alu instid0(SALU_CYCLE_1)
	s_or_b32 s13, s13, vcc_lo
	s_or_b32 exec_lo, exec_lo, s36
	s_and_saveexec_b32 s35, s13
	s_cbranch_execnz .LBB6_1272
	s_branch .LBB6_1273
.LBB6_2063:                             ;   in Loop: Header=BB6_144 Depth=3
	s_mov_b32 s13, -1
	s_mov_b32 s37, exec_lo
                                        ; implicit-def: $sgpr35
	v_cmpx_eq_u16_e32 0x80, v9
; %bb.2064:                             ;   in Loop: Header=BB6_144 Depth=3
	s_mov_b32 s35, 0x7f800001
	s_xor_b32 s13, exec_lo, -1
; %bb.2065:                             ;   in Loop: Header=BB6_144 Depth=3
	s_or_b32 exec_lo, exec_lo, s37
	s_delay_alu instid0(SALU_CYCLE_1)
	s_and_b32 s13, s13, exec_lo
                                        ; implicit-def: $vgpr9
	s_or_saveexec_b32 s36, s36
	v_mov_b32_e32 v8, s35
	s_xor_b32 exec_lo, exec_lo, s36
	s_cbranch_execz .LBB6_1283
.LBB6_2066:                             ;   in Loop: Header=BB6_144 Depth=3
	v_cmp_ne_u16_e32 vcc_lo, 0, v9
	v_mov_b32_e32 v8, 0
	s_and_not1_b32 s13, s13, exec_lo
	s_and_b32 vcc_lo, vcc_lo, exec_lo
	s_delay_alu instid0(SALU_CYCLE_1)
	s_or_b32 s13, s13, vcc_lo
	s_or_b32 exec_lo, exec_lo, s36
	s_and_saveexec_b32 s35, s13
	s_cbranch_execnz .LBB6_1284
	s_branch .LBB6_1285
.LBB6_2067:                             ;   in Loop: Header=BB6_144 Depth=3
	s_mov_b32 s13, -1
	s_mov_b32 s37, exec_lo
                                        ; implicit-def: $sgpr35
	v_cmpx_eq_u16_e32 0x80, v2
; %bb.2068:                             ;   in Loop: Header=BB6_144 Depth=3
	s_mov_b32 s35, 0x7f800001
	s_xor_b32 s13, exec_lo, -1
; %bb.2069:                             ;   in Loop: Header=BB6_144 Depth=3
	s_or_b32 exec_lo, exec_lo, s37
	s_delay_alu instid0(SALU_CYCLE_1)
	s_and_b32 s13, s13, exec_lo
	s_or_saveexec_b32 s36, s36
	v_mov_b32_e32 v8, s35
	s_xor_b32 exec_lo, exec_lo, s36
	s_cbranch_execz .LBB6_1295
.LBB6_2070:                             ;   in Loop: Header=BB6_144 Depth=3
	v_cmp_ne_u16_e32 vcc_lo, 0, v2
	v_mov_b32_e32 v8, 0
	s_and_not1_b32 s13, s13, exec_lo
	s_and_b32 vcc_lo, vcc_lo, exec_lo
	s_delay_alu instid0(SALU_CYCLE_1)
	s_or_b32 s13, s13, vcc_lo
	s_or_b32 exec_lo, exec_lo, s36
	s_and_saveexec_b32 s35, s13
	s_cbranch_execnz .LBB6_1296
	s_branch .LBB6_1297
.LBB6_2071:                             ;   in Loop: Header=BB6_144 Depth=3
	s_mov_b32 s13, -1
	s_mov_b32 s37, exec_lo
                                        ; implicit-def: $sgpr35
	v_cmpx_eq_u16_e32 0x80, v26
; %bb.2072:                             ;   in Loop: Header=BB6_144 Depth=3
	s_mov_b32 s35, 0x7f800001
	s_xor_b32 s13, exec_lo, -1
; %bb.2073:                             ;   in Loop: Header=BB6_144 Depth=3
	s_or_b32 exec_lo, exec_lo, s37
	s_delay_alu instid0(SALU_CYCLE_1)
	s_and_b32 s13, s13, exec_lo
                                        ; implicit-def: $vgpr26
	s_or_saveexec_b32 s36, s36
	v_mov_b32_e32 v2, s35
	s_xor_b32 exec_lo, exec_lo, s36
	s_cbranch_execz .LBB6_1307
.LBB6_2074:                             ;   in Loop: Header=BB6_144 Depth=3
	v_cmp_ne_u16_e32 vcc_lo, 0, v26
	v_mov_b32_e32 v2, 0
	s_and_not1_b32 s13, s13, exec_lo
	s_and_b32 vcc_lo, vcc_lo, exec_lo
	s_delay_alu instid0(SALU_CYCLE_1)
	s_or_b32 s13, s13, vcc_lo
	s_or_b32 exec_lo, exec_lo, s36
	s_and_saveexec_b32 s35, s13
	s_cbranch_execnz .LBB6_1308
	s_branch .LBB6_1309
.LBB6_2075:                             ;   in Loop: Header=BB6_144 Depth=3
	s_mov_b32 s13, -1
	s_mov_b32 s37, exec_lo
                                        ; implicit-def: $sgpr35
	v_cmpx_eq_u16_e32 0x80, v2
; %bb.2076:                             ;   in Loop: Header=BB6_144 Depth=3
	s_mov_b32 s35, 0x7f800001
	s_xor_b32 s13, exec_lo, -1
; %bb.2077:                             ;   in Loop: Header=BB6_144 Depth=3
	s_or_b32 exec_lo, exec_lo, s37
	s_delay_alu instid0(SALU_CYCLE_1)
	s_and_b32 s13, s13, exec_lo
	s_or_saveexec_b32 s36, s36
	v_mov_b32_e32 v26, s35
	s_xor_b32 exec_lo, exec_lo, s36
	s_cbranch_execz .LBB6_1319
.LBB6_2078:                             ;   in Loop: Header=BB6_144 Depth=3
	v_cmp_ne_u16_e32 vcc_lo, 0, v2
	v_mov_b32_e32 v26, 0
	s_and_not1_b32 s13, s13, exec_lo
	s_and_b32 vcc_lo, vcc_lo, exec_lo
	s_delay_alu instid0(SALU_CYCLE_1)
	s_or_b32 s13, s13, vcc_lo
	s_or_b32 exec_lo, exec_lo, s36
	s_and_saveexec_b32 s35, s13
	s_cbranch_execnz .LBB6_1320
	s_branch .LBB6_1321
.LBB6_2079:                             ;   in Loop: Header=BB6_144 Depth=3
	s_mov_b32 s13, -1
	s_mov_b32 s37, exec_lo
                                        ; implicit-def: $sgpr35
	v_cmpx_eq_u16_e32 0x80, v27
; %bb.2080:                             ;   in Loop: Header=BB6_144 Depth=3
	s_mov_b32 s35, 0x7f800001
	s_xor_b32 s13, exec_lo, -1
; %bb.2081:                             ;   in Loop: Header=BB6_144 Depth=3
	s_or_b32 exec_lo, exec_lo, s37
	s_delay_alu instid0(SALU_CYCLE_1)
	s_and_b32 s13, s13, exec_lo
                                        ; implicit-def: $vgpr27
	s_or_saveexec_b32 s36, s36
	v_mov_b32_e32 v26, s35
	s_xor_b32 exec_lo, exec_lo, s36
	s_cbranch_execz .LBB6_1331
.LBB6_2082:                             ;   in Loop: Header=BB6_144 Depth=3
	v_cmp_ne_u16_e32 vcc_lo, 0, v27
	v_mov_b32_e32 v26, 0
	s_and_not1_b32 s13, s13, exec_lo
	s_and_b32 vcc_lo, vcc_lo, exec_lo
	s_delay_alu instid0(SALU_CYCLE_1)
	s_or_b32 s13, s13, vcc_lo
	s_or_b32 exec_lo, exec_lo, s36
	s_and_saveexec_b32 s35, s13
	s_cbranch_execnz .LBB6_1332
	s_branch .LBB6_1333
.LBB6_2083:                             ;   in Loop: Header=BB6_144 Depth=3
	s_mov_b32 s13, -1
	s_mov_b32 s37, exec_lo
                                        ; implicit-def: $sgpr35
	v_cmpx_eq_u16_e32 0x80, v2
; %bb.2084:                             ;   in Loop: Header=BB6_144 Depth=3
	s_mov_b32 s35, 0x7f800001
	s_xor_b32 s13, exec_lo, -1
; %bb.2085:                             ;   in Loop: Header=BB6_144 Depth=3
	s_or_b32 exec_lo, exec_lo, s37
	s_delay_alu instid0(SALU_CYCLE_1)
	s_and_b32 s13, s13, exec_lo
	s_or_saveexec_b32 s36, s36
	v_mov_b32_e32 v26, s35
	s_xor_b32 exec_lo, exec_lo, s36
	s_cbranch_execz .LBB6_1343
.LBB6_2086:                             ;   in Loop: Header=BB6_144 Depth=3
	v_cmp_ne_u16_e32 vcc_lo, 0, v2
	v_mov_b32_e32 v26, 0
	s_and_not1_b32 s13, s13, exec_lo
	s_and_b32 vcc_lo, vcc_lo, exec_lo
	s_delay_alu instid0(SALU_CYCLE_1)
	s_or_b32 s13, s13, vcc_lo
	s_or_b32 exec_lo, exec_lo, s36
	s_and_saveexec_b32 s35, s13
	s_cbranch_execnz .LBB6_1344
	s_branch .LBB6_1345
.LBB6_2087:                             ;   in Loop: Header=BB6_144 Depth=3
	s_mov_b32 s13, -1
	s_mov_b32 s37, exec_lo
                                        ; implicit-def: $sgpr35
	v_cmpx_eq_u16_e32 0x80, v8
; %bb.2088:                             ;   in Loop: Header=BB6_144 Depth=3
	s_mov_b32 s35, 0x7f800001
	s_xor_b32 s13, exec_lo, -1
; %bb.2089:                             ;   in Loop: Header=BB6_144 Depth=3
	s_or_b32 exec_lo, exec_lo, s37
	s_delay_alu instid0(SALU_CYCLE_1)
	s_and_b32 s13, s13, exec_lo
                                        ; implicit-def: $vgpr8
	s_or_saveexec_b32 s36, s36
	v_mov_b32_e32 v2, s35
	s_xor_b32 exec_lo, exec_lo, s36
	s_cbranch_execz .LBB6_1355
.LBB6_2090:                             ;   in Loop: Header=BB6_144 Depth=3
	v_cmp_ne_u16_e32 vcc_lo, 0, v8
	v_mov_b32_e32 v2, 0
	s_and_not1_b32 s13, s13, exec_lo
	s_and_b32 vcc_lo, vcc_lo, exec_lo
	s_delay_alu instid0(SALU_CYCLE_1)
	s_or_b32 s13, s13, vcc_lo
	s_or_b32 exec_lo, exec_lo, s36
	s_and_saveexec_b32 s35, s13
	s_cbranch_execnz .LBB6_1356
	s_branch .LBB6_1357
.LBB6_2091:                             ;   in Loop: Header=BB6_144 Depth=3
	s_mov_b32 s13, -1
	s_mov_b32 s37, exec_lo
                                        ; implicit-def: $sgpr35
	v_cmpx_eq_u16_e32 0x80, v2
; %bb.2092:                             ;   in Loop: Header=BB6_144 Depth=3
	s_mov_b32 s35, 0x7f800001
	s_xor_b32 s13, exec_lo, -1
; %bb.2093:                             ;   in Loop: Header=BB6_144 Depth=3
	s_or_b32 exec_lo, exec_lo, s37
	s_delay_alu instid0(SALU_CYCLE_1)
	s_and_b32 s13, s13, exec_lo
	s_or_saveexec_b32 s36, s36
	v_mov_b32_e32 v8, s35
	s_xor_b32 exec_lo, exec_lo, s36
	s_cbranch_execz .LBB6_1367
.LBB6_2094:                             ;   in Loop: Header=BB6_144 Depth=3
	v_cmp_ne_u16_e32 vcc_lo, 0, v2
	v_mov_b32_e32 v8, 0
	s_and_not1_b32 s13, s13, exec_lo
	s_and_b32 vcc_lo, vcc_lo, exec_lo
	s_delay_alu instid0(SALU_CYCLE_1)
	s_or_b32 s13, s13, vcc_lo
	s_or_b32 exec_lo, exec_lo, s36
	s_and_saveexec_b32 s35, s13
	s_cbranch_execnz .LBB6_1368
	s_branch .LBB6_1369
.LBB6_2095:                             ;   in Loop: Header=BB6_144 Depth=3
	s_mov_b32 s13, -1
	s_mov_b32 s37, exec_lo
                                        ; implicit-def: $sgpr35
	v_cmpx_eq_u16_e32 0x80, v27
; %bb.2096:                             ;   in Loop: Header=BB6_144 Depth=3
	s_mov_b32 s35, 0x7f800001
	s_xor_b32 s13, exec_lo, -1
; %bb.2097:                             ;   in Loop: Header=BB6_144 Depth=3
	s_or_b32 exec_lo, exec_lo, s37
	s_delay_alu instid0(SALU_CYCLE_1)
	s_and_b32 s13, s13, exec_lo
                                        ; implicit-def: $vgpr27
	s_or_saveexec_b32 s36, s36
	v_mov_b32_e32 v8, s35
	s_xor_b32 exec_lo, exec_lo, s36
	s_cbranch_execz .LBB6_1379
.LBB6_2098:                             ;   in Loop: Header=BB6_144 Depth=3
	v_cmp_ne_u16_e32 vcc_lo, 0, v27
	v_mov_b32_e32 v8, 0
	s_and_not1_b32 s13, s13, exec_lo
	s_and_b32 vcc_lo, vcc_lo, exec_lo
	s_delay_alu instid0(SALU_CYCLE_1)
	s_or_b32 s13, s13, vcc_lo
	s_or_b32 exec_lo, exec_lo, s36
	s_and_saveexec_b32 s35, s13
	s_cbranch_execnz .LBB6_1380
	s_branch .LBB6_1381
.LBB6_2099:                             ;   in Loop: Header=BB6_144 Depth=3
	s_mov_b32 s13, -1
	s_mov_b32 s37, exec_lo
                                        ; implicit-def: $sgpr35
	v_cmpx_eq_u16_e32 0x80, v2
; %bb.2100:                             ;   in Loop: Header=BB6_144 Depth=3
	s_mov_b32 s35, 0x7f800001
	s_xor_b32 s13, exec_lo, -1
; %bb.2101:                             ;   in Loop: Header=BB6_144 Depth=3
	s_or_b32 exec_lo, exec_lo, s37
	s_delay_alu instid0(SALU_CYCLE_1)
	s_and_b32 s13, s13, exec_lo
	s_or_saveexec_b32 s36, s36
	v_mov_b32_e32 v8, s35
	s_xor_b32 exec_lo, exec_lo, s36
	s_cbranch_execz .LBB6_1391
.LBB6_2102:                             ;   in Loop: Header=BB6_144 Depth=3
	v_cmp_ne_u16_e32 vcc_lo, 0, v2
	v_mov_b32_e32 v8, 0
	s_and_not1_b32 s13, s13, exec_lo
	s_and_b32 vcc_lo, vcc_lo, exec_lo
	s_delay_alu instid0(SALU_CYCLE_1)
	s_or_b32 s13, s13, vcc_lo
	s_or_b32 exec_lo, exec_lo, s36
	s_and_saveexec_b32 s35, s13
	s_cbranch_execnz .LBB6_1392
	s_branch .LBB6_1393
.LBB6_2103:                             ;   in Loop: Header=BB6_144 Depth=3
	s_mov_b32 s13, -1
	s_mov_b32 s37, exec_lo
                                        ; implicit-def: $sgpr35
	v_cmpx_eq_u16_e32 0x80, v8
; %bb.2104:                             ;   in Loop: Header=BB6_144 Depth=3
	s_mov_b32 s35, 0x7f800001
	s_xor_b32 s13, exec_lo, -1
; %bb.2105:                             ;   in Loop: Header=BB6_144 Depth=3
	s_or_b32 exec_lo, exec_lo, s37
	s_delay_alu instid0(SALU_CYCLE_1)
	s_and_b32 s13, s13, exec_lo
                                        ; implicit-def: $vgpr8
	s_or_saveexec_b32 s36, s36
	v_mov_b32_e32 v2, s35
	s_xor_b32 exec_lo, exec_lo, s36
	s_cbranch_execz .LBB6_1403
.LBB6_2106:                             ;   in Loop: Header=BB6_144 Depth=3
	v_cmp_ne_u16_e32 vcc_lo, 0, v8
	v_mov_b32_e32 v2, 0
	s_and_not1_b32 s13, s13, exec_lo
	s_and_b32 vcc_lo, vcc_lo, exec_lo
	s_delay_alu instid0(SALU_CYCLE_1)
	s_or_b32 s13, s13, vcc_lo
	s_or_b32 exec_lo, exec_lo, s36
	s_and_saveexec_b32 s35, s13
	s_cbranch_execnz .LBB6_1404
	s_branch .LBB6_1405
.LBB6_2107:                             ;   in Loop: Header=BB6_144 Depth=3
	s_mov_b32 s13, -1
	s_mov_b32 s37, exec_lo
                                        ; implicit-def: $sgpr35
	v_cmpx_eq_u16_e32 0x80, v2
; %bb.2108:                             ;   in Loop: Header=BB6_144 Depth=3
	s_mov_b32 s35, 0x7f800001
	s_xor_b32 s13, exec_lo, -1
; %bb.2109:                             ;   in Loop: Header=BB6_144 Depth=3
	s_or_b32 exec_lo, exec_lo, s37
	s_delay_alu instid0(SALU_CYCLE_1)
	s_and_b32 s13, s13, exec_lo
	s_or_saveexec_b32 s36, s36
	v_mov_b32_e32 v8, s35
	s_xor_b32 exec_lo, exec_lo, s36
	s_cbranch_execz .LBB6_1415
.LBB6_2110:                             ;   in Loop: Header=BB6_144 Depth=3
	v_cmp_ne_u16_e32 vcc_lo, 0, v2
	v_mov_b32_e32 v8, 0
	s_and_not1_b32 s13, s13, exec_lo
	s_and_b32 vcc_lo, vcc_lo, exec_lo
	s_delay_alu instid0(SALU_CYCLE_1)
	s_or_b32 s13, s13, vcc_lo
	s_or_b32 exec_lo, exec_lo, s36
	s_and_saveexec_b32 s35, s13
	s_cbranch_execnz .LBB6_1416
	s_branch .LBB6_1417
.LBB6_2111:                             ;   in Loop: Header=BB6_144 Depth=3
	s_mov_b32 s13, -1
	s_mov_b32 s37, exec_lo
                                        ; implicit-def: $sgpr35
	v_cmpx_eq_u16_e32 0x80, v9
; %bb.2112:                             ;   in Loop: Header=BB6_144 Depth=3
	s_mov_b32 s35, 0x7f800001
	s_xor_b32 s13, exec_lo, -1
; %bb.2113:                             ;   in Loop: Header=BB6_144 Depth=3
	s_or_b32 exec_lo, exec_lo, s37
	s_delay_alu instid0(SALU_CYCLE_1)
	s_and_b32 s13, s13, exec_lo
                                        ; implicit-def: $vgpr9
	s_or_saveexec_b32 s36, s36
	v_mov_b32_e32 v8, s35
	s_xor_b32 exec_lo, exec_lo, s36
	s_cbranch_execz .LBB6_1427
.LBB6_2114:                             ;   in Loop: Header=BB6_144 Depth=3
	v_cmp_ne_u16_e32 vcc_lo, 0, v9
	v_mov_b32_e32 v8, 0
	s_and_not1_b32 s13, s13, exec_lo
	s_and_b32 vcc_lo, vcc_lo, exec_lo
	s_delay_alu instid0(SALU_CYCLE_1)
	s_or_b32 s13, s13, vcc_lo
	s_or_b32 exec_lo, exec_lo, s36
	s_and_saveexec_b32 s35, s13
	s_cbranch_execnz .LBB6_1428
	s_branch .LBB6_1429
.LBB6_2115:                             ;   in Loop: Header=BB6_144 Depth=3
	s_mov_b32 s13, -1
	s_mov_b32 s37, exec_lo
                                        ; implicit-def: $sgpr35
	v_cmpx_eq_u16_e32 0x80, v2
; %bb.2116:                             ;   in Loop: Header=BB6_144 Depth=3
	s_mov_b32 s35, 0x7f800001
	s_xor_b32 s13, exec_lo, -1
; %bb.2117:                             ;   in Loop: Header=BB6_144 Depth=3
	s_or_b32 exec_lo, exec_lo, s37
	s_delay_alu instid0(SALU_CYCLE_1)
	s_and_b32 s13, s13, exec_lo
	s_or_saveexec_b32 s36, s36
	v_mov_b32_e32 v8, s35
	s_xor_b32 exec_lo, exec_lo, s36
	s_cbranch_execz .LBB6_1439
.LBB6_2118:                             ;   in Loop: Header=BB6_144 Depth=3
	v_cmp_ne_u16_e32 vcc_lo, 0, v2
	v_mov_b32_e32 v8, 0
	s_and_not1_b32 s13, s13, exec_lo
	s_and_b32 vcc_lo, vcc_lo, exec_lo
	s_delay_alu instid0(SALU_CYCLE_1)
	s_or_b32 s13, s13, vcc_lo
	s_or_b32 exec_lo, exec_lo, s36
	s_and_saveexec_b32 s35, s13
	s_cbranch_execnz .LBB6_1440
	s_branch .LBB6_1441
.LBB6_2119:                             ;   in Loop: Header=BB6_144 Depth=3
	s_mov_b32 s35, -1
	s_mov_b32 s37, exec_lo
                                        ; implicit-def: $sgpr13
	v_cmpx_eq_u16_e32 0x80, v8
; %bb.2120:                             ;   in Loop: Header=BB6_144 Depth=3
	s_mov_b32 s13, 0x7f800001
	s_xor_b32 s35, exec_lo, -1
; %bb.2121:                             ;   in Loop: Header=BB6_144 Depth=3
	s_or_b32 exec_lo, exec_lo, s37
	s_delay_alu instid0(SALU_CYCLE_1)
	s_and_b32 s35, s35, exec_lo
                                        ; implicit-def: $vgpr8
	s_or_saveexec_b32 s36, s36
	v_mov_b32_e32 v2, s13
	s_xor_b32 exec_lo, exec_lo, s36
	s_cbranch_execz .LBB6_1451
.LBB6_2122:                             ;   in Loop: Header=BB6_144 Depth=3
	v_cmp_ne_u16_e32 vcc_lo, 0, v8
	v_mov_b32_e32 v2, 0
	s_and_not1_b32 s13, s35, exec_lo
	s_and_b32 vcc_lo, vcc_lo, exec_lo
	s_delay_alu instid0(SALU_CYCLE_1)
	s_or_b32 s35, s13, vcc_lo
	s_or_b32 exec_lo, exec_lo, s36
	s_and_saveexec_b32 s13, s35
	s_cbranch_execnz .LBB6_1452
	s_branch .LBB6_1453
.LBB6_2123:                             ;   in Loop: Header=BB6_144 Depth=3
	s_mov_b32 s35, -1
	s_mov_b32 s37, exec_lo
                                        ; implicit-def: $sgpr13
	v_cmpx_eq_u16_e32 0x80, v2
; %bb.2124:                             ;   in Loop: Header=BB6_144 Depth=3
	s_mov_b32 s13, 0x7f800001
	s_xor_b32 s35, exec_lo, -1
; %bb.2125:                             ;   in Loop: Header=BB6_144 Depth=3
	s_or_b32 exec_lo, exec_lo, s37
	s_delay_alu instid0(SALU_CYCLE_1)
	s_and_b32 s35, s35, exec_lo
	s_or_saveexec_b32 s36, s36
	v_mov_b32_e32 v8, s13
	s_xor_b32 exec_lo, exec_lo, s36
	s_cbranch_execz .LBB6_1463
.LBB6_2126:                             ;   in Loop: Header=BB6_144 Depth=3
	v_cmp_ne_u16_e32 vcc_lo, 0, v2
	v_mov_b32_e32 v8, 0
	s_and_not1_b32 s13, s35, exec_lo
	s_and_b32 vcc_lo, vcc_lo, exec_lo
	s_delay_alu instid0(SALU_CYCLE_1)
	s_or_b32 s35, s13, vcc_lo
	s_or_b32 exec_lo, exec_lo, s36
	s_and_saveexec_b32 s13, s35
	s_cbranch_execnz .LBB6_1464
	s_branch .LBB6_1465
.LBB6_2127:                             ;   in Loop: Header=BB6_144 Depth=3
	s_mov_b32 s13, -1
	s_mov_b32 s37, exec_lo
                                        ; implicit-def: $sgpr35
	v_cmpx_eq_u16_e32 0x80, v9
; %bb.2128:                             ;   in Loop: Header=BB6_144 Depth=3
	s_mov_b32 s35, 0x7f800001
	s_xor_b32 s13, exec_lo, -1
; %bb.2129:                             ;   in Loop: Header=BB6_144 Depth=3
	s_or_b32 exec_lo, exec_lo, s37
	s_delay_alu instid0(SALU_CYCLE_1)
	s_and_b32 s13, s13, exec_lo
                                        ; implicit-def: $vgpr9
	s_or_saveexec_b32 s36, s36
	v_mov_b32_e32 v8, s35
	s_xor_b32 exec_lo, exec_lo, s36
	s_cbranch_execz .LBB6_1475
.LBB6_2130:                             ;   in Loop: Header=BB6_144 Depth=3
	v_cmp_ne_u16_e32 vcc_lo, 0, v9
	v_mov_b32_e32 v8, 0
	s_and_not1_b32 s13, s13, exec_lo
	s_and_b32 vcc_lo, vcc_lo, exec_lo
	s_delay_alu instid0(SALU_CYCLE_1)
	s_or_b32 s13, s13, vcc_lo
	s_or_b32 exec_lo, exec_lo, s36
	s_and_saveexec_b32 s35, s13
	s_cbranch_execnz .LBB6_1476
	s_branch .LBB6_1477
.LBB6_2131:                             ;   in Loop: Header=BB6_144 Depth=3
	s_mov_b32 s13, -1
	s_mov_b32 s37, exec_lo
                                        ; implicit-def: $sgpr35
	v_cmpx_eq_u16_e32 0x80, v2
; %bb.2132:                             ;   in Loop: Header=BB6_144 Depth=3
	s_mov_b32 s35, 0x7f800001
	s_xor_b32 s13, exec_lo, -1
; %bb.2133:                             ;   in Loop: Header=BB6_144 Depth=3
	s_or_b32 exec_lo, exec_lo, s37
	s_delay_alu instid0(SALU_CYCLE_1)
	s_and_b32 s13, s13, exec_lo
	s_or_saveexec_b32 s36, s36
	v_mov_b32_e32 v8, s35
	s_xor_b32 exec_lo, exec_lo, s36
	s_cbranch_execz .LBB6_1487
.LBB6_2134:                             ;   in Loop: Header=BB6_144 Depth=3
	v_cmp_ne_u16_e32 vcc_lo, 0, v2
	v_mov_b32_e32 v8, 0
	s_and_not1_b32 s13, s13, exec_lo
	s_and_b32 vcc_lo, vcc_lo, exec_lo
	s_delay_alu instid0(SALU_CYCLE_1)
	s_or_b32 s13, s13, vcc_lo
	s_or_b32 exec_lo, exec_lo, s36
	s_and_saveexec_b32 s35, s13
	s_cbranch_execnz .LBB6_1488
	s_branch .LBB6_1489
.LBB6_2135:                             ;   in Loop: Header=BB6_144 Depth=3
	s_mov_b32 s35, -1
	s_mov_b32 s37, exec_lo
                                        ; implicit-def: $sgpr13
	v_cmpx_eq_u16_e32 0x80, v20
; %bb.2136:                             ;   in Loop: Header=BB6_144 Depth=3
	s_mov_b32 s13, 0x7f800001
	s_xor_b32 s35, exec_lo, -1
; %bb.2137:                             ;   in Loop: Header=BB6_144 Depth=3
	s_or_b32 exec_lo, exec_lo, s37
	s_delay_alu instid0(SALU_CYCLE_1)
	s_and_b32 s35, s35, exec_lo
                                        ; implicit-def: $vgpr20
	s_or_saveexec_b32 s36, s36
	v_mov_b32_e32 v2, s13
	s_xor_b32 exec_lo, exec_lo, s36
	s_cbranch_execz .LBB6_1499
.LBB6_2138:                             ;   in Loop: Header=BB6_144 Depth=3
	v_cmp_ne_u16_e32 vcc_lo, 0, v20
	v_mov_b32_e32 v2, 0
	s_and_not1_b32 s13, s35, exec_lo
	s_and_b32 vcc_lo, vcc_lo, exec_lo
	s_delay_alu instid0(SALU_CYCLE_1)
	s_or_b32 s35, s13, vcc_lo
	s_or_b32 exec_lo, exec_lo, s36
	s_and_saveexec_b32 s13, s35
	s_cbranch_execnz .LBB6_1500
	s_branch .LBB6_1501
.LBB6_2139:                             ;   in Loop: Header=BB6_144 Depth=3
	s_mov_b32 s35, -1
	s_mov_b32 s37, exec_lo
                                        ; implicit-def: $sgpr13
	v_cmpx_eq_u16_e32 0x80, v2
; %bb.2140:                             ;   in Loop: Header=BB6_144 Depth=3
	s_mov_b32 s13, 0x7f800001
	s_xor_b32 s35, exec_lo, -1
; %bb.2141:                             ;   in Loop: Header=BB6_144 Depth=3
	s_or_b32 exec_lo, exec_lo, s37
	s_delay_alu instid0(SALU_CYCLE_1)
	s_and_b32 s35, s35, exec_lo
	s_or_saveexec_b32 s36, s36
	v_mov_b32_e32 v21, s13
	s_xor_b32 exec_lo, exec_lo, s36
	s_cbranch_execz .LBB6_1511
.LBB6_2142:                             ;   in Loop: Header=BB6_144 Depth=3
	v_cmp_ne_u16_e32 vcc_lo, 0, v2
	v_mov_b32_e32 v21, 0
	s_and_not1_b32 s13, s35, exec_lo
	s_and_b32 vcc_lo, vcc_lo, exec_lo
	s_delay_alu instid0(SALU_CYCLE_1)
	s_or_b32 s35, s13, vcc_lo
	s_or_b32 exec_lo, exec_lo, s36
	s_and_saveexec_b32 s13, s35
	s_cbranch_execnz .LBB6_1512
	s_branch .LBB6_1513
.LBB6_2143:                             ;   in Loop: Header=BB6_144 Depth=3
	s_mov_b32 s13, -1
	s_mov_b32 s37, exec_lo
                                        ; implicit-def: $sgpr35
	v_cmpx_eq_u16_e32 0x80, v54
; %bb.2144:                             ;   in Loop: Header=BB6_144 Depth=3
	s_mov_b32 s35, 0x7f800001
	s_xor_b32 s13, exec_lo, -1
; %bb.2145:                             ;   in Loop: Header=BB6_144 Depth=3
	s_or_b32 exec_lo, exec_lo, s37
	s_delay_alu instid0(SALU_CYCLE_1)
	s_and_b32 s13, s13, exec_lo
                                        ; implicit-def: $vgpr54
	s_or_saveexec_b32 s36, s36
	v_mov_b32_e32 v49, s35
	s_xor_b32 exec_lo, exec_lo, s36
	s_cbranch_execz .LBB6_1523
.LBB6_2146:                             ;   in Loop: Header=BB6_144 Depth=3
	v_cmp_ne_u16_e32 vcc_lo, 0, v54
	v_mov_b32_e32 v49, 0
	s_and_not1_b32 s13, s13, exec_lo
	s_and_b32 vcc_lo, vcc_lo, exec_lo
	s_delay_alu instid0(SALU_CYCLE_1)
	s_or_b32 s13, s13, vcc_lo
	s_or_b32 exec_lo, exec_lo, s36
	s_and_saveexec_b32 s35, s13
	s_cbranch_execnz .LBB6_1524
	s_branch .LBB6_1525
.LBB6_2147:                             ;   in Loop: Header=BB6_144 Depth=3
	s_mov_b32 s13, -1
	s_mov_b32 s37, exec_lo
                                        ; implicit-def: $sgpr35
	v_cmpx_eq_u16_e32 0x80, v2
; %bb.2148:                             ;   in Loop: Header=BB6_144 Depth=3
	s_mov_b32 s35, 0x7f800001
	s_xor_b32 s13, exec_lo, -1
; %bb.2149:                             ;   in Loop: Header=BB6_144 Depth=3
	s_or_b32 exec_lo, exec_lo, s37
	s_delay_alu instid0(SALU_CYCLE_1)
	s_and_b32 s13, s13, exec_lo
	s_or_saveexec_b32 s36, s36
	v_mov_b32_e32 v49, s35
	s_xor_b32 exec_lo, exec_lo, s36
	s_cbranch_execz .LBB6_1535
.LBB6_2150:                             ;   in Loop: Header=BB6_144 Depth=3
	v_cmp_ne_u16_e32 vcc_lo, 0, v2
	v_mov_b32_e32 v49, 0
	s_and_not1_b32 s13, s13, exec_lo
	s_and_b32 vcc_lo, vcc_lo, exec_lo
	s_delay_alu instid0(SALU_CYCLE_1)
	s_or_b32 s13, s13, vcc_lo
	s_or_b32 exec_lo, exec_lo, s36
	s_and_saveexec_b32 s35, s13
	s_cbranch_execnz .LBB6_1536
	s_branch .LBB6_1537
.LBB6_2151:                             ;   in Loop: Header=BB6_144 Depth=3
	s_mov_b32 s35, -1
	s_mov_b32 s37, exec_lo
                                        ; implicit-def: $sgpr13
	v_cmpx_eq_u16_e32 0x80, v49
; %bb.2152:                             ;   in Loop: Header=BB6_144 Depth=3
	s_mov_b32 s13, 0x7f800001
	s_xor_b32 s35, exec_lo, -1
; %bb.2153:                             ;   in Loop: Header=BB6_144 Depth=3
	s_or_b32 exec_lo, exec_lo, s37
	s_delay_alu instid0(SALU_CYCLE_1)
	s_and_b32 s35, s35, exec_lo
                                        ; implicit-def: $vgpr49
	s_or_saveexec_b32 s36, s36
	v_mov_b32_e32 v2, s13
	s_xor_b32 exec_lo, exec_lo, s36
	s_cbranch_execz .LBB6_1547
.LBB6_2154:                             ;   in Loop: Header=BB6_144 Depth=3
	v_cmp_ne_u16_e32 vcc_lo, 0, v49
	v_mov_b32_e32 v2, 0
	s_and_not1_b32 s13, s35, exec_lo
	s_and_b32 vcc_lo, vcc_lo, exec_lo
	s_delay_alu instid0(SALU_CYCLE_1)
	s_or_b32 s35, s13, vcc_lo
	s_or_b32 exec_lo, exec_lo, s36
	s_and_saveexec_b32 s13, s35
	s_cbranch_execnz .LBB6_1548
	s_branch .LBB6_1549
.LBB6_2155:                             ;   in Loop: Header=BB6_144 Depth=3
	s_mov_b32 s35, -1
	s_mov_b32 s37, exec_lo
                                        ; implicit-def: $sgpr13
	v_cmpx_eq_u16_e32 0x80, v2
; %bb.2156:                             ;   in Loop: Header=BB6_144 Depth=3
	s_mov_b32 s13, 0x7f800001
	s_xor_b32 s35, exec_lo, -1
; %bb.2157:                             ;   in Loop: Header=BB6_144 Depth=3
	s_or_b32 exec_lo, exec_lo, s37
	s_delay_alu instid0(SALU_CYCLE_1)
	s_and_b32 s35, s35, exec_lo
	s_or_saveexec_b32 s36, s36
	v_mov_b32_e32 v49, s13
	s_xor_b32 exec_lo, exec_lo, s36
	s_cbranch_execz .LBB6_1559
.LBB6_2158:                             ;   in Loop: Header=BB6_144 Depth=3
	v_cmp_ne_u16_e32 vcc_lo, 0, v2
	v_mov_b32_e32 v49, 0
	s_and_not1_b32 s13, s35, exec_lo
	s_and_b32 vcc_lo, vcc_lo, exec_lo
	s_delay_alu instid0(SALU_CYCLE_1)
	s_or_b32 s35, s13, vcc_lo
	s_or_b32 exec_lo, exec_lo, s36
	s_and_saveexec_b32 s13, s35
	s_cbranch_execnz .LBB6_1560
	s_branch .LBB6_1561
.LBB6_2159:                             ;   in Loop: Header=BB6_144 Depth=3
	s_mov_b32 s13, -1
	s_mov_b32 s37, exec_lo
                                        ; implicit-def: $sgpr35
	v_cmpx_eq_u16_e32 0x80, v54
; %bb.2160:                             ;   in Loop: Header=BB6_144 Depth=3
	s_mov_b32 s35, 0x7f800001
	s_xor_b32 s13, exec_lo, -1
; %bb.2161:                             ;   in Loop: Header=BB6_144 Depth=3
	s_or_b32 exec_lo, exec_lo, s37
	s_delay_alu instid0(SALU_CYCLE_1)
	s_and_b32 s13, s13, exec_lo
                                        ; implicit-def: $vgpr54
	s_or_saveexec_b32 s36, s36
	v_mov_b32_e32 v49, s35
	s_xor_b32 exec_lo, exec_lo, s36
	s_cbranch_execz .LBB6_1571
.LBB6_2162:                             ;   in Loop: Header=BB6_144 Depth=3
	v_cmp_ne_u16_e32 vcc_lo, 0, v54
	v_mov_b32_e32 v49, 0
	s_and_not1_b32 s13, s13, exec_lo
	s_and_b32 vcc_lo, vcc_lo, exec_lo
	s_delay_alu instid0(SALU_CYCLE_1)
	s_or_b32 s13, s13, vcc_lo
	s_or_b32 exec_lo, exec_lo, s36
	s_and_saveexec_b32 s35, s13
	s_cbranch_execnz .LBB6_1572
	s_branch .LBB6_1573
.LBB6_2163:                             ;   in Loop: Header=BB6_144 Depth=3
	s_mov_b32 s13, -1
	s_mov_b32 s37, exec_lo
                                        ; implicit-def: $sgpr35
	v_cmpx_eq_u16_e32 0x80, v2
; %bb.2164:                             ;   in Loop: Header=BB6_144 Depth=3
	s_mov_b32 s35, 0x7f800001
	s_xor_b32 s13, exec_lo, -1
; %bb.2165:                             ;   in Loop: Header=BB6_144 Depth=3
	s_or_b32 exec_lo, exec_lo, s37
	s_delay_alu instid0(SALU_CYCLE_1)
	s_and_b32 s13, s13, exec_lo
	s_or_saveexec_b32 s36, s36
	v_mov_b32_e32 v49, s35
	s_xor_b32 exec_lo, exec_lo, s36
	s_cbranch_execz .LBB6_1583
.LBB6_2166:                             ;   in Loop: Header=BB6_144 Depth=3
	v_cmp_ne_u16_e32 vcc_lo, 0, v2
	v_mov_b32_e32 v49, 0
	s_and_not1_b32 s13, s13, exec_lo
	s_and_b32 vcc_lo, vcc_lo, exec_lo
	s_delay_alu instid0(SALU_CYCLE_1)
	s_or_b32 s13, s13, vcc_lo
	s_or_b32 exec_lo, exec_lo, s36
	s_and_saveexec_b32 s35, s13
	s_cbranch_execnz .LBB6_1584
	s_branch .LBB6_1585
.LBB6_2167:                             ;   in Loop: Header=BB6_144 Depth=3
	s_mov_b32 s35, -1
	s_mov_b32 s37, exec_lo
                                        ; implicit-def: $sgpr13
	v_cmpx_eq_u16_e32 0x80, v49
; %bb.2168:                             ;   in Loop: Header=BB6_144 Depth=3
	s_mov_b32 s13, 0x7f800001
	s_xor_b32 s35, exec_lo, -1
; %bb.2169:                             ;   in Loop: Header=BB6_144 Depth=3
	s_or_b32 exec_lo, exec_lo, s37
	s_delay_alu instid0(SALU_CYCLE_1)
	s_and_b32 s35, s35, exec_lo
                                        ; implicit-def: $vgpr49
	s_or_saveexec_b32 s36, s36
	v_mov_b32_e32 v2, s13
	s_xor_b32 exec_lo, exec_lo, s36
	s_cbranch_execz .LBB6_1595
.LBB6_2170:                             ;   in Loop: Header=BB6_144 Depth=3
	v_cmp_ne_u16_e32 vcc_lo, 0, v49
	v_mov_b32_e32 v2, 0
	s_and_not1_b32 s13, s35, exec_lo
	s_and_b32 vcc_lo, vcc_lo, exec_lo
	s_delay_alu instid0(SALU_CYCLE_1)
	s_or_b32 s35, s13, vcc_lo
	s_or_b32 exec_lo, exec_lo, s36
	s_and_saveexec_b32 s13, s35
	s_cbranch_execnz .LBB6_1596
	s_branch .LBB6_1597
.LBB6_2171:                             ;   in Loop: Header=BB6_144 Depth=3
	s_mov_b32 s35, -1
	s_mov_b32 s37, exec_lo
                                        ; implicit-def: $sgpr13
	v_cmpx_eq_u16_e32 0x80, v2
; %bb.2172:                             ;   in Loop: Header=BB6_144 Depth=3
	s_mov_b32 s13, 0x7f800001
	s_xor_b32 s35, exec_lo, -1
; %bb.2173:                             ;   in Loop: Header=BB6_144 Depth=3
	s_or_b32 exec_lo, exec_lo, s37
	s_delay_alu instid0(SALU_CYCLE_1)
	s_and_b32 s35, s35, exec_lo
	s_or_saveexec_b32 s36, s36
	v_mov_b32_e32 v49, s13
	s_xor_b32 exec_lo, exec_lo, s36
	s_cbranch_execz .LBB6_1607
.LBB6_2174:                             ;   in Loop: Header=BB6_144 Depth=3
	v_cmp_ne_u16_e32 vcc_lo, 0, v2
	v_mov_b32_e32 v49, 0
	s_and_not1_b32 s13, s35, exec_lo
	s_and_b32 vcc_lo, vcc_lo, exec_lo
	s_delay_alu instid0(SALU_CYCLE_1)
	s_or_b32 s35, s13, vcc_lo
	s_or_b32 exec_lo, exec_lo, s36
	s_and_saveexec_b32 s13, s35
	s_cbranch_execnz .LBB6_1608
	s_branch .LBB6_1609
.LBB6_2175:                             ;   in Loop: Header=BB6_144 Depth=3
	s_mov_b32 s13, -1
	s_mov_b32 s37, exec_lo
                                        ; implicit-def: $sgpr35
	v_cmpx_eq_u16_e32 0x80, v54
; %bb.2176:                             ;   in Loop: Header=BB6_144 Depth=3
	s_mov_b32 s35, 0x7f800001
	s_xor_b32 s13, exec_lo, -1
; %bb.2177:                             ;   in Loop: Header=BB6_144 Depth=3
	s_or_b32 exec_lo, exec_lo, s37
	s_delay_alu instid0(SALU_CYCLE_1)
	s_and_b32 s13, s13, exec_lo
                                        ; implicit-def: $vgpr54
	s_or_saveexec_b32 s36, s36
	v_mov_b32_e32 v49, s35
	s_xor_b32 exec_lo, exec_lo, s36
	s_cbranch_execz .LBB6_1619
.LBB6_2178:                             ;   in Loop: Header=BB6_144 Depth=3
	v_cmp_ne_u16_e32 vcc_lo, 0, v54
	v_mov_b32_e32 v49, 0
	s_and_not1_b32 s13, s13, exec_lo
	s_and_b32 vcc_lo, vcc_lo, exec_lo
	s_delay_alu instid0(SALU_CYCLE_1)
	s_or_b32 s13, s13, vcc_lo
	s_or_b32 exec_lo, exec_lo, s36
	s_and_saveexec_b32 s35, s13
	s_cbranch_execnz .LBB6_1620
	s_branch .LBB6_1621
.LBB6_2179:                             ;   in Loop: Header=BB6_144 Depth=3
	s_mov_b32 s13, -1
	s_mov_b32 s37, exec_lo
                                        ; implicit-def: $sgpr35
	v_cmpx_eq_u16_e32 0x80, v2
; %bb.2180:                             ;   in Loop: Header=BB6_144 Depth=3
	s_mov_b32 s35, 0x7f800001
	s_xor_b32 s13, exec_lo, -1
; %bb.2181:                             ;   in Loop: Header=BB6_144 Depth=3
	s_or_b32 exec_lo, exec_lo, s37
	s_delay_alu instid0(SALU_CYCLE_1)
	s_and_b32 s13, s13, exec_lo
	s_or_saveexec_b32 s36, s36
	v_mov_b32_e32 v54, s35
	s_xor_b32 exec_lo, exec_lo, s36
	s_cbranch_execz .LBB6_1631
.LBB6_2182:                             ;   in Loop: Header=BB6_144 Depth=3
	v_cmp_ne_u16_e32 vcc_lo, 0, v2
	v_mov_b32_e32 v54, 0
	s_and_not1_b32 s13, s13, exec_lo
	s_and_b32 vcc_lo, vcc_lo, exec_lo
	s_delay_alu instid0(SALU_CYCLE_1)
	s_or_b32 s13, s13, vcc_lo
	s_or_b32 exec_lo, exec_lo, s36
	s_and_saveexec_b32 s35, s13
	s_cbranch_execnz .LBB6_1632
	s_branch .LBB6_1633
.LBB6_2183:                             ;   in Loop: Header=BB6_144 Depth=3
	s_mov_b32 s35, -1
	s_mov_b32 s37, exec_lo
                                        ; implicit-def: $sgpr13
	v_cmpx_eq_u16_e32 0x80, v54
; %bb.2184:                             ;   in Loop: Header=BB6_144 Depth=3
	s_mov_b32 s13, 0x7f800001
	s_xor_b32 s35, exec_lo, -1
; %bb.2185:                             ;   in Loop: Header=BB6_144 Depth=3
	s_or_b32 exec_lo, exec_lo, s37
	s_delay_alu instid0(SALU_CYCLE_1)
	s_and_b32 s35, s35, exec_lo
                                        ; implicit-def: $vgpr54
	s_or_saveexec_b32 s36, s36
	v_mov_b32_e32 v2, s13
	s_xor_b32 exec_lo, exec_lo, s36
	s_cbranch_execz .LBB6_1643
.LBB6_2186:                             ;   in Loop: Header=BB6_144 Depth=3
	v_cmp_ne_u16_e32 vcc_lo, 0, v54
	v_mov_b32_e32 v2, 0
	s_and_not1_b32 s13, s35, exec_lo
	s_and_b32 vcc_lo, vcc_lo, exec_lo
	s_delay_alu instid0(SALU_CYCLE_1)
	s_or_b32 s35, s13, vcc_lo
	s_or_b32 exec_lo, exec_lo, s36
	s_and_saveexec_b32 s13, s35
	s_cbranch_execnz .LBB6_1644
	s_branch .LBB6_1645
.LBB6_2187:                             ;   in Loop: Header=BB6_144 Depth=3
	s_mov_b32 s35, -1
	s_mov_b32 s37, exec_lo
                                        ; implicit-def: $sgpr13
	v_cmpx_eq_u16_e32 0x80, v54
; %bb.2188:                             ;   in Loop: Header=BB6_144 Depth=3
	s_mov_b32 s13, 0x7f800001
	s_xor_b32 s35, exec_lo, -1
; %bb.2189:                             ;   in Loop: Header=BB6_144 Depth=3
	s_or_b32 exec_lo, exec_lo, s37
	s_delay_alu instid0(SALU_CYCLE_1)
	s_and_b32 s35, s35, exec_lo
	s_or_saveexec_b32 s36, s36
	v_mov_b32_e32 v55, s13
	s_xor_b32 exec_lo, exec_lo, s36
	s_cbranch_execz .LBB6_1655
.LBB6_2190:                             ;   in Loop: Header=BB6_144 Depth=3
	v_cmp_ne_u16_e32 vcc_lo, 0, v54
	v_mov_b32_e32 v55, 0
	s_and_not1_b32 s13, s35, exec_lo
	s_and_b32 vcc_lo, vcc_lo, exec_lo
	s_delay_alu instid0(SALU_CYCLE_1)
	s_or_b32 s35, s13, vcc_lo
	s_or_b32 exec_lo, exec_lo, s36
	s_and_saveexec_b32 s13, s35
	s_cbranch_execnz .LBB6_1656
	s_branch .LBB6_1657
.LBB6_2191:                             ;   in Loop: Header=BB6_144 Depth=3
	s_mov_b32 s13, -1
	s_mov_b32 s37, exec_lo
                                        ; implicit-def: $sgpr35
	v_cmpx_eq_u16_e32 0x80, v119
; %bb.2192:                             ;   in Loop: Header=BB6_144 Depth=3
	s_mov_b32 s35, 0x7f800001
	s_xor_b32 s13, exec_lo, -1
; %bb.2193:                             ;   in Loop: Header=BB6_144 Depth=3
	s_or_b32 exec_lo, exec_lo, s37
	s_delay_alu instid0(SALU_CYCLE_1)
	s_and_b32 s13, s13, exec_lo
                                        ; implicit-def: $vgpr119
	s_or_saveexec_b32 s36, s36
	v_mov_b32_e32 v130, s35
	s_xor_b32 exec_lo, exec_lo, s36
	s_cbranch_execz .LBB6_1667
.LBB6_2194:                             ;   in Loop: Header=BB6_144 Depth=3
	v_cmp_ne_u16_e32 vcc_lo, 0, v119
	v_mov_b32_e32 v130, 0
	s_and_not1_b32 s13, s13, exec_lo
	s_and_b32 vcc_lo, vcc_lo, exec_lo
	s_delay_alu instid0(SALU_CYCLE_1)
	s_or_b32 s13, s13, vcc_lo
	s_or_b32 exec_lo, exec_lo, s36
	s_and_saveexec_b32 s35, s13
	s_cbranch_execnz .LBB6_1668
	s_branch .LBB6_1669
.LBB6_2195:                             ;   in Loop: Header=BB6_144 Depth=3
	s_mov_b32 s13, -1
	s_mov_b32 s37, exec_lo
                                        ; implicit-def: $sgpr35
	v_cmpx_eq_u16_e64 0x80, v130
; %bb.2196:                             ;   in Loop: Header=BB6_144 Depth=3
	s_mov_b32 s35, 0x7f800001
	s_xor_b32 s13, exec_lo, -1
; %bb.2197:                             ;   in Loop: Header=BB6_144 Depth=3
	s_or_b32 exec_lo, exec_lo, s37
	s_delay_alu instid0(SALU_CYCLE_1)
	s_and_b32 s13, s13, exec_lo
	s_or_saveexec_b32 s36, s36
	v_mov_b32_e32 v119, s35
	s_xor_b32 exec_lo, exec_lo, s36
	s_cbranch_execz .LBB6_1679
.LBB6_2198:                             ;   in Loop: Header=BB6_144 Depth=3
	v_cmp_ne_u16_e64 vcc_lo, 0, v130
	v_mov_b32_e32 v119, 0
	s_and_not1_b32 s13, s13, exec_lo
	s_delay_alu instid0(VALU_DEP_2) | instskip(NEXT) | instid1(SALU_CYCLE_1)
	s_and_b32 vcc_lo, vcc_lo, exec_lo
	s_or_b32 s13, s13, vcc_lo
	s_or_b32 exec_lo, exec_lo, s36
	s_and_saveexec_b32 s35, s13
	s_cbranch_execnz .LBB6_1680
	s_branch .LBB6_1681
.LBB6_2199:                             ;   in Loop: Header=BB6_59 Depth=2
	s_or_b32 exec_lo, exec_lo, s30
.LBB6_2200:                             ;   in Loop: Header=BB6_59 Depth=2
	s_delay_alu instid0(SALU_CYCLE_1)
	s_or_b32 exec_lo, exec_lo, s14
	scratch_load_b32 v2, off, s33 offset:648 ; 4-byte Folded Reload
	s_mov_b32 s13, 0
	s_mov_b32 s30, exec_lo
                                        ; implicit-def: $vgpr19
                                        ; implicit-def: $vgpr20
                                        ; implicit-def: $vgpr10
	s_waitcnt vmcnt(0)
	v_dual_mov_b32 v18, 0 :: v_dual_lshlrev_b32 v21, 12, v2
	scratch_load_b32 v2, off, s33 offset:644 ; 4-byte Folded Reload
	s_waitcnt vmcnt(0)
	v_cmpx_ne_u32_e64 v2, v21
	s_cbranch_execz .LBB6_2474
; %bb.2201:                             ;   in Loop: Header=BB6_59 Depth=2
	s_clause 0x2
	scratch_load_b32 v2, off, s33 offset:412
	scratch_load_b32 v8, off, s33 offset:516
	;; [unrolled: 1-line block ×3, first 2 shown]
	s_mov_b32 s31, exec_lo
	s_waitcnt vmcnt(2)
	v_lshlrev_b32_e32 v2, 5, v2
	s_waitcnt vmcnt(0)
	v_sub_nc_u32_e32 v9, v9, v21
	s_delay_alu instid0(VALU_DEP_2) | instskip(NEXT) | instid1(VALU_DEP_2)
	v_sub_nc_u32_e32 v2, v8, v2
	v_ashrrev_i32_e32 v10, 31, v9
	s_delay_alu instid0(VALU_DEP_2) | instskip(NEXT) | instid1(VALU_DEP_2)
	v_ashrrev_i32_e32 v8, 31, v2
	v_lshrrev_b32_e32 v10, 23, v10
	s_delay_alu instid0(VALU_DEP_2) | instskip(NEXT) | instid1(VALU_DEP_2)
	v_lshrrev_b32_e32 v8, 27, v8
	v_add_nc_u32_e32 v10, v9, v10
	s_delay_alu instid0(VALU_DEP_2) | instskip(NEXT) | instid1(VALU_DEP_1)
	v_add_nc_u32_e32 v8, v2, v8
	v_and_b32_e32 v11, 0xffffffe0, v8
	s_delay_alu instid0(VALU_DEP_1) | instskip(NEXT) | instid1(VALU_DEP_4)
	v_sub_nc_u32_e32 v68, v2, v11
	v_and_b32_e32 v2, 0xfffffe00, v10
	v_ashrrev_i32_e32 v11, 5, v8
	v_ashrrev_i32_e32 v10, 9, v10
	s_delay_alu instid0(VALU_DEP_4) | instskip(NEXT) | instid1(VALU_DEP_4)
	v_lshlrev_b32_e32 v8, 4, v68
	v_sub_nc_u32_e32 v69, v9, v2
	s_delay_alu instid0(VALU_DEP_2) | instskip(NEXT) | instid1(VALU_DEP_2)
	v_lshl_add_u32 v8, v11, 9, v8
	v_cmp_lt_i32_e64 s13, 15, v69
	s_delay_alu instid0(VALU_DEP_2) | instskip(NEXT) | instid1(VALU_DEP_2)
	v_sub_nc_u32_e32 v20, v9, v8
	v_add_co_ci_u32_e64 v10, vcc_lo, 0, v10, s13
	s_delay_alu instid0(VALU_DEP_1) | instskip(NEXT) | instid1(VALU_DEP_3)
	v_sub_nc_u32_e32 v70, v10, v11
	v_cmpx_lt_i32_e32 15, v20
	s_cbranch_execz .LBB6_2471
; %bb.2202:                             ;   in Loop: Header=BB6_59 Depth=2
	s_cbranch_execz .LBB6_2203
; %bb.18561:
	s_getpc_b64 s[48:49]
.Lpost_getpc307:
	s_add_u32 s48, s48, (.LBB6_18153-.Lpost_getpc307)&4294967295
	s_addc_u32 s49, s49, (.LBB6_18153-.Lpost_getpc307)>>32
	s_setpc_b64 s[48:49]
.LBB6_2203:                             ;   in Loop: Header=BB6_59 Depth=2
	ds_load_b64 v[16:17], v0
	v_add_nc_u32_e32 v71, v8, v21
	s_delay_alu instid0(VALU_DEP_1) | instskip(SKIP_3) | instid1(VALU_DEP_2)
	v_ashrrev_i32_e32 v80, 31, v71
	s_waitcnt lgkmcnt(0)
	v_readfirstlane_b32 s14, v16
	v_and_b32_e32 v81, 0xff, v16
	s_and_b32 vcc_lo, s14, 3
	s_bfe_u32 s36, s14, 0x50002
	s_clz_i32_u32 s34, vcc_lo
	s_delay_alu instid0(SALU_CYCLE_1) | instskip(NEXT) | instid1(SALU_CYCLE_1)
	s_min_u32 s34, s34, 32
	s_sub_i32 s35, s34, 29
	s_sub_i32 s34, 30, s34
	s_lshl_b32 s35, s14, s35
	s_delay_alu instid0(SALU_CYCLE_1)
	s_and_b32 s35, s35, 3
	s_cmp_eq_u32 s36, 0
	s_cselect_b32 s34, s34, s36
	s_cselect_b32 vcc_lo, s35, vcc_lo
	s_lshl_b32 s14, s14, 24
	s_lshl_b32 s34, s34, 23
	s_and_b32 s14, s14, 0x80000000
	s_add_i32 s34, s34, 0x37800000
	s_lshl_b32 vcc_lo, vcc_lo, 21
	s_or_b32 s14, s14, s34
	s_mov_b32 s34, 0
	s_or_b32 s35, s14, vcc_lo
	s_branch .LBB6_2207
.LBB6_2204:                             ;   in Loop: Header=BB6_2207 Depth=3
	s_or_b32 exec_lo, exec_lo, s14
	s_delay_alu instid0(VALU_DEP_1) | instskip(NEXT) | instid1(VALU_DEP_2)
	v_lshrrev_b32_e32 v50, 21, v53
	v_min_i32_e32 v51, 31, v52
	v_cmp_gt_i32_e32 vcc_lo, 32, v52
	v_lshrrev_b32_e32 v11, 24, v11
	s_delay_alu instid0(VALU_DEP_3) | instskip(NEXT) | instid1(VALU_DEP_2)
	v_dual_cndmask_b32 v50, 3, v50 :: v_dual_lshlrev_b32 v51, 2, v51
	v_and_b32_e32 v11, 0x80, v11
	s_delay_alu instid0(VALU_DEP_2) | instskip(NEXT) | instid1(VALU_DEP_3)
	v_and_b32_e32 v51, 0xfc, v51
	v_and_b32_e32 v53, 3, v50
	v_or_b32_e32 v50, v52, v50
	s_delay_alu instid0(VALU_DEP_2) | instskip(NEXT) | instid1(VALU_DEP_2)
	v_or3_b32 v11, v11, v51, v53
	v_cmp_ne_u32_e32 vcc_lo, 0, v50
	s_delay_alu instid0(VALU_DEP_2) | instskip(NEXT) | instid1(VALU_DEP_1)
	v_lshlrev_b32_e32 v11, 8, v11
	v_cndmask_b32_e32 v52, 0, v11, vcc_lo
.LBB6_2205:                             ;   in Loop: Header=BB6_2207 Depth=3
	s_or_b32 exec_lo, exec_lo, s37
.LBB6_2206:                             ;   in Loop: Header=BB6_2207 Depth=3
	s_delay_alu instid0(SALU_CYCLE_1)
	s_or_b32 exec_lo, exec_lo, s36
	v_or_b32_e32 v9, v9, v26
	v_and_b32_e32 v11, 0xff, v84
	v_lshlrev_b32_e32 v26, 8, v83
	v_and_b32_e32 v38, 0xff, v38
	v_lshlrev_b32_e32 v37, 8, v37
	v_lshlrev_b32_e32 v9, 16, v9
	v_or_b32_e32 v49, v52, v49
	v_lshlrev_b32_e32 v8, 24, v8
	v_lshlrev_b32_e32 v11, 16, v11
	v_perm_b32 v26, v26, v82, 0xc0c0500
	v_or3_b32 v9, v36, v13, v9
	scratch_load_b32 v13, off, s33 offset:500 ; 4-byte Folded Reload
	v_lshlrev_b32_e32 v10, 24, v10
	v_lshlrev_b32_e32 v38, 16, v38
	v_perm_b32 v27, v37, v27, 0xc0c0500
	v_lshlrev_b32_e32 v37, 16, v49
	v_or3_b32 v8, v8, v11, v26
	s_delay_alu instid0(VALU_DEP_3) | instskip(NEXT) | instid1(VALU_DEP_3)
	v_or3_b32 v10, v10, v38, v27
	v_or3_b32 v11, v48, v39, v37
	global_store_b128 v[18:19], v[8:11], off glc slc dlc
	s_waitcnt vmcnt(0)
	v_sub_nc_u32_e32 v20, v20, v13
	v_lshrrev_b32_e32 v13, 5, v1
	s_delay_alu instid0(VALU_DEP_2) | instskip(NEXT) | instid1(VALU_DEP_2)
	v_cmp_gt_i32_e32 vcc_lo, 16, v20
	v_sub_nc_u32_e32 v70, v70, v13
	scratch_load_b32 v13, off, s33 offset:504 ; 4-byte Folded Reload
	s_or_b32 s34, vcc_lo, s34
	s_waitcnt vmcnt(0)
	v_add_co_u32 v71, s14, v71, v13
	scratch_load_b32 v13, off, s33 offset:508 ; 4-byte Folded Reload
	s_waitcnt vmcnt(0)
	v_add_co_ci_u32_e64 v80, s14, v80, v13, s14
	s_and_not1_b32 exec_lo, exec_lo, s34
	s_cbranch_execz .LBB6_2470
.LBB6_2207:                             ;   Parent Loop BB6_51 Depth=1
                                        ;     Parent Loop BB6_59 Depth=2
                                        ; =>    This Inner Loop Header: Depth=3
	v_cmp_gt_i16_e32 vcc_lo, 0x80, v81
	s_cbranch_vccnz .LBB6_2211
; %bb.2208:                             ;   in Loop: Header=BB6_2207 Depth=3
	v_cmp_eq_u16_e32 vcc_lo, 0x80, v81
	s_mov_b32 s14, -1
                                        ; implicit-def: $sgpr36
	s_cbranch_vccz .LBB6_2210
; %bb.2209:                             ;   in Loop: Header=BB6_2207 Depth=3
	s_mov_b32 s14, 0
	s_mov_b32 s36, 0x7f800001
.LBB6_2210:                             ;   in Loop: Header=BB6_2207 Depth=3
	s_mov_b32 vcc_lo, 0
	s_branch .LBB6_2212
.LBB6_2211:                             ;   in Loop: Header=BB6_2207 Depth=3
	s_mov_b32 vcc_lo, -1
	s_mov_b32 s14, 0
                                        ; implicit-def: $sgpr36
.LBB6_2212:                             ;   in Loop: Header=BB6_2207 Depth=3
	s_and_b32 vcc_lo, exec_lo, vcc_lo
	s_cbranch_vccz .LBB6_2214
; %bb.2213:                             ;   in Loop: Header=BB6_2207 Depth=3
	v_cmp_ne_u16_e64 s14, 0, v81
	s_mov_b32 s36, 0
.LBB6_2214:                             ;   in Loop: Header=BB6_2207 Depth=3
	s_delay_alu instid0(VALU_DEP_1)
	s_and_not1_b32 vcc_lo, exec_lo, s14
	s_cbranch_vccnz .LBB6_2216
; %bb.2215:                             ;   in Loop: Header=BB6_2207 Depth=3
	s_mov_b32 s36, s35
.LBB6_2216:                             ;   in Loop: Header=BB6_2207 Depth=3
	v_add_co_u32 v18, vcc_lo, v16, v71
	v_add_co_ci_u32_e32 v19, vcc_lo, v17, v80, vcc_lo
	s_mov_b32 s14, 0
	s_mov_b32 s38, exec_lo
                                        ; implicit-def: $sgpr37
	global_load_b128 v[8:11], v[18:19], off slc dlc
	s_waitcnt vmcnt(0)
	v_and_b32_e32 v26, 0xff, v8
	s_delay_alu instid0(VALU_DEP_1)
	v_cmpx_lt_i16_e32 0x7f, v26
	s_xor_b32 s38, exec_lo, s38
	s_cbranch_execnz .LBB6_2406
; %bb.2217:                             ;   in Loop: Header=BB6_2207 Depth=3
	s_or_saveexec_b32 s38, s38
	v_mov_b32_e32 v13, s37
	s_xor_b32 exec_lo, exec_lo, s38
	s_cbranch_execnz .LBB6_2409
.LBB6_2218:                             ;   in Loop: Header=BB6_2207 Depth=3
	s_or_b32 exec_lo, exec_lo, s38
	s_and_saveexec_b32 s37, s14
	s_cbranch_execz .LBB6_2220
.LBB6_2219:                             ;   in Loop: Header=BB6_2207 Depth=3
	v_bfe_u32 v36, v8, 2, 5
	v_lshlrev_b32_e32 v37, 24, v8
	s_delay_alu instid0(VALU_DEP_2) | instskip(SKIP_1) | instid1(VALU_DEP_1)
	v_cmp_eq_u32_e32 vcc_lo, 0, v36
	v_and_b32_e32 v13, 3, v8
	v_clz_i32_u32_e32 v26, v13
	s_delay_alu instid0(VALU_DEP_1) | instskip(NEXT) | instid1(VALU_DEP_1)
	v_min_u32_e32 v26, 32, v26
	v_subrev_nc_u32_e32 v27, 29, v26
	v_sub_nc_u32_e32 v26, 30, v26
	s_delay_alu instid0(VALU_DEP_1) | instskip(NEXT) | instid1(VALU_DEP_1)
	v_dual_cndmask_b32 v26, v36, v26 :: v_dual_lshlrev_b32 v27, v27, v8
	v_and_b32_e32 v27, 3, v27
	s_delay_alu instid0(VALU_DEP_2) | instskip(NEXT) | instid1(VALU_DEP_2)
	v_lshl_add_u32 v26, v26, 23, 0x37800000
	v_cndmask_b32_e32 v13, v13, v27, vcc_lo
	v_and_b32_e32 v27, 0x80000000, v37
	s_delay_alu instid0(VALU_DEP_2) | instskip(NEXT) | instid1(VALU_DEP_1)
	v_lshlrev_b32_e32 v13, 21, v13
	v_or3_b32 v13, v27, v26, v13
.LBB6_2220:                             ;   in Loop: Header=BB6_2207 Depth=3
	s_or_b32 exec_lo, exec_lo, s37
	s_delay_alu instid0(VALU_DEP_1) | instskip(SKIP_1) | instid1(VALU_DEP_1)
	v_dual_mul_f32 v13, s36, v13 :: v_dual_mov_b32 v82, 0x80
	s_mov_b32 s37, exec_lo
	v_and_b32_e32 v26, 0x7f800000, v13
	s_delay_alu instid0(VALU_DEP_1)
	v_cmpx_ne_u32_e32 0x7f800000, v26
	s_cbranch_execz .LBB6_2228
; %bb.2221:                             ;   in Loop: Header=BB6_2207 Depth=3
	v_mov_b32_e32 v82, 0
	s_mov_b32 s38, exec_lo
	v_cmpx_ne_u32_e32 0, v13
	s_cbranch_execz .LBB6_2227
; %bb.2222:                             ;   in Loop: Header=BB6_2207 Depth=3
	v_bfe_u32 v26, v13, 23, 8
	s_delay_alu instid0(VALU_DEP_1) | instskip(SKIP_1) | instid1(VALU_DEP_2)
	v_sub_nc_u32_e32 v36, 0x70, v26
	v_cmp_gt_u32_e32 vcc_lo, 0x71, v26
	v_dual_cndmask_b32 v36, 0, v36 :: v_dual_and_b32 v27, 0x7fffff, v13
	s_delay_alu instid0(VALU_DEP_1) | instskip(SKIP_2) | instid1(VALU_DEP_4)
	v_or_b32_e32 v37, 0x800000, v27
	v_cmp_eq_u32_e32 vcc_lo, 0, v26
	v_add_nc_u32_e32 v26, 0xffffff91, v26
	v_cndmask_b32_e64 v36, v36, 0x6f, vcc_lo
	s_delay_alu instid0(VALU_DEP_4) | instskip(NEXT) | instid1(VALU_DEP_3)
	v_cndmask_b32_e32 v27, v37, v27, vcc_lo
	v_cndmask_b32_e64 v26, v26, 0xffffff92, vcc_lo
	s_delay_alu instid0(VALU_DEP_3) | instskip(NEXT) | instid1(VALU_DEP_3)
	v_lshl_add_u32 v37, 0x200000, v36, -1
	v_lshrrev_b32_e32 v38, v36, v27
	v_lshlrev_b32_e64 v48, v36, 0x100000
	s_delay_alu instid0(VALU_DEP_4) | instskip(NEXT) | instid1(VALU_DEP_4)
	v_add_nc_u32_e32 v36, v36, v26
	v_and_b32_e32 v27, v37, v27
	s_delay_alu instid0(VALU_DEP_4) | instskip(NEXT) | instid1(VALU_DEP_2)
	v_bfe_u32 v39, v38, 21, 1
	v_cmp_eq_u32_e64 s14, v27, v48
	s_delay_alu instid0(VALU_DEP_2) | instskip(NEXT) | instid1(VALU_DEP_1)
	v_add_nc_u32_e32 v37, -1, v39
	v_cndmask_b32_e64 v27, 0, v37, s14
	v_lshrrev_b32_e32 v37, 23, v38
	s_mov_b32 s14, exec_lo
	s_delay_alu instid0(VALU_DEP_2) | instskip(NEXT) | instid1(VALU_DEP_2)
	v_add_nc_u32_e32 v27, v27, v38
	v_xor_b32_e32 v37, 1, v37
	s_delay_alu instid0(VALU_DEP_2) | instskip(NEXT) | instid1(VALU_DEP_1)
	v_and_b32_e32 v26, 0x1fffff, v27
	v_add_nc_u32_e32 v27, v26, v38
                                        ; implicit-def: $vgpr26
	s_delay_alu instid0(VALU_DEP_3)
	v_cmpx_ne_u32_e64 v36, v37
	s_xor_b32 s14, exec_lo, s14
; %bb.2223:                             ;   in Loop: Header=BB6_2207 Depth=3
	s_delay_alu instid0(VALU_DEP_2) | instskip(SKIP_2) | instid1(VALU_DEP_2)
	v_cmp_lt_u32_e32 vcc_lo, 0xffffff, v27
	v_sub_nc_u32_e32 v26, v36, v37
	v_cndmask_b32_e64 v36, 0, 1, vcc_lo
	v_add_co_ci_u32_e32 v26, vcc_lo, 0, v26, vcc_lo
	s_delay_alu instid0(VALU_DEP_2)
	v_lshrrev_b32_e32 v27, v36, v27
; %bb.2224:                             ;   in Loop: Header=BB6_2207 Depth=3
	s_and_not1_saveexec_b32 s14, s14
; %bb.2225:                             ;   in Loop: Header=BB6_2207 Depth=3
	s_delay_alu instid0(VALU_DEP_1)
	v_bfe_u32 v26, v27, 23, 1
; %bb.2226:                             ;   in Loop: Header=BB6_2207 Depth=3
	s_or_b32 exec_lo, exec_lo, s14
	v_lshrrev_b32_e32 v27, 21, v27
	s_delay_alu instid0(VALU_DEP_2) | instskip(SKIP_2) | instid1(VALU_DEP_2)
	v_cmp_gt_i32_e32 vcc_lo, 32, v26
	v_min_i32_e32 v36, 31, v26
	v_lshrrev_b32_e32 v13, 24, v13
	v_dual_cndmask_b32 v27, 3, v27 :: v_dual_lshlrev_b32 v36, 2, v36
	s_delay_alu instid0(VALU_DEP_2) | instskip(NEXT) | instid1(VALU_DEP_2)
	v_and_b32_e32 v13, 0x80, v13
	v_or_b32_e32 v26, v26, v27
	s_delay_alu instid0(VALU_DEP_1) | instskip(SKIP_1) | instid1(VALU_DEP_1)
	v_cmp_ne_u32_e32 vcc_lo, 0, v26
	v_and_b32_e32 v37, 3, v27
	v_or3_b32 v13, v36, v13, v37
	s_delay_alu instid0(VALU_DEP_1)
	v_cndmask_b32_e32 v82, 0, v13, vcc_lo
.LBB6_2227:                             ;   in Loop: Header=BB6_2207 Depth=3
	s_or_b32 exec_lo, exec_lo, s38
.LBB6_2228:                             ;   in Loop: Header=BB6_2207 Depth=3
	s_delay_alu instid0(SALU_CYCLE_1) | instskip(SKIP_3) | instid1(VALU_DEP_1)
	s_or_b32 exec_lo, exec_lo, s37
	v_lshrrev_b16 v13, 8, v8
	s_mov_b32 s14, 0
	s_mov_b32 s38, exec_lo
                                        ; implicit-def: $sgpr37
	v_cmpx_lt_i16_e32 0x7f, v13
	s_xor_b32 s38, exec_lo, s38
	s_cbranch_execnz .LBB6_2410
; %bb.2229:                             ;   in Loop: Header=BB6_2207 Depth=3
	s_or_saveexec_b32 s38, s38
	v_mov_b32_e32 v26, s37
	s_xor_b32 exec_lo, exec_lo, s38
	s_cbranch_execnz .LBB6_2413
.LBB6_2230:                             ;   in Loop: Header=BB6_2207 Depth=3
	s_or_b32 exec_lo, exec_lo, s38
	s_and_saveexec_b32 s37, s14
	s_cbranch_execz .LBB6_2232
.LBB6_2231:                             ;   in Loop: Header=BB6_2207 Depth=3
	v_and_b32_e32 v26, 0xffff, v13
	v_lshlrev_b32_e32 v13, 24, v13
	s_delay_alu instid0(VALU_DEP_2) | instskip(NEXT) | instid1(VALU_DEP_2)
	v_and_b32_e32 v27, 3, v26
	v_and_b32_e32 v13, 0x80000000, v13
	s_delay_alu instid0(VALU_DEP_2) | instskip(NEXT) | instid1(VALU_DEP_1)
	v_clz_i32_u32_e32 v36, v27
	v_min_u32_e32 v36, 32, v36
	s_delay_alu instid0(VALU_DEP_1) | instskip(SKIP_1) | instid1(VALU_DEP_2)
	v_subrev_nc_u32_e32 v37, 29, v36
	v_sub_nc_u32_e32 v36, 30, v36
	v_lshlrev_b32_e32 v37, v37, v26
	v_bfe_u32 v26, v26, 2, 5
	s_delay_alu instid0(VALU_DEP_2) | instskip(NEXT) | instid1(VALU_DEP_2)
	v_and_b32_e32 v37, 3, v37
	v_cmp_eq_u32_e32 vcc_lo, 0, v26
	s_delay_alu instid0(VALU_DEP_2) | instskip(NEXT) | instid1(VALU_DEP_1)
	v_dual_cndmask_b32 v26, v26, v36 :: v_dual_cndmask_b32 v27, v27, v37
	v_lshl_add_u32 v26, v26, 23, 0x37800000
	s_delay_alu instid0(VALU_DEP_2) | instskip(NEXT) | instid1(VALU_DEP_1)
	v_lshlrev_b32_e32 v27, 21, v27
	v_or3_b32 v26, v13, v26, v27
.LBB6_2232:                             ;   in Loop: Header=BB6_2207 Depth=3
	s_or_b32 exec_lo, exec_lo, s37
	s_delay_alu instid0(VALU_DEP_1) | instskip(SKIP_2) | instid1(VALU_DEP_2)
	v_mul_f32_e32 v13, s36, v26
	v_mov_b32_e32 v83, 0x80
	s_mov_b32 s37, exec_lo
	v_and_b32_e32 v26, 0x7f800000, v13
	s_delay_alu instid0(VALU_DEP_1)
	v_cmpx_ne_u32_e32 0x7f800000, v26
	s_cbranch_execz .LBB6_2240
; %bb.2233:                             ;   in Loop: Header=BB6_2207 Depth=3
	v_mov_b32_e32 v83, 0
	s_mov_b32 s38, exec_lo
	v_cmpx_ne_u32_e32 0, v13
	s_cbranch_execz .LBB6_2239
; %bb.2234:                             ;   in Loop: Header=BB6_2207 Depth=3
	v_bfe_u32 v26, v13, 23, 8
	s_delay_alu instid0(VALU_DEP_1) | instskip(SKIP_1) | instid1(VALU_DEP_2)
	v_sub_nc_u32_e32 v36, 0x70, v26
	v_cmp_gt_u32_e32 vcc_lo, 0x71, v26
	v_dual_cndmask_b32 v36, 0, v36 :: v_dual_and_b32 v27, 0x7fffff, v13
	s_delay_alu instid0(VALU_DEP_1) | instskip(SKIP_2) | instid1(VALU_DEP_4)
	v_or_b32_e32 v37, 0x800000, v27
	v_cmp_eq_u32_e32 vcc_lo, 0, v26
	v_add_nc_u32_e32 v26, 0xffffff91, v26
	v_cndmask_b32_e64 v36, v36, 0x6f, vcc_lo
	s_delay_alu instid0(VALU_DEP_4) | instskip(NEXT) | instid1(VALU_DEP_3)
	v_cndmask_b32_e32 v27, v37, v27, vcc_lo
	v_cndmask_b32_e64 v26, v26, 0xffffff92, vcc_lo
	s_delay_alu instid0(VALU_DEP_3) | instskip(NEXT) | instid1(VALU_DEP_3)
	v_lshl_add_u32 v37, 0x200000, v36, -1
	v_lshrrev_b32_e32 v38, v36, v27
	v_lshlrev_b32_e64 v48, v36, 0x100000
	s_delay_alu instid0(VALU_DEP_4) | instskip(NEXT) | instid1(VALU_DEP_4)
	v_add_nc_u32_e32 v36, v36, v26
	v_and_b32_e32 v27, v37, v27
	s_delay_alu instid0(VALU_DEP_4) | instskip(NEXT) | instid1(VALU_DEP_2)
	v_bfe_u32 v39, v38, 21, 1
	v_cmp_eq_u32_e64 s14, v27, v48
	s_delay_alu instid0(VALU_DEP_2) | instskip(NEXT) | instid1(VALU_DEP_1)
	v_add_nc_u32_e32 v37, -1, v39
	v_cndmask_b32_e64 v27, 0, v37, s14
	v_lshrrev_b32_e32 v37, 23, v38
	s_mov_b32 s14, exec_lo
	s_delay_alu instid0(VALU_DEP_2) | instskip(NEXT) | instid1(VALU_DEP_2)
	v_add_nc_u32_e32 v27, v27, v38
	v_xor_b32_e32 v37, 1, v37
	s_delay_alu instid0(VALU_DEP_2) | instskip(NEXT) | instid1(VALU_DEP_1)
	v_and_b32_e32 v26, 0x1fffff, v27
	v_add_nc_u32_e32 v27, v26, v38
                                        ; implicit-def: $vgpr26
	s_delay_alu instid0(VALU_DEP_3)
	v_cmpx_ne_u32_e64 v36, v37
	s_xor_b32 s14, exec_lo, s14
; %bb.2235:                             ;   in Loop: Header=BB6_2207 Depth=3
	s_delay_alu instid0(VALU_DEP_2) | instskip(SKIP_2) | instid1(VALU_DEP_2)
	v_cmp_lt_u32_e32 vcc_lo, 0xffffff, v27
	v_sub_nc_u32_e32 v26, v36, v37
	v_cndmask_b32_e64 v36, 0, 1, vcc_lo
	v_add_co_ci_u32_e32 v26, vcc_lo, 0, v26, vcc_lo
	s_delay_alu instid0(VALU_DEP_2)
	v_lshrrev_b32_e32 v27, v36, v27
; %bb.2236:                             ;   in Loop: Header=BB6_2207 Depth=3
	s_and_not1_saveexec_b32 s14, s14
; %bb.2237:                             ;   in Loop: Header=BB6_2207 Depth=3
	s_delay_alu instid0(VALU_DEP_1)
	v_bfe_u32 v26, v27, 23, 1
; %bb.2238:                             ;   in Loop: Header=BB6_2207 Depth=3
	s_or_b32 exec_lo, exec_lo, s14
	v_lshrrev_b32_e32 v27, 21, v27
	s_delay_alu instid0(VALU_DEP_2) | instskip(SKIP_2) | instid1(VALU_DEP_4)
	v_cmp_gt_i32_e32 vcc_lo, 32, v26
	v_lshrrev_b32_e32 v13, 24, v13
	v_min_i32_e32 v36, 31, v26
	v_cndmask_b32_e32 v27, 3, v27, vcc_lo
	s_delay_alu instid0(VALU_DEP_3) | instskip(NEXT) | instid1(VALU_DEP_3)
	v_and_b32_e32 v13, 0x80, v13
	v_lshlrev_b32_e32 v36, 2, v36
	s_delay_alu instid0(VALU_DEP_3) | instskip(SKIP_1) | instid1(VALU_DEP_2)
	v_and_b32_e32 v37, 3, v27
	v_or_b32_e32 v26, v26, v27
	v_or3_b32 v13, v36, v13, v37
	s_delay_alu instid0(VALU_DEP_2) | instskip(NEXT) | instid1(VALU_DEP_2)
	v_cmp_ne_u32_e32 vcc_lo, 0, v26
	v_cndmask_b32_e32 v83, 0, v13, vcc_lo
.LBB6_2239:                             ;   in Loop: Header=BB6_2207 Depth=3
	s_or_b32 exec_lo, exec_lo, s38
.LBB6_2240:                             ;   in Loop: Header=BB6_2207 Depth=3
	s_delay_alu instid0(SALU_CYCLE_1) | instskip(SKIP_3) | instid1(VALU_DEP_1)
	s_or_b32 exec_lo, exec_lo, s37
	v_lshrrev_b32_e32 v13, 16, v8
	s_mov_b32 s14, 0
	s_mov_b32 s38, exec_lo
                                        ; implicit-def: $sgpr37
	v_and_b32_e32 v27, 0xff, v13
	s_delay_alu instid0(VALU_DEP_1)
	v_cmpx_lt_i16_e32 0x7f, v27
	s_xor_b32 s38, exec_lo, s38
	s_cbranch_execnz .LBB6_2414
; %bb.2241:                             ;   in Loop: Header=BB6_2207 Depth=3
	s_or_saveexec_b32 s38, s38
	v_mov_b32_e32 v26, s37
	s_xor_b32 exec_lo, exec_lo, s38
	s_cbranch_execnz .LBB6_2417
.LBB6_2242:                             ;   in Loop: Header=BB6_2207 Depth=3
	s_or_b32 exec_lo, exec_lo, s38
	s_and_saveexec_b32 s37, s14
	s_cbranch_execz .LBB6_2244
.LBB6_2243:                             ;   in Loop: Header=BB6_2207 Depth=3
	v_bfe_u32 v26, v8, 16, 2
	v_lshlrev_b32_e32 v37, 8, v8
	s_delay_alu instid0(VALU_DEP_2) | instskip(NEXT) | instid1(VALU_DEP_1)
	v_clz_i32_u32_e32 v27, v26
	v_min_u32_e32 v27, 32, v27
	s_delay_alu instid0(VALU_DEP_1) | instskip(SKIP_1) | instid1(VALU_DEP_2)
	v_subrev_nc_u32_e32 v36, 29, v27
	v_sub_nc_u32_e32 v27, 30, v27
	v_lshlrev_b32_e32 v13, v36, v13
	v_bfe_u32 v36, v8, 18, 5
	s_delay_alu instid0(VALU_DEP_2) | instskip(NEXT) | instid1(VALU_DEP_2)
	v_and_b32_e32 v13, 3, v13
	v_cmp_eq_u32_e32 vcc_lo, 0, v36
	v_cndmask_b32_e32 v27, v36, v27, vcc_lo
	s_delay_alu instid0(VALU_DEP_3) | instskip(SKIP_1) | instid1(VALU_DEP_3)
	v_cndmask_b32_e32 v13, v26, v13, vcc_lo
	v_and_b32_e32 v26, 0x80000000, v37
	v_lshl_add_u32 v27, v27, 23, 0x37800000
	s_delay_alu instid0(VALU_DEP_3) | instskip(NEXT) | instid1(VALU_DEP_1)
	v_lshlrev_b32_e32 v13, 21, v13
	v_or3_b32 v26, v26, v27, v13
.LBB6_2244:                             ;   in Loop: Header=BB6_2207 Depth=3
	s_or_b32 exec_lo, exec_lo, s37
	s_delay_alu instid0(VALU_DEP_1) | instskip(SKIP_1) | instid1(VALU_DEP_1)
	v_dual_mul_f32 v13, s36, v26 :: v_dual_mov_b32 v84, 0x80
	s_mov_b32 s37, exec_lo
	v_and_b32_e32 v26, 0x7f800000, v13
	s_delay_alu instid0(VALU_DEP_1)
	v_cmpx_ne_u32_e32 0x7f800000, v26
	s_cbranch_execz .LBB6_2252
; %bb.2245:                             ;   in Loop: Header=BB6_2207 Depth=3
	v_mov_b32_e32 v84, 0
	s_mov_b32 s38, exec_lo
	v_cmpx_ne_u32_e32 0, v13
	s_cbranch_execz .LBB6_2251
; %bb.2246:                             ;   in Loop: Header=BB6_2207 Depth=3
	v_bfe_u32 v26, v13, 23, 8
	s_delay_alu instid0(VALU_DEP_1) | instskip(SKIP_1) | instid1(VALU_DEP_2)
	v_sub_nc_u32_e32 v36, 0x70, v26
	v_cmp_gt_u32_e32 vcc_lo, 0x71, v26
	v_dual_cndmask_b32 v36, 0, v36 :: v_dual_and_b32 v27, 0x7fffff, v13
	s_delay_alu instid0(VALU_DEP_1) | instskip(SKIP_2) | instid1(VALU_DEP_4)
	v_or_b32_e32 v37, 0x800000, v27
	v_cmp_eq_u32_e32 vcc_lo, 0, v26
	v_add_nc_u32_e32 v26, 0xffffff91, v26
	v_cndmask_b32_e64 v36, v36, 0x6f, vcc_lo
	s_delay_alu instid0(VALU_DEP_4) | instskip(NEXT) | instid1(VALU_DEP_3)
	v_cndmask_b32_e32 v27, v37, v27, vcc_lo
	v_cndmask_b32_e64 v26, v26, 0xffffff92, vcc_lo
	s_delay_alu instid0(VALU_DEP_3) | instskip(NEXT) | instid1(VALU_DEP_3)
	v_lshl_add_u32 v37, 0x200000, v36, -1
	v_lshrrev_b32_e32 v38, v36, v27
	v_lshlrev_b32_e64 v48, v36, 0x100000
	s_delay_alu instid0(VALU_DEP_4) | instskip(NEXT) | instid1(VALU_DEP_4)
	v_add_nc_u32_e32 v36, v36, v26
	v_and_b32_e32 v27, v37, v27
	s_delay_alu instid0(VALU_DEP_4) | instskip(NEXT) | instid1(VALU_DEP_2)
	v_bfe_u32 v39, v38, 21, 1
	v_cmp_eq_u32_e64 s14, v27, v48
	s_delay_alu instid0(VALU_DEP_2) | instskip(NEXT) | instid1(VALU_DEP_1)
	v_add_nc_u32_e32 v37, -1, v39
	v_cndmask_b32_e64 v27, 0, v37, s14
	v_lshrrev_b32_e32 v37, 23, v38
	s_mov_b32 s14, exec_lo
	s_delay_alu instid0(VALU_DEP_2) | instskip(NEXT) | instid1(VALU_DEP_2)
	v_add_nc_u32_e32 v27, v27, v38
	v_xor_b32_e32 v37, 1, v37
	s_delay_alu instid0(VALU_DEP_2) | instskip(NEXT) | instid1(VALU_DEP_1)
	v_and_b32_e32 v26, 0x1fffff, v27
	v_add_nc_u32_e32 v27, v26, v38
                                        ; implicit-def: $vgpr26
	s_delay_alu instid0(VALU_DEP_3)
	v_cmpx_ne_u32_e64 v36, v37
	s_xor_b32 s14, exec_lo, s14
; %bb.2247:                             ;   in Loop: Header=BB6_2207 Depth=3
	s_delay_alu instid0(VALU_DEP_2) | instskip(SKIP_2) | instid1(VALU_DEP_2)
	v_cmp_lt_u32_e32 vcc_lo, 0xffffff, v27
	v_sub_nc_u32_e32 v26, v36, v37
	v_cndmask_b32_e64 v36, 0, 1, vcc_lo
	v_add_co_ci_u32_e32 v26, vcc_lo, 0, v26, vcc_lo
	s_delay_alu instid0(VALU_DEP_2)
	v_lshrrev_b32_e32 v27, v36, v27
; %bb.2248:                             ;   in Loop: Header=BB6_2207 Depth=3
	s_and_not1_saveexec_b32 s14, s14
; %bb.2249:                             ;   in Loop: Header=BB6_2207 Depth=3
	s_delay_alu instid0(VALU_DEP_1)
	v_bfe_u32 v26, v27, 23, 1
; %bb.2250:                             ;   in Loop: Header=BB6_2207 Depth=3
	s_or_b32 exec_lo, exec_lo, s14
	v_lshrrev_b32_e32 v27, 21, v27
	s_delay_alu instid0(VALU_DEP_2) | instskip(SKIP_2) | instid1(VALU_DEP_2)
	v_cmp_gt_i32_e32 vcc_lo, 32, v26
	v_min_i32_e32 v36, 31, v26
	v_lshrrev_b32_e32 v13, 24, v13
	v_dual_cndmask_b32 v27, 3, v27 :: v_dual_lshlrev_b32 v36, 2, v36
	s_delay_alu instid0(VALU_DEP_2) | instskip(NEXT) | instid1(VALU_DEP_2)
	v_and_b32_e32 v13, 0x80, v13
	v_or_b32_e32 v26, v26, v27
	s_delay_alu instid0(VALU_DEP_1) | instskip(SKIP_1) | instid1(VALU_DEP_1)
	v_cmp_ne_u32_e32 vcc_lo, 0, v26
	v_and_b32_e32 v37, 3, v27
	v_or3_b32 v13, v36, v13, v37
	s_delay_alu instid0(VALU_DEP_1)
	v_cndmask_b32_e32 v84, 0, v13, vcc_lo
.LBB6_2251:                             ;   in Loop: Header=BB6_2207 Depth=3
	s_or_b32 exec_lo, exec_lo, s38
.LBB6_2252:                             ;   in Loop: Header=BB6_2207 Depth=3
	s_delay_alu instid0(SALU_CYCLE_1) | instskip(SKIP_3) | instid1(VALU_DEP_1)
	s_or_b32 exec_lo, exec_lo, s37
	v_lshrrev_b32_e32 v13, 24, v8
	s_mov_b32 s14, 0
	s_mov_b32 s38, exec_lo
                                        ; implicit-def: $sgpr37
	v_cmpx_lt_i16_e32 0x7f, v13
	s_xor_b32 s38, exec_lo, s38
	s_cbranch_execnz .LBB6_2418
; %bb.2253:                             ;   in Loop: Header=BB6_2207 Depth=3
	s_or_saveexec_b32 s38, s38
	v_mov_b32_e32 v26, s37
	s_xor_b32 exec_lo, exec_lo, s38
	s_cbranch_execnz .LBB6_2421
.LBB6_2254:                             ;   in Loop: Header=BB6_2207 Depth=3
	s_or_b32 exec_lo, exec_lo, s38
	s_and_saveexec_b32 s37, s14
	s_cbranch_execz .LBB6_2256
.LBB6_2255:                             ;   in Loop: Header=BB6_2207 Depth=3
	v_bfe_u32 v26, v8, 24, 2
	s_delay_alu instid0(VALU_DEP_1) | instskip(NEXT) | instid1(VALU_DEP_1)
	v_clz_i32_u32_e32 v27, v26
	v_min_u32_e32 v27, 32, v27
	s_delay_alu instid0(VALU_DEP_1) | instskip(SKIP_1) | instid1(VALU_DEP_2)
	v_subrev_nc_u32_e32 v36, 29, v27
	v_sub_nc_u32_e32 v27, 30, v27
	v_lshlrev_b32_e32 v13, v36, v13
	v_bfe_u32 v36, v8, 26, 5
	v_and_b32_e32 v8, 0x80000000, v8
	s_delay_alu instid0(VALU_DEP_3) | instskip(NEXT) | instid1(VALU_DEP_3)
	v_and_b32_e32 v13, 3, v13
	v_cmp_eq_u32_e32 vcc_lo, 0, v36
	v_cndmask_b32_e32 v27, v36, v27, vcc_lo
	s_delay_alu instid0(VALU_DEP_3) | instskip(NEXT) | instid1(VALU_DEP_2)
	v_cndmask_b32_e32 v13, v26, v13, vcc_lo
	v_lshl_add_u32 v26, v27, 23, 0x37800000
	s_delay_alu instid0(VALU_DEP_2) | instskip(NEXT) | instid1(VALU_DEP_1)
	v_lshlrev_b32_e32 v13, 21, v13
	v_or3_b32 v26, v8, v26, v13
.LBB6_2256:                             ;   in Loop: Header=BB6_2207 Depth=3
	s_or_b32 exec_lo, exec_lo, s37
	s_delay_alu instid0(VALU_DEP_1) | instskip(NEXT) | instid1(VALU_DEP_1)
	v_mul_f32_e32 v13, s36, v26
	v_and_b32_e32 v8, 0x7f800000, v13
	s_delay_alu instid0(VALU_DEP_1)
	v_cmp_ne_u32_e32 vcc_lo, 0x7f800000, v8
	v_mov_b32_e32 v8, 0x80
	s_and_saveexec_b32 s37, vcc_lo
	s_cbranch_execz .LBB6_2264
; %bb.2257:                             ;   in Loop: Header=BB6_2207 Depth=3
	v_mov_b32_e32 v8, 0
	s_mov_b32 s38, exec_lo
	v_cmpx_ne_u32_e32 0, v13
	s_cbranch_execz .LBB6_2263
; %bb.2258:                             ;   in Loop: Header=BB6_2207 Depth=3
	v_bfe_u32 v8, v13, 23, 8
	s_delay_alu instid0(VALU_DEP_1) | instskip(SKIP_1) | instid1(VALU_DEP_2)
	v_sub_nc_u32_e32 v27, 0x70, v8
	v_cmp_gt_u32_e32 vcc_lo, 0x71, v8
	v_dual_cndmask_b32 v27, 0, v27 :: v_dual_and_b32 v26, 0x7fffff, v13
	s_delay_alu instid0(VALU_DEP_1) | instskip(SKIP_2) | instid1(VALU_DEP_4)
	v_or_b32_e32 v36, 0x800000, v26
	v_cmp_eq_u32_e32 vcc_lo, 0, v8
	v_add_nc_u32_e32 v8, 0xffffff91, v8
	v_cndmask_b32_e64 v27, v27, 0x6f, vcc_lo
	s_delay_alu instid0(VALU_DEP_2) | instskip(SKIP_1) | instid1(VALU_DEP_3)
	v_cndmask_b32_e64 v8, v8, 0xffffff92, vcc_lo
	v_cndmask_b32_e32 v26, v36, v26, vcc_lo
	v_lshl_add_u32 v36, 0x200000, v27, -1
	v_lshlrev_b32_e64 v39, v27, 0x100000
	s_delay_alu instid0(VALU_DEP_3) | instskip(SKIP_1) | instid1(VALU_DEP_4)
	v_lshrrev_b32_e32 v37, v27, v26
	v_add_nc_u32_e32 v27, v27, v8
	v_and_b32_e32 v26, v36, v26
	s_delay_alu instid0(VALU_DEP_3) | instskip(NEXT) | instid1(VALU_DEP_2)
	v_bfe_u32 v38, v37, 21, 1
	v_cmp_eq_u32_e64 s14, v26, v39
	s_delay_alu instid0(VALU_DEP_2) | instskip(NEXT) | instid1(VALU_DEP_1)
	v_add_nc_u32_e32 v36, -1, v38
	v_cndmask_b32_e64 v26, 0, v36, s14
	v_lshrrev_b32_e32 v36, 23, v37
	s_mov_b32 s14, exec_lo
	s_delay_alu instid0(VALU_DEP_2) | instskip(NEXT) | instid1(VALU_DEP_2)
	v_add_nc_u32_e32 v26, v26, v37
	v_xor_b32_e32 v36, 1, v36
	s_delay_alu instid0(VALU_DEP_2) | instskip(NEXT) | instid1(VALU_DEP_1)
	v_and_b32_e32 v8, 0x1fffff, v26
	v_add_nc_u32_e32 v26, v8, v37
                                        ; implicit-def: $vgpr8
	s_delay_alu instid0(VALU_DEP_3)
	v_cmpx_ne_u32_e64 v27, v36
	s_xor_b32 s14, exec_lo, s14
; %bb.2259:                             ;   in Loop: Header=BB6_2207 Depth=3
	s_delay_alu instid0(VALU_DEP_2) | instskip(SKIP_2) | instid1(VALU_DEP_2)
	v_cmp_lt_u32_e32 vcc_lo, 0xffffff, v26
	v_sub_nc_u32_e32 v8, v27, v36
	v_cndmask_b32_e64 v27, 0, 1, vcc_lo
	v_add_co_ci_u32_e32 v8, vcc_lo, 0, v8, vcc_lo
	s_delay_alu instid0(VALU_DEP_2)
	v_lshrrev_b32_e32 v26, v27, v26
; %bb.2260:                             ;   in Loop: Header=BB6_2207 Depth=3
	s_and_not1_saveexec_b32 s14, s14
; %bb.2261:                             ;   in Loop: Header=BB6_2207 Depth=3
	s_delay_alu instid0(VALU_DEP_1)
	v_bfe_u32 v8, v26, 23, 1
; %bb.2262:                             ;   in Loop: Header=BB6_2207 Depth=3
	s_or_b32 exec_lo, exec_lo, s14
	v_lshrrev_b32_e32 v26, 21, v26
	s_delay_alu instid0(VALU_DEP_2) | instskip(SKIP_2) | instid1(VALU_DEP_2)
	v_cmp_gt_i32_e32 vcc_lo, 32, v8
	v_lshrrev_b32_e32 v13, 24, v13
	v_min_i32_e32 v27, 31, v8
	v_dual_cndmask_b32 v26, 3, v26 :: v_dual_and_b32 v13, 0x80, v13
	s_delay_alu instid0(VALU_DEP_1) | instskip(SKIP_1) | instid1(VALU_DEP_2)
	v_or_b32_e32 v8, v8, v26
	v_and_b32_e32 v36, 3, v26
	v_cmp_ne_u32_e32 vcc_lo, 0, v8
	v_lshlrev_b32_e32 v27, 2, v27
	s_delay_alu instid0(VALU_DEP_1) | instskip(NEXT) | instid1(VALU_DEP_1)
	v_or3_b32 v13, v27, v13, v36
	v_cndmask_b32_e32 v8, 0, v13, vcc_lo
.LBB6_2263:                             ;   in Loop: Header=BB6_2207 Depth=3
	s_or_b32 exec_lo, exec_lo, s38
.LBB6_2264:                             ;   in Loop: Header=BB6_2207 Depth=3
	s_delay_alu instid0(SALU_CYCLE_1) | instskip(SKIP_3) | instid1(VALU_DEP_1)
	s_or_b32 exec_lo, exec_lo, s37
	v_and_b32_e32 v26, 0xff, v9
	s_mov_b32 s14, 0
	s_mov_b32 s38, exec_lo
                                        ; implicit-def: $sgpr37
	v_cmpx_lt_i16_e32 0x7f, v26
	s_xor_b32 s38, exec_lo, s38
	s_cbranch_execnz .LBB6_2422
; %bb.2265:                             ;   in Loop: Header=BB6_2207 Depth=3
	s_or_saveexec_b32 s38, s38
	v_mov_b32_e32 v13, s37
	s_xor_b32 exec_lo, exec_lo, s38
	s_cbranch_execnz .LBB6_2425
.LBB6_2266:                             ;   in Loop: Header=BB6_2207 Depth=3
	s_or_b32 exec_lo, exec_lo, s38
	s_and_saveexec_b32 s37, s14
	s_cbranch_execz .LBB6_2268
.LBB6_2267:                             ;   in Loop: Header=BB6_2207 Depth=3
	v_bfe_u32 v36, v9, 2, 5
	v_lshlrev_b32_e32 v37, 24, v9
	s_delay_alu instid0(VALU_DEP_2) | instskip(SKIP_1) | instid1(VALU_DEP_1)
	v_cmp_eq_u32_e32 vcc_lo, 0, v36
	v_and_b32_e32 v13, 3, v9
	v_clz_i32_u32_e32 v26, v13
	s_delay_alu instid0(VALU_DEP_1) | instskip(NEXT) | instid1(VALU_DEP_1)
	v_min_u32_e32 v26, 32, v26
	v_subrev_nc_u32_e32 v27, 29, v26
	v_sub_nc_u32_e32 v26, 30, v26
	s_delay_alu instid0(VALU_DEP_1) | instskip(NEXT) | instid1(VALU_DEP_1)
	v_dual_cndmask_b32 v26, v36, v26 :: v_dual_lshlrev_b32 v27, v27, v9
	v_and_b32_e32 v27, 3, v27
	s_delay_alu instid0(VALU_DEP_2) | instskip(NEXT) | instid1(VALU_DEP_2)
	v_lshl_add_u32 v26, v26, 23, 0x37800000
	v_cndmask_b32_e32 v13, v13, v27, vcc_lo
	v_and_b32_e32 v27, 0x80000000, v37
	s_delay_alu instid0(VALU_DEP_2) | instskip(NEXT) | instid1(VALU_DEP_1)
	v_lshlrev_b32_e32 v13, 21, v13
	v_or3_b32 v13, v27, v26, v13
.LBB6_2268:                             ;   in Loop: Header=BB6_2207 Depth=3
	s_or_b32 exec_lo, exec_lo, s37
	s_delay_alu instid0(VALU_DEP_1) | instskip(NEXT) | instid1(VALU_DEP_1)
	v_mul_f32_e32 v26, s36, v13
	v_and_b32_e32 v13, 0x7f800000, v26
	s_delay_alu instid0(VALU_DEP_1)
	v_cmp_ne_u32_e32 vcc_lo, 0x7f800000, v13
	v_mov_b32_e32 v13, 0x80
	s_and_saveexec_b32 s37, vcc_lo
	s_cbranch_execz .LBB6_2276
; %bb.2269:                             ;   in Loop: Header=BB6_2207 Depth=3
	v_mov_b32_e32 v13, 0
	s_mov_b32 s38, exec_lo
	v_cmpx_ne_u32_e32 0, v26
	s_cbranch_execz .LBB6_2275
; %bb.2270:                             ;   in Loop: Header=BB6_2207 Depth=3
	v_bfe_u32 v13, v26, 23, 8
	s_delay_alu instid0(VALU_DEP_1) | instskip(SKIP_1) | instid1(VALU_DEP_2)
	v_sub_nc_u32_e32 v36, 0x70, v13
	v_cmp_gt_u32_e32 vcc_lo, 0x71, v13
	v_dual_cndmask_b32 v36, 0, v36 :: v_dual_and_b32 v27, 0x7fffff, v26
	s_delay_alu instid0(VALU_DEP_1) | instskip(SKIP_2) | instid1(VALU_DEP_4)
	v_or_b32_e32 v37, 0x800000, v27
	v_cmp_eq_u32_e32 vcc_lo, 0, v13
	v_add_nc_u32_e32 v13, 0xffffff91, v13
	v_cndmask_b32_e64 v36, v36, 0x6f, vcc_lo
	s_delay_alu instid0(VALU_DEP_2) | instskip(SKIP_1) | instid1(VALU_DEP_3)
	v_cndmask_b32_e64 v13, v13, 0xffffff92, vcc_lo
	v_cndmask_b32_e32 v27, v37, v27, vcc_lo
	v_lshl_add_u32 v37, 0x200000, v36, -1
	v_lshlrev_b32_e64 v48, v36, 0x100000
	s_delay_alu instid0(VALU_DEP_3) | instskip(SKIP_1) | instid1(VALU_DEP_4)
	v_lshrrev_b32_e32 v38, v36, v27
	v_add_nc_u32_e32 v36, v36, v13
	v_and_b32_e32 v27, v37, v27
	s_delay_alu instid0(VALU_DEP_3) | instskip(NEXT) | instid1(VALU_DEP_2)
	v_bfe_u32 v39, v38, 21, 1
	v_cmp_eq_u32_e64 s14, v27, v48
	s_delay_alu instid0(VALU_DEP_2) | instskip(NEXT) | instid1(VALU_DEP_1)
	v_add_nc_u32_e32 v37, -1, v39
	v_cndmask_b32_e64 v27, 0, v37, s14
	v_lshrrev_b32_e32 v37, 23, v38
	s_mov_b32 s14, exec_lo
	s_delay_alu instid0(VALU_DEP_2) | instskip(NEXT) | instid1(VALU_DEP_2)
	v_add_nc_u32_e32 v27, v27, v38
	v_xor_b32_e32 v37, 1, v37
	s_delay_alu instid0(VALU_DEP_2) | instskip(NEXT) | instid1(VALU_DEP_1)
	v_and_b32_e32 v13, 0x1fffff, v27
	v_add_nc_u32_e32 v27, v13, v38
                                        ; implicit-def: $vgpr13
	s_delay_alu instid0(VALU_DEP_3)
	v_cmpx_ne_u32_e64 v36, v37
	s_xor_b32 s14, exec_lo, s14
; %bb.2271:                             ;   in Loop: Header=BB6_2207 Depth=3
	s_delay_alu instid0(VALU_DEP_2) | instskip(SKIP_2) | instid1(VALU_DEP_2)
	v_cmp_lt_u32_e32 vcc_lo, 0xffffff, v27
	v_sub_nc_u32_e32 v13, v36, v37
	v_cndmask_b32_e64 v36, 0, 1, vcc_lo
	v_add_co_ci_u32_e32 v13, vcc_lo, 0, v13, vcc_lo
	s_delay_alu instid0(VALU_DEP_2)
	v_lshrrev_b32_e32 v27, v36, v27
; %bb.2272:                             ;   in Loop: Header=BB6_2207 Depth=3
	s_and_not1_saveexec_b32 s14, s14
; %bb.2273:                             ;   in Loop: Header=BB6_2207 Depth=3
	s_delay_alu instid0(VALU_DEP_1)
	v_bfe_u32 v13, v27, 23, 1
; %bb.2274:                             ;   in Loop: Header=BB6_2207 Depth=3
	s_or_b32 exec_lo, exec_lo, s14
	v_lshrrev_b32_e32 v27, 21, v27
	s_delay_alu instid0(VALU_DEP_2) | instskip(SKIP_2) | instid1(VALU_DEP_2)
	v_cmp_gt_i32_e32 vcc_lo, 32, v13
	v_min_i32_e32 v36, 31, v13
	v_lshrrev_b32_e32 v26, 24, v26
	v_dual_cndmask_b32 v27, 3, v27 :: v_dual_lshlrev_b32 v36, 2, v36
	s_delay_alu instid0(VALU_DEP_2) | instskip(NEXT) | instid1(VALU_DEP_2)
	v_and_b32_e32 v26, 0x80, v26
	v_or_b32_e32 v13, v13, v27
	v_and_b32_e32 v37, 3, v27
	s_delay_alu instid0(VALU_DEP_2) | instskip(SKIP_1) | instid1(VALU_DEP_1)
	v_cmp_ne_u32_e32 vcc_lo, 0, v13
	v_and_b32_e32 v36, 0xfc, v36
	v_or3_b32 v26, v36, v26, v37
	s_delay_alu instid0(VALU_DEP_1)
	v_cndmask_b32_e32 v13, 0, v26, vcc_lo
.LBB6_2275:                             ;   in Loop: Header=BB6_2207 Depth=3
	s_or_b32 exec_lo, exec_lo, s38
.LBB6_2276:                             ;   in Loop: Header=BB6_2207 Depth=3
	s_delay_alu instid0(SALU_CYCLE_1) | instskip(SKIP_3) | instid1(VALU_DEP_1)
	s_or_b32 exec_lo, exec_lo, s37
	v_lshrrev_b16 v26, 8, v9
	s_mov_b32 s14, 0
	s_mov_b32 s38, exec_lo
                                        ; implicit-def: $sgpr37
	v_cmpx_lt_i16_e32 0x7f, v26
	s_xor_b32 s38, exec_lo, s38
	s_cbranch_execnz .LBB6_2426
; %bb.2277:                             ;   in Loop: Header=BB6_2207 Depth=3
	s_or_saveexec_b32 s38, s38
	v_mov_b32_e32 v27, s37
	s_xor_b32 exec_lo, exec_lo, s38
	s_cbranch_execnz .LBB6_2429
.LBB6_2278:                             ;   in Loop: Header=BB6_2207 Depth=3
	s_or_b32 exec_lo, exec_lo, s38
	s_and_saveexec_b32 s37, s14
	s_cbranch_execz .LBB6_2280
.LBB6_2279:                             ;   in Loop: Header=BB6_2207 Depth=3
	v_and_b32_e32 v27, 0xffff, v26
	v_lshlrev_b32_e32 v26, 24, v26
	s_delay_alu instid0(VALU_DEP_2) | instskip(NEXT) | instid1(VALU_DEP_2)
	v_and_b32_e32 v36, 3, v27
	v_and_b32_e32 v26, 0x80000000, v26
	s_delay_alu instid0(VALU_DEP_2) | instskip(NEXT) | instid1(VALU_DEP_1)
	v_clz_i32_u32_e32 v37, v36
	v_min_u32_e32 v37, 32, v37
	s_delay_alu instid0(VALU_DEP_1) | instskip(SKIP_1) | instid1(VALU_DEP_2)
	v_subrev_nc_u32_e32 v38, 29, v37
	v_sub_nc_u32_e32 v37, 30, v37
	v_lshlrev_b32_e32 v38, v38, v27
	v_bfe_u32 v27, v27, 2, 5
	s_delay_alu instid0(VALU_DEP_2) | instskip(NEXT) | instid1(VALU_DEP_2)
	v_and_b32_e32 v38, 3, v38
	v_cmp_eq_u32_e32 vcc_lo, 0, v27
	s_delay_alu instid0(VALU_DEP_2) | instskip(NEXT) | instid1(VALU_DEP_1)
	v_dual_cndmask_b32 v27, v27, v37 :: v_dual_cndmask_b32 v36, v36, v38
	v_lshl_add_u32 v27, v27, 23, 0x37800000
	s_delay_alu instid0(VALU_DEP_2) | instskip(NEXT) | instid1(VALU_DEP_1)
	v_lshlrev_b32_e32 v36, 21, v36
	v_or3_b32 v27, v26, v27, v36
.LBB6_2280:                             ;   in Loop: Header=BB6_2207 Depth=3
	s_or_b32 exec_lo, exec_lo, s37
	s_delay_alu instid0(VALU_DEP_1) | instskip(SKIP_2) | instid1(VALU_DEP_2)
	v_mul_f32_e32 v26, s36, v27
	v_mov_b32_e32 v36, 0x8000
	s_mov_b32 s37, exec_lo
	v_and_b32_e32 v27, 0x7f800000, v26
	s_delay_alu instid0(VALU_DEP_1)
	v_cmpx_ne_u32_e32 0x7f800000, v27
	s_cbranch_execz .LBB6_2288
; %bb.2281:                             ;   in Loop: Header=BB6_2207 Depth=3
	v_mov_b32_e32 v36, 0
	s_mov_b32 s38, exec_lo
	v_cmpx_ne_u32_e32 0, v26
	s_cbranch_execz .LBB6_2287
; %bb.2282:                             ;   in Loop: Header=BB6_2207 Depth=3
	v_bfe_u32 v27, v26, 23, 8
	s_delay_alu instid0(VALU_DEP_1) | instskip(SKIP_1) | instid1(VALU_DEP_2)
	v_sub_nc_u32_e32 v37, 0x70, v27
	v_cmp_gt_u32_e32 vcc_lo, 0x71, v27
	v_dual_cndmask_b32 v37, 0, v37 :: v_dual_and_b32 v36, 0x7fffff, v26
	s_delay_alu instid0(VALU_DEP_1) | instskip(SKIP_2) | instid1(VALU_DEP_4)
	v_or_b32_e32 v38, 0x800000, v36
	v_cmp_eq_u32_e32 vcc_lo, 0, v27
	v_add_nc_u32_e32 v27, 0xffffff91, v27
	v_cndmask_b32_e64 v37, v37, 0x6f, vcc_lo
	s_delay_alu instid0(VALU_DEP_4) | instskip(NEXT) | instid1(VALU_DEP_3)
	v_cndmask_b32_e32 v36, v38, v36, vcc_lo
	v_cndmask_b32_e64 v27, v27, 0xffffff92, vcc_lo
	s_delay_alu instid0(VALU_DEP_3) | instskip(NEXT) | instid1(VALU_DEP_3)
	v_lshl_add_u32 v38, 0x200000, v37, -1
	v_lshrrev_b32_e32 v39, v37, v36
	v_lshlrev_b32_e64 v49, v37, 0x100000
	s_delay_alu instid0(VALU_DEP_4) | instskip(NEXT) | instid1(VALU_DEP_4)
	v_add_nc_u32_e32 v37, v37, v27
	v_and_b32_e32 v36, v38, v36
	s_delay_alu instid0(VALU_DEP_4) | instskip(NEXT) | instid1(VALU_DEP_2)
	v_bfe_u32 v48, v39, 21, 1
	v_cmp_eq_u32_e64 s14, v36, v49
	s_delay_alu instid0(VALU_DEP_2) | instskip(NEXT) | instid1(VALU_DEP_1)
	v_add_nc_u32_e32 v38, -1, v48
	v_cndmask_b32_e64 v36, 0, v38, s14
	v_lshrrev_b32_e32 v38, 23, v39
	s_mov_b32 s14, exec_lo
	s_delay_alu instid0(VALU_DEP_2) | instskip(NEXT) | instid1(VALU_DEP_2)
	v_add_nc_u32_e32 v36, v36, v39
	v_xor_b32_e32 v38, 1, v38
	s_delay_alu instid0(VALU_DEP_2) | instskip(NEXT) | instid1(VALU_DEP_1)
	v_and_b32_e32 v27, 0x1fffff, v36
	v_add_nc_u32_e32 v36, v27, v39
                                        ; implicit-def: $vgpr27
	s_delay_alu instid0(VALU_DEP_3)
	v_cmpx_ne_u32_e64 v37, v38
	s_xor_b32 s14, exec_lo, s14
; %bb.2283:                             ;   in Loop: Header=BB6_2207 Depth=3
	s_delay_alu instid0(VALU_DEP_2) | instskip(SKIP_2) | instid1(VALU_DEP_2)
	v_cmp_lt_u32_e32 vcc_lo, 0xffffff, v36
	v_sub_nc_u32_e32 v27, v37, v38
	v_cndmask_b32_e64 v37, 0, 1, vcc_lo
	v_add_co_ci_u32_e32 v27, vcc_lo, 0, v27, vcc_lo
	s_delay_alu instid0(VALU_DEP_2)
	v_lshrrev_b32_e32 v36, v37, v36
; %bb.2284:                             ;   in Loop: Header=BB6_2207 Depth=3
	s_and_not1_saveexec_b32 s14, s14
; %bb.2285:                             ;   in Loop: Header=BB6_2207 Depth=3
	s_delay_alu instid0(VALU_DEP_1)
	v_bfe_u32 v27, v36, 23, 1
; %bb.2286:                             ;   in Loop: Header=BB6_2207 Depth=3
	s_or_b32 exec_lo, exec_lo, s14
	v_lshrrev_b32_e32 v36, 21, v36
	s_delay_alu instid0(VALU_DEP_2) | instskip(SKIP_2) | instid1(VALU_DEP_2)
	v_cmp_gt_i32_e32 vcc_lo, 32, v27
	v_min_i32_e32 v37, 31, v27
	v_lshrrev_b32_e32 v26, 24, v26
	v_dual_cndmask_b32 v36, 3, v36 :: v_dual_lshlrev_b32 v37, 2, v37
	s_delay_alu instid0(VALU_DEP_2) | instskip(NEXT) | instid1(VALU_DEP_2)
	v_and_b32_e32 v26, 0x80, v26
	v_or_b32_e32 v27, v27, v36
	v_and_b32_e32 v38, 3, v36
	s_delay_alu instid0(VALU_DEP_2) | instskip(SKIP_1) | instid1(VALU_DEP_1)
	v_cmp_ne_u32_e32 vcc_lo, 0, v27
	v_and_b32_e32 v37, 0xfc, v37
	v_or3_b32 v26, v26, v37, v38
	s_delay_alu instid0(VALU_DEP_1) | instskip(NEXT) | instid1(VALU_DEP_1)
	v_lshlrev_b32_e32 v26, 8, v26
	v_cndmask_b32_e32 v36, 0, v26, vcc_lo
.LBB6_2287:                             ;   in Loop: Header=BB6_2207 Depth=3
	s_or_b32 exec_lo, exec_lo, s38
.LBB6_2288:                             ;   in Loop: Header=BB6_2207 Depth=3
	s_delay_alu instid0(SALU_CYCLE_1) | instskip(SKIP_3) | instid1(VALU_DEP_1)
	s_or_b32 exec_lo, exec_lo, s37
	v_lshrrev_b32_e32 v26, 16, v9
	s_mov_b32 s14, 0
	s_mov_b32 s38, exec_lo
                                        ; implicit-def: $sgpr37
	v_and_b32_e32 v37, 0xff, v26
	s_delay_alu instid0(VALU_DEP_1)
	v_cmpx_lt_i16_e32 0x7f, v37
	s_xor_b32 s38, exec_lo, s38
	s_cbranch_execnz .LBB6_2430
; %bb.2289:                             ;   in Loop: Header=BB6_2207 Depth=3
	s_or_saveexec_b32 s38, s38
	v_mov_b32_e32 v27, s37
	s_xor_b32 exec_lo, exec_lo, s38
	s_cbranch_execnz .LBB6_2433
.LBB6_2290:                             ;   in Loop: Header=BB6_2207 Depth=3
	s_or_b32 exec_lo, exec_lo, s38
	s_and_saveexec_b32 s37, s14
	s_cbranch_execz .LBB6_2292
.LBB6_2291:                             ;   in Loop: Header=BB6_2207 Depth=3
	v_bfe_u32 v27, v9, 16, 2
	s_delay_alu instid0(VALU_DEP_1) | instskip(NEXT) | instid1(VALU_DEP_1)
	v_clz_i32_u32_e32 v37, v27
	v_min_u32_e32 v37, 32, v37
	s_delay_alu instid0(VALU_DEP_1) | instskip(SKIP_1) | instid1(VALU_DEP_2)
	v_subrev_nc_u32_e32 v38, 29, v37
	v_sub_nc_u32_e32 v37, 30, v37
	v_lshlrev_b32_e32 v26, v38, v26
	v_bfe_u32 v38, v9, 18, 5
	s_delay_alu instid0(VALU_DEP_1) | instskip(NEXT) | instid1(VALU_DEP_3)
	v_cmp_eq_u32_e32 vcc_lo, 0, v38
	v_dual_cndmask_b32 v37, v38, v37 :: v_dual_and_b32 v26, 3, v26
	s_delay_alu instid0(VALU_DEP_1) | instskip(NEXT) | instid1(VALU_DEP_2)
	v_dual_cndmask_b32 v26, v27, v26 :: v_dual_lshlrev_b32 v39, 8, v9
	v_lshl_add_u32 v37, v37, 23, 0x37800000
	s_delay_alu instid0(VALU_DEP_2) | instskip(NEXT) | instid1(VALU_DEP_3)
	v_and_b32_e32 v27, 0x80000000, v39
	v_lshlrev_b32_e32 v26, 21, v26
	s_delay_alu instid0(VALU_DEP_1)
	v_or3_b32 v27, v27, v37, v26
.LBB6_2292:                             ;   in Loop: Header=BB6_2207 Depth=3
	s_or_b32 exec_lo, exec_lo, s37
	s_delay_alu instid0(VALU_DEP_1) | instskip(NEXT) | instid1(VALU_DEP_1)
	v_mul_f32_e32 v27, s36, v27
	v_and_b32_e32 v26, 0x7f800000, v27
	s_delay_alu instid0(VALU_DEP_1)
	v_cmp_ne_u32_e32 vcc_lo, 0x7f800000, v26
	v_mov_b32_e32 v26, 0x80
	s_and_saveexec_b32 s37, vcc_lo
	s_cbranch_execz .LBB6_2300
; %bb.2293:                             ;   in Loop: Header=BB6_2207 Depth=3
	v_mov_b32_e32 v26, 0
	s_mov_b32 s38, exec_lo
	v_cmpx_ne_u32_e32 0, v27
	s_cbranch_execz .LBB6_2299
; %bb.2294:                             ;   in Loop: Header=BB6_2207 Depth=3
	v_bfe_u32 v26, v27, 23, 8
	s_delay_alu instid0(VALU_DEP_1) | instskip(SKIP_1) | instid1(VALU_DEP_2)
	v_sub_nc_u32_e32 v38, 0x70, v26
	v_cmp_gt_u32_e32 vcc_lo, 0x71, v26
	v_dual_cndmask_b32 v38, 0, v38 :: v_dual_and_b32 v37, 0x7fffff, v27
	s_delay_alu instid0(VALU_DEP_1) | instskip(SKIP_2) | instid1(VALU_DEP_4)
	v_or_b32_e32 v39, 0x800000, v37
	v_cmp_eq_u32_e32 vcc_lo, 0, v26
	v_add_nc_u32_e32 v26, 0xffffff91, v26
	v_cndmask_b32_e64 v38, v38, 0x6f, vcc_lo
	s_delay_alu instid0(VALU_DEP_4) | instskip(NEXT) | instid1(VALU_DEP_3)
	v_cndmask_b32_e32 v37, v39, v37, vcc_lo
	v_cndmask_b32_e64 v26, v26, 0xffffff92, vcc_lo
	s_delay_alu instid0(VALU_DEP_3) | instskip(NEXT) | instid1(VALU_DEP_3)
	v_lshl_add_u32 v39, 0x200000, v38, -1
	v_lshrrev_b32_e32 v48, v38, v37
	v_lshlrev_b32_e64 v50, v38, 0x100000
	s_delay_alu instid0(VALU_DEP_4) | instskip(NEXT) | instid1(VALU_DEP_4)
	v_add_nc_u32_e32 v38, v38, v26
	v_and_b32_e32 v37, v39, v37
	s_delay_alu instid0(VALU_DEP_4) | instskip(NEXT) | instid1(VALU_DEP_2)
	v_bfe_u32 v49, v48, 21, 1
	v_cmp_eq_u32_e64 s14, v37, v50
	s_delay_alu instid0(VALU_DEP_2) | instskip(NEXT) | instid1(VALU_DEP_1)
	v_add_nc_u32_e32 v39, -1, v49
	v_cndmask_b32_e64 v37, 0, v39, s14
	v_lshrrev_b32_e32 v39, 23, v48
	s_mov_b32 s14, exec_lo
	s_delay_alu instid0(VALU_DEP_2) | instskip(NEXT) | instid1(VALU_DEP_2)
	v_add_nc_u32_e32 v37, v37, v48
	v_xor_b32_e32 v39, 1, v39
	s_delay_alu instid0(VALU_DEP_2) | instskip(NEXT) | instid1(VALU_DEP_1)
	v_and_b32_e32 v26, 0x1fffff, v37
	v_add_nc_u32_e32 v37, v26, v48
                                        ; implicit-def: $vgpr26
	s_delay_alu instid0(VALU_DEP_3)
	v_cmpx_ne_u32_e64 v38, v39
	s_xor_b32 s14, exec_lo, s14
; %bb.2295:                             ;   in Loop: Header=BB6_2207 Depth=3
	s_delay_alu instid0(VALU_DEP_2) | instskip(SKIP_2) | instid1(VALU_DEP_2)
	v_cmp_lt_u32_e32 vcc_lo, 0xffffff, v37
	v_sub_nc_u32_e32 v26, v38, v39
	v_cndmask_b32_e64 v38, 0, 1, vcc_lo
	v_add_co_ci_u32_e32 v26, vcc_lo, 0, v26, vcc_lo
	s_delay_alu instid0(VALU_DEP_2)
	v_lshrrev_b32_e32 v37, v38, v37
; %bb.2296:                             ;   in Loop: Header=BB6_2207 Depth=3
	s_and_not1_saveexec_b32 s14, s14
; %bb.2297:                             ;   in Loop: Header=BB6_2207 Depth=3
	s_delay_alu instid0(VALU_DEP_1)
	v_bfe_u32 v26, v37, 23, 1
; %bb.2298:                             ;   in Loop: Header=BB6_2207 Depth=3
	s_or_b32 exec_lo, exec_lo, s14
	v_lshrrev_b32_e32 v37, 21, v37
	s_delay_alu instid0(VALU_DEP_2) | instskip(SKIP_2) | instid1(VALU_DEP_2)
	v_cmp_gt_i32_e32 vcc_lo, 32, v26
	v_min_i32_e32 v38, 31, v26
	v_lshrrev_b32_e32 v27, 24, v27
	v_dual_cndmask_b32 v37, 3, v37 :: v_dual_lshlrev_b32 v38, 2, v38
	s_delay_alu instid0(VALU_DEP_2) | instskip(NEXT) | instid1(VALU_DEP_2)
	v_and_b32_e32 v27, 0x80, v27
	v_or_b32_e32 v26, v26, v37
	s_delay_alu instid0(VALU_DEP_3) | instskip(NEXT) | instid1(VALU_DEP_2)
	v_and_b32_e32 v38, 0xfc, v38
	v_cmp_ne_u32_e32 vcc_lo, 0, v26
	v_and_b32_e32 v39, 3, v37
	s_delay_alu instid0(VALU_DEP_1) | instskip(NEXT) | instid1(VALU_DEP_1)
	v_or3_b32 v27, v38, v27, v39
	v_cndmask_b32_e32 v26, 0, v27, vcc_lo
.LBB6_2299:                             ;   in Loop: Header=BB6_2207 Depth=3
	s_or_b32 exec_lo, exec_lo, s38
.LBB6_2300:                             ;   in Loop: Header=BB6_2207 Depth=3
	s_delay_alu instid0(SALU_CYCLE_1) | instskip(SKIP_3) | instid1(VALU_DEP_1)
	s_or_b32 exec_lo, exec_lo, s37
	v_lshrrev_b32_e32 v27, 24, v9
	s_mov_b32 s14, 0
	s_mov_b32 s38, exec_lo
                                        ; implicit-def: $sgpr37
	v_cmpx_lt_i16_e32 0x7f, v27
	s_xor_b32 s38, exec_lo, s38
	s_cbranch_execnz .LBB6_2434
; %bb.2301:                             ;   in Loop: Header=BB6_2207 Depth=3
	s_or_saveexec_b32 s38, s38
	v_mov_b32_e32 v37, s37
	s_xor_b32 exec_lo, exec_lo, s38
	s_cbranch_execnz .LBB6_2437
.LBB6_2302:                             ;   in Loop: Header=BB6_2207 Depth=3
	s_or_b32 exec_lo, exec_lo, s38
	s_and_saveexec_b32 s37, s14
	s_cbranch_execz .LBB6_2304
.LBB6_2303:                             ;   in Loop: Header=BB6_2207 Depth=3
	v_bfe_u32 v37, v9, 24, 2
	s_delay_alu instid0(VALU_DEP_1) | instskip(NEXT) | instid1(VALU_DEP_1)
	v_clz_i32_u32_e32 v38, v37
	v_min_u32_e32 v38, 32, v38
	s_delay_alu instid0(VALU_DEP_1) | instskip(SKIP_1) | instid1(VALU_DEP_2)
	v_subrev_nc_u32_e32 v39, 29, v38
	v_sub_nc_u32_e32 v38, 30, v38
	v_lshlrev_b32_e32 v27, v39, v27
	v_bfe_u32 v39, v9, 26, 5
	v_and_b32_e32 v9, 0x80000000, v9
	s_delay_alu instid0(VALU_DEP_2) | instskip(NEXT) | instid1(VALU_DEP_4)
	v_cmp_eq_u32_e32 vcc_lo, 0, v39
	v_dual_cndmask_b32 v38, v39, v38 :: v_dual_and_b32 v27, 3, v27
	s_delay_alu instid0(VALU_DEP_1) | instskip(NEXT) | instid1(VALU_DEP_2)
	v_cndmask_b32_e32 v27, v37, v27, vcc_lo
	v_lshl_add_u32 v37, v38, 23, 0x37800000
	s_delay_alu instid0(VALU_DEP_2) | instskip(NEXT) | instid1(VALU_DEP_1)
	v_lshlrev_b32_e32 v27, 21, v27
	v_or3_b32 v37, v9, v37, v27
.LBB6_2304:                             ;   in Loop: Header=BB6_2207 Depth=3
	s_or_b32 exec_lo, exec_lo, s37
	s_delay_alu instid0(VALU_DEP_1) | instskip(NEXT) | instid1(VALU_DEP_1)
	v_mul_f32_e32 v27, s36, v37
	v_and_b32_e32 v9, 0x7f800000, v27
	s_delay_alu instid0(VALU_DEP_1)
	v_cmp_ne_u32_e32 vcc_lo, 0x7f800000, v9
	v_mov_b32_e32 v9, 0x8000
	s_and_saveexec_b32 s37, vcc_lo
	s_cbranch_execz .LBB6_2312
; %bb.2305:                             ;   in Loop: Header=BB6_2207 Depth=3
	v_mov_b32_e32 v9, 0
	s_mov_b32 s38, exec_lo
	v_cmpx_ne_u32_e32 0, v27
	s_cbranch_execz .LBB6_2311
; %bb.2306:                             ;   in Loop: Header=BB6_2207 Depth=3
	v_bfe_u32 v9, v27, 23, 8
	s_delay_alu instid0(VALU_DEP_1) | instskip(SKIP_1) | instid1(VALU_DEP_2)
	v_sub_nc_u32_e32 v38, 0x70, v9
	v_cmp_gt_u32_e32 vcc_lo, 0x71, v9
	v_dual_cndmask_b32 v38, 0, v38 :: v_dual_and_b32 v37, 0x7fffff, v27
	s_delay_alu instid0(VALU_DEP_1) | instskip(SKIP_2) | instid1(VALU_DEP_4)
	v_or_b32_e32 v39, 0x800000, v37
	v_cmp_eq_u32_e32 vcc_lo, 0, v9
	v_add_nc_u32_e32 v9, 0xffffff91, v9
	v_cndmask_b32_e64 v38, v38, 0x6f, vcc_lo
	s_delay_alu instid0(VALU_DEP_4) | instskip(NEXT) | instid1(VALU_DEP_3)
	v_cndmask_b32_e32 v37, v39, v37, vcc_lo
	v_cndmask_b32_e64 v9, v9, 0xffffff92, vcc_lo
	s_delay_alu instid0(VALU_DEP_3) | instskip(NEXT) | instid1(VALU_DEP_3)
	v_lshl_add_u32 v39, 0x200000, v38, -1
	v_lshrrev_b32_e32 v48, v38, v37
	v_lshlrev_b32_e64 v50, v38, 0x100000
	s_delay_alu instid0(VALU_DEP_4) | instskip(NEXT) | instid1(VALU_DEP_4)
	v_add_nc_u32_e32 v38, v38, v9
	v_and_b32_e32 v37, v39, v37
	s_delay_alu instid0(VALU_DEP_4) | instskip(NEXT) | instid1(VALU_DEP_2)
	v_bfe_u32 v49, v48, 21, 1
	v_cmp_eq_u32_e64 s14, v37, v50
	s_delay_alu instid0(VALU_DEP_2) | instskip(NEXT) | instid1(VALU_DEP_1)
	v_add_nc_u32_e32 v39, -1, v49
	v_cndmask_b32_e64 v37, 0, v39, s14
	v_lshrrev_b32_e32 v39, 23, v48
	s_mov_b32 s14, exec_lo
	s_delay_alu instid0(VALU_DEP_2) | instskip(NEXT) | instid1(VALU_DEP_2)
	v_add_nc_u32_e32 v37, v37, v48
	v_xor_b32_e32 v39, 1, v39
	s_delay_alu instid0(VALU_DEP_2) | instskip(NEXT) | instid1(VALU_DEP_1)
	v_and_b32_e32 v9, 0x1fffff, v37
	v_add_nc_u32_e32 v37, v9, v48
                                        ; implicit-def: $vgpr9
	s_delay_alu instid0(VALU_DEP_3)
	v_cmpx_ne_u32_e64 v38, v39
	s_xor_b32 s14, exec_lo, s14
; %bb.2307:                             ;   in Loop: Header=BB6_2207 Depth=3
	s_delay_alu instid0(VALU_DEP_2) | instskip(SKIP_2) | instid1(VALU_DEP_2)
	v_cmp_lt_u32_e32 vcc_lo, 0xffffff, v37
	v_sub_nc_u32_e32 v9, v38, v39
	v_cndmask_b32_e64 v38, 0, 1, vcc_lo
	v_add_co_ci_u32_e32 v9, vcc_lo, 0, v9, vcc_lo
	s_delay_alu instid0(VALU_DEP_2)
	v_lshrrev_b32_e32 v37, v38, v37
; %bb.2308:                             ;   in Loop: Header=BB6_2207 Depth=3
	s_and_not1_saveexec_b32 s14, s14
; %bb.2309:                             ;   in Loop: Header=BB6_2207 Depth=3
	s_delay_alu instid0(VALU_DEP_1)
	v_bfe_u32 v9, v37, 23, 1
; %bb.2310:                             ;   in Loop: Header=BB6_2207 Depth=3
	s_or_b32 exec_lo, exec_lo, s14
	v_lshrrev_b32_e32 v37, 21, v37
	s_delay_alu instid0(VALU_DEP_2) | instskip(SKIP_2) | instid1(VALU_DEP_2)
	v_cmp_gt_i32_e32 vcc_lo, 32, v9
	v_min_i32_e32 v38, 31, v9
	v_lshrrev_b32_e32 v27, 24, v27
	v_dual_cndmask_b32 v37, 3, v37 :: v_dual_lshlrev_b32 v38, 2, v38
	s_delay_alu instid0(VALU_DEP_2) | instskip(NEXT) | instid1(VALU_DEP_2)
	v_and_b32_e32 v27, 0x80, v27
	v_or_b32_e32 v9, v9, v37
	v_and_b32_e32 v39, 3, v37
	s_delay_alu instid0(VALU_DEP_2) | instskip(SKIP_1) | instid1(VALU_DEP_1)
	v_cmp_ne_u32_e32 vcc_lo, 0, v9
	v_and_b32_e32 v38, 0xfc, v38
	v_or3_b32 v27, v27, v38, v39
	s_delay_alu instid0(VALU_DEP_1) | instskip(NEXT) | instid1(VALU_DEP_1)
	v_lshlrev_b32_e32 v27, 8, v27
	v_cndmask_b32_e32 v9, 0, v27, vcc_lo
.LBB6_2311:                             ;   in Loop: Header=BB6_2207 Depth=3
	s_or_b32 exec_lo, exec_lo, s38
.LBB6_2312:                             ;   in Loop: Header=BB6_2207 Depth=3
	s_delay_alu instid0(SALU_CYCLE_1) | instskip(SKIP_3) | instid1(VALU_DEP_1)
	s_or_b32 exec_lo, exec_lo, s37
	v_and_b32_e32 v37, 0xff, v10
	s_mov_b32 s14, 0
	s_mov_b32 s38, exec_lo
                                        ; implicit-def: $sgpr37
	v_cmpx_lt_i16_e32 0x7f, v37
	s_xor_b32 s38, exec_lo, s38
	s_cbranch_execnz .LBB6_2438
; %bb.2313:                             ;   in Loop: Header=BB6_2207 Depth=3
	s_or_saveexec_b32 s38, s38
	v_mov_b32_e32 v27, s37
	s_xor_b32 exec_lo, exec_lo, s38
	s_cbranch_execnz .LBB6_2441
.LBB6_2314:                             ;   in Loop: Header=BB6_2207 Depth=3
	s_or_b32 exec_lo, exec_lo, s38
	s_and_saveexec_b32 s37, s14
	s_cbranch_execz .LBB6_2316
.LBB6_2315:                             ;   in Loop: Header=BB6_2207 Depth=3
	v_and_b32_e32 v27, 3, v10
	v_bfe_u32 v39, v10, 2, 5
	v_lshlrev_b32_e32 v48, 24, v10
	s_delay_alu instid0(VALU_DEP_3) | instskip(NEXT) | instid1(VALU_DEP_3)
	v_clz_i32_u32_e32 v37, v27
	v_cmp_eq_u32_e32 vcc_lo, 0, v39
	s_delay_alu instid0(VALU_DEP_2) | instskip(NEXT) | instid1(VALU_DEP_1)
	v_min_u32_e32 v37, 32, v37
	v_subrev_nc_u32_e32 v38, 29, v37
	v_sub_nc_u32_e32 v37, 30, v37
	s_delay_alu instid0(VALU_DEP_1) | instskip(NEXT) | instid1(VALU_DEP_1)
	v_dual_cndmask_b32 v37, v39, v37 :: v_dual_lshlrev_b32 v38, v38, v10
	v_and_b32_e32 v38, 3, v38
	s_delay_alu instid0(VALU_DEP_2) | instskip(NEXT) | instid1(VALU_DEP_2)
	v_lshl_add_u32 v37, v37, 23, 0x37800000
	v_dual_cndmask_b32 v27, v27, v38 :: v_dual_and_b32 v38, 0x80000000, v48
	s_delay_alu instid0(VALU_DEP_1) | instskip(NEXT) | instid1(VALU_DEP_1)
	v_lshlrev_b32_e32 v27, 21, v27
	v_or3_b32 v27, v38, v37, v27
.LBB6_2316:                             ;   in Loop: Header=BB6_2207 Depth=3
	s_or_b32 exec_lo, exec_lo, s37
	s_delay_alu instid0(VALU_DEP_1) | instskip(NEXT) | instid1(VALU_DEP_1)
	v_mul_f32_e32 v37, s36, v27
	v_and_b32_e32 v27, 0x7f800000, v37
	s_delay_alu instid0(VALU_DEP_1)
	v_cmp_ne_u32_e32 vcc_lo, 0x7f800000, v27
	v_mov_b32_e32 v27, 0x80
	s_and_saveexec_b32 s37, vcc_lo
	s_cbranch_execz .LBB6_2324
; %bb.2317:                             ;   in Loop: Header=BB6_2207 Depth=3
	v_mov_b32_e32 v27, 0
	s_mov_b32 s38, exec_lo
	v_cmpx_ne_u32_e32 0, v37
	s_cbranch_execz .LBB6_2323
; %bb.2318:                             ;   in Loop: Header=BB6_2207 Depth=3
	v_bfe_u32 v27, v37, 23, 8
	s_delay_alu instid0(VALU_DEP_1) | instskip(SKIP_1) | instid1(VALU_DEP_2)
	v_sub_nc_u32_e32 v39, 0x70, v27
	v_cmp_gt_u32_e32 vcc_lo, 0x71, v27
	v_dual_cndmask_b32 v39, 0, v39 :: v_dual_and_b32 v38, 0x7fffff, v37
	s_delay_alu instid0(VALU_DEP_1) | instskip(SKIP_2) | instid1(VALU_DEP_4)
	v_or_b32_e32 v48, 0x800000, v38
	v_cmp_eq_u32_e32 vcc_lo, 0, v27
	v_add_nc_u32_e32 v27, 0xffffff91, v27
	v_cndmask_b32_e64 v39, v39, 0x6f, vcc_lo
	s_delay_alu instid0(VALU_DEP_4) | instskip(NEXT) | instid1(VALU_DEP_3)
	v_cndmask_b32_e32 v38, v48, v38, vcc_lo
	v_cndmask_b32_e64 v27, v27, 0xffffff92, vcc_lo
	s_delay_alu instid0(VALU_DEP_3) | instskip(NEXT) | instid1(VALU_DEP_3)
	v_lshl_add_u32 v48, 0x200000, v39, -1
	v_lshrrev_b32_e32 v49, v39, v38
	v_lshlrev_b32_e64 v51, v39, 0x100000
	s_delay_alu instid0(VALU_DEP_4) | instskip(NEXT) | instid1(VALU_DEP_4)
	v_add_nc_u32_e32 v39, v39, v27
	v_and_b32_e32 v38, v48, v38
	s_delay_alu instid0(VALU_DEP_4) | instskip(NEXT) | instid1(VALU_DEP_2)
	v_bfe_u32 v50, v49, 21, 1
	v_cmp_eq_u32_e64 s14, v38, v51
	s_delay_alu instid0(VALU_DEP_2) | instskip(NEXT) | instid1(VALU_DEP_1)
	v_add_nc_u32_e32 v48, -1, v50
	v_cndmask_b32_e64 v38, 0, v48, s14
	v_lshrrev_b32_e32 v48, 23, v49
	s_mov_b32 s14, exec_lo
	s_delay_alu instid0(VALU_DEP_2) | instskip(NEXT) | instid1(VALU_DEP_2)
	v_add_nc_u32_e32 v38, v38, v49
	v_xor_b32_e32 v48, 1, v48
	s_delay_alu instid0(VALU_DEP_2) | instskip(NEXT) | instid1(VALU_DEP_1)
	v_and_b32_e32 v27, 0x1fffff, v38
	v_add_nc_u32_e32 v38, v27, v49
                                        ; implicit-def: $vgpr27
	s_delay_alu instid0(VALU_DEP_3)
	v_cmpx_ne_u32_e64 v39, v48
	s_xor_b32 s14, exec_lo, s14
; %bb.2319:                             ;   in Loop: Header=BB6_2207 Depth=3
	s_delay_alu instid0(VALU_DEP_2) | instskip(SKIP_2) | instid1(VALU_DEP_2)
	v_cmp_lt_u32_e32 vcc_lo, 0xffffff, v38
	v_sub_nc_u32_e32 v27, v39, v48
	v_cndmask_b32_e64 v39, 0, 1, vcc_lo
	v_add_co_ci_u32_e32 v27, vcc_lo, 0, v27, vcc_lo
	s_delay_alu instid0(VALU_DEP_2)
	v_lshrrev_b32_e32 v38, v39, v38
; %bb.2320:                             ;   in Loop: Header=BB6_2207 Depth=3
	s_and_not1_saveexec_b32 s14, s14
; %bb.2321:                             ;   in Loop: Header=BB6_2207 Depth=3
	s_delay_alu instid0(VALU_DEP_1)
	v_bfe_u32 v27, v38, 23, 1
; %bb.2322:                             ;   in Loop: Header=BB6_2207 Depth=3
	s_or_b32 exec_lo, exec_lo, s14
	v_lshrrev_b32_e32 v38, 21, v38
	s_delay_alu instid0(VALU_DEP_2) | instskip(SKIP_2) | instid1(VALU_DEP_2)
	v_cmp_gt_i32_e32 vcc_lo, 32, v27
	v_lshrrev_b32_e32 v37, 24, v37
	v_min_i32_e32 v39, 31, v27
	v_dual_cndmask_b32 v38, 3, v38 :: v_dual_and_b32 v37, 0x80, v37
	s_delay_alu instid0(VALU_DEP_2) | instskip(NEXT) | instid1(VALU_DEP_2)
	v_lshlrev_b32_e32 v39, 2, v39
	v_or_b32_e32 v27, v27, v38
	s_delay_alu instid0(VALU_DEP_1) | instskip(SKIP_1) | instid1(VALU_DEP_1)
	v_cmp_ne_u32_e32 vcc_lo, 0, v27
	v_and_b32_e32 v48, 3, v38
	v_or3_b32 v37, v39, v37, v48
	s_delay_alu instid0(VALU_DEP_1)
	v_cndmask_b32_e32 v27, 0, v37, vcc_lo
.LBB6_2323:                             ;   in Loop: Header=BB6_2207 Depth=3
	s_or_b32 exec_lo, exec_lo, s38
.LBB6_2324:                             ;   in Loop: Header=BB6_2207 Depth=3
	s_delay_alu instid0(SALU_CYCLE_1) | instskip(SKIP_3) | instid1(VALU_DEP_1)
	s_or_b32 exec_lo, exec_lo, s37
	v_lshrrev_b16 v37, 8, v10
	s_mov_b32 s14, 0
	s_mov_b32 s38, exec_lo
                                        ; implicit-def: $sgpr37
	v_cmpx_lt_i16_e32 0x7f, v37
	s_xor_b32 s38, exec_lo, s38
	s_cbranch_execnz .LBB6_2442
; %bb.2325:                             ;   in Loop: Header=BB6_2207 Depth=3
	s_or_saveexec_b32 s38, s38
	v_mov_b32_e32 v38, s37
	s_xor_b32 exec_lo, exec_lo, s38
	s_cbranch_execnz .LBB6_2445
.LBB6_2326:                             ;   in Loop: Header=BB6_2207 Depth=3
	s_or_b32 exec_lo, exec_lo, s38
	s_and_saveexec_b32 s37, s14
	s_cbranch_execz .LBB6_2328
.LBB6_2327:                             ;   in Loop: Header=BB6_2207 Depth=3
	v_and_b32_e32 v38, 0xffff, v37
	v_lshlrev_b32_e32 v37, 24, v37
	s_delay_alu instid0(VALU_DEP_2) | instskip(NEXT) | instid1(VALU_DEP_2)
	v_and_b32_e32 v39, 3, v38
	v_and_b32_e32 v37, 0x80000000, v37
	s_delay_alu instid0(VALU_DEP_2) | instskip(NEXT) | instid1(VALU_DEP_1)
	v_clz_i32_u32_e32 v48, v39
	v_min_u32_e32 v48, 32, v48
	s_delay_alu instid0(VALU_DEP_1) | instskip(SKIP_1) | instid1(VALU_DEP_2)
	v_subrev_nc_u32_e32 v49, 29, v48
	v_sub_nc_u32_e32 v48, 30, v48
	v_lshlrev_b32_e32 v49, v49, v38
	v_bfe_u32 v38, v38, 2, 5
	s_delay_alu instid0(VALU_DEP_2) | instskip(NEXT) | instid1(VALU_DEP_2)
	v_and_b32_e32 v49, 3, v49
	v_cmp_eq_u32_e32 vcc_lo, 0, v38
	s_delay_alu instid0(VALU_DEP_2) | instskip(NEXT) | instid1(VALU_DEP_1)
	v_dual_cndmask_b32 v38, v38, v48 :: v_dual_cndmask_b32 v39, v39, v49
	v_lshl_add_u32 v38, v38, 23, 0x37800000
	s_delay_alu instid0(VALU_DEP_2) | instskip(NEXT) | instid1(VALU_DEP_1)
	v_lshlrev_b32_e32 v39, 21, v39
	v_or3_b32 v38, v37, v38, v39
.LBB6_2328:                             ;   in Loop: Header=BB6_2207 Depth=3
	s_or_b32 exec_lo, exec_lo, s37
	s_delay_alu instid0(VALU_DEP_1) | instskip(NEXT) | instid1(VALU_DEP_1)
	v_mul_f32_e32 v38, s36, v38
	v_and_b32_e32 v37, 0x7f800000, v38
	s_delay_alu instid0(VALU_DEP_1)
	v_cmp_ne_u32_e32 vcc_lo, 0x7f800000, v37
	v_mov_b32_e32 v37, 0x80
	s_and_saveexec_b32 s37, vcc_lo
	s_cbranch_execz .LBB6_2336
; %bb.2329:                             ;   in Loop: Header=BB6_2207 Depth=3
	v_mov_b32_e32 v37, 0
	s_mov_b32 s38, exec_lo
	v_cmpx_ne_u32_e32 0, v38
	s_cbranch_execz .LBB6_2335
; %bb.2330:                             ;   in Loop: Header=BB6_2207 Depth=3
	v_bfe_u32 v37, v38, 23, 8
	s_delay_alu instid0(VALU_DEP_1) | instskip(SKIP_1) | instid1(VALU_DEP_2)
	v_sub_nc_u32_e32 v48, 0x70, v37
	v_cmp_gt_u32_e32 vcc_lo, 0x71, v37
	v_dual_cndmask_b32 v48, 0, v48 :: v_dual_and_b32 v39, 0x7fffff, v38
	s_delay_alu instid0(VALU_DEP_1) | instskip(SKIP_2) | instid1(VALU_DEP_4)
	v_or_b32_e32 v49, 0x800000, v39
	v_cmp_eq_u32_e32 vcc_lo, 0, v37
	v_add_nc_u32_e32 v37, 0xffffff91, v37
	v_cndmask_b32_e64 v48, v48, 0x6f, vcc_lo
	s_delay_alu instid0(VALU_DEP_2) | instskip(SKIP_1) | instid1(VALU_DEP_3)
	v_cndmask_b32_e64 v37, v37, 0xffffff92, vcc_lo
	v_cndmask_b32_e32 v39, v49, v39, vcc_lo
	v_lshl_add_u32 v49, 0x200000, v48, -1
	v_lshlrev_b32_e64 v52, v48, 0x100000
	s_delay_alu instid0(VALU_DEP_3) | instskip(SKIP_1) | instid1(VALU_DEP_4)
	v_lshrrev_b32_e32 v50, v48, v39
	v_add_nc_u32_e32 v48, v48, v37
	v_and_b32_e32 v39, v49, v39
	s_delay_alu instid0(VALU_DEP_3) | instskip(NEXT) | instid1(VALU_DEP_2)
	v_bfe_u32 v51, v50, 21, 1
	v_cmp_eq_u32_e64 s14, v39, v52
	s_delay_alu instid0(VALU_DEP_2) | instskip(NEXT) | instid1(VALU_DEP_1)
	v_add_nc_u32_e32 v49, -1, v51
	v_cndmask_b32_e64 v39, 0, v49, s14
	v_lshrrev_b32_e32 v49, 23, v50
	s_mov_b32 s14, exec_lo
	s_delay_alu instid0(VALU_DEP_2) | instskip(NEXT) | instid1(VALU_DEP_2)
	v_add_nc_u32_e32 v39, v39, v50
	v_xor_b32_e32 v49, 1, v49
	s_delay_alu instid0(VALU_DEP_2) | instskip(NEXT) | instid1(VALU_DEP_1)
	v_and_b32_e32 v37, 0x1fffff, v39
	v_add_nc_u32_e32 v39, v37, v50
                                        ; implicit-def: $vgpr37
	s_delay_alu instid0(VALU_DEP_3)
	v_cmpx_ne_u32_e64 v48, v49
	s_xor_b32 s14, exec_lo, s14
; %bb.2331:                             ;   in Loop: Header=BB6_2207 Depth=3
	s_delay_alu instid0(VALU_DEP_2) | instskip(SKIP_2) | instid1(VALU_DEP_2)
	v_cmp_lt_u32_e32 vcc_lo, 0xffffff, v39
	v_sub_nc_u32_e32 v37, v48, v49
	v_cndmask_b32_e64 v48, 0, 1, vcc_lo
	v_add_co_ci_u32_e32 v37, vcc_lo, 0, v37, vcc_lo
	s_delay_alu instid0(VALU_DEP_2)
	v_lshrrev_b32_e32 v39, v48, v39
; %bb.2332:                             ;   in Loop: Header=BB6_2207 Depth=3
	s_and_not1_saveexec_b32 s14, s14
; %bb.2333:                             ;   in Loop: Header=BB6_2207 Depth=3
	s_delay_alu instid0(VALU_DEP_1)
	v_bfe_u32 v37, v39, 23, 1
; %bb.2334:                             ;   in Loop: Header=BB6_2207 Depth=3
	s_or_b32 exec_lo, exec_lo, s14
	v_lshrrev_b32_e32 v39, 21, v39
	s_delay_alu instid0(VALU_DEP_2) | instskip(SKIP_2) | instid1(VALU_DEP_2)
	v_cmp_gt_i32_e32 vcc_lo, 32, v37
	v_lshrrev_b32_e32 v38, 24, v38
	v_min_i32_e32 v48, 31, v37
	v_dual_cndmask_b32 v39, 3, v39 :: v_dual_and_b32 v38, 0x80, v38
	s_delay_alu instid0(VALU_DEP_1) | instskip(SKIP_1) | instid1(VALU_DEP_2)
	v_or_b32_e32 v37, v37, v39
	v_and_b32_e32 v49, 3, v39
	v_cmp_ne_u32_e32 vcc_lo, 0, v37
	v_lshlrev_b32_e32 v48, 2, v48
	s_delay_alu instid0(VALU_DEP_1) | instskip(NEXT) | instid1(VALU_DEP_1)
	v_or3_b32 v38, v48, v38, v49
	v_cndmask_b32_e32 v37, 0, v38, vcc_lo
.LBB6_2335:                             ;   in Loop: Header=BB6_2207 Depth=3
	s_or_b32 exec_lo, exec_lo, s38
.LBB6_2336:                             ;   in Loop: Header=BB6_2207 Depth=3
	s_delay_alu instid0(SALU_CYCLE_1) | instskip(SKIP_3) | instid1(VALU_DEP_1)
	s_or_b32 exec_lo, exec_lo, s37
	v_lshrrev_b32_e32 v38, 16, v10
	s_mov_b32 s14, 0
	s_mov_b32 s38, exec_lo
                                        ; implicit-def: $sgpr37
	v_and_b32_e32 v48, 0xff, v38
	s_delay_alu instid0(VALU_DEP_1)
	v_cmpx_lt_i16_e32 0x7f, v48
	s_xor_b32 s38, exec_lo, s38
	s_cbranch_execnz .LBB6_2446
; %bb.2337:                             ;   in Loop: Header=BB6_2207 Depth=3
	s_or_saveexec_b32 s38, s38
	v_mov_b32_e32 v39, s37
	s_xor_b32 exec_lo, exec_lo, s38
	s_cbranch_execnz .LBB6_2449
.LBB6_2338:                             ;   in Loop: Header=BB6_2207 Depth=3
	s_or_b32 exec_lo, exec_lo, s38
	s_and_saveexec_b32 s37, s14
	s_cbranch_execz .LBB6_2340
.LBB6_2339:                             ;   in Loop: Header=BB6_2207 Depth=3
	v_bfe_u32 v39, v10, 16, 2
	v_lshlrev_b32_e32 v50, 8, v10
	s_delay_alu instid0(VALU_DEP_2) | instskip(NEXT) | instid1(VALU_DEP_1)
	v_clz_i32_u32_e32 v48, v39
	v_min_u32_e32 v48, 32, v48
	s_delay_alu instid0(VALU_DEP_1) | instskip(SKIP_1) | instid1(VALU_DEP_2)
	v_subrev_nc_u32_e32 v49, 29, v48
	v_sub_nc_u32_e32 v48, 30, v48
	v_lshlrev_b32_e32 v38, v49, v38
	v_bfe_u32 v49, v10, 18, 5
	s_delay_alu instid0(VALU_DEP_2) | instskip(NEXT) | instid1(VALU_DEP_2)
	v_and_b32_e32 v38, 3, v38
	v_cmp_eq_u32_e32 vcc_lo, 0, v49
	v_cndmask_b32_e32 v48, v49, v48, vcc_lo
	s_delay_alu instid0(VALU_DEP_3) | instskip(SKIP_1) | instid1(VALU_DEP_3)
	v_cndmask_b32_e32 v38, v39, v38, vcc_lo
	v_and_b32_e32 v39, 0x80000000, v50
	v_lshl_add_u32 v48, v48, 23, 0x37800000
	s_delay_alu instid0(VALU_DEP_3) | instskip(NEXT) | instid1(VALU_DEP_1)
	v_lshlrev_b32_e32 v38, 21, v38
	v_or3_b32 v39, v39, v48, v38
.LBB6_2340:                             ;   in Loop: Header=BB6_2207 Depth=3
	s_or_b32 exec_lo, exec_lo, s37
	s_delay_alu instid0(VALU_DEP_1) | instskip(NEXT) | instid1(VALU_DEP_1)
	v_mul_f32_e32 v39, s36, v39
	v_and_b32_e32 v38, 0x7f800000, v39
	s_delay_alu instid0(VALU_DEP_1)
	v_cmp_ne_u32_e32 vcc_lo, 0x7f800000, v38
	v_mov_b32_e32 v38, 0x80
	s_and_saveexec_b32 s37, vcc_lo
	s_cbranch_execz .LBB6_2348
; %bb.2341:                             ;   in Loop: Header=BB6_2207 Depth=3
	v_mov_b32_e32 v38, 0
	s_mov_b32 s38, exec_lo
	v_cmpx_ne_u32_e32 0, v39
	s_cbranch_execz .LBB6_2347
; %bb.2342:                             ;   in Loop: Header=BB6_2207 Depth=3
	v_bfe_u32 v38, v39, 23, 8
	s_delay_alu instid0(VALU_DEP_1) | instskip(SKIP_1) | instid1(VALU_DEP_2)
	v_sub_nc_u32_e32 v49, 0x70, v38
	v_cmp_gt_u32_e32 vcc_lo, 0x71, v38
	v_dual_cndmask_b32 v49, 0, v49 :: v_dual_and_b32 v48, 0x7fffff, v39
	s_delay_alu instid0(VALU_DEP_1) | instskip(SKIP_2) | instid1(VALU_DEP_4)
	v_or_b32_e32 v50, 0x800000, v48
	v_cmp_eq_u32_e32 vcc_lo, 0, v38
	v_add_nc_u32_e32 v38, 0xffffff91, v38
	v_cndmask_b32_e64 v49, v49, 0x6f, vcc_lo
	s_delay_alu instid0(VALU_DEP_2) | instskip(SKIP_1) | instid1(VALU_DEP_3)
	v_cndmask_b32_e64 v38, v38, 0xffffff92, vcc_lo
	v_cndmask_b32_e32 v48, v50, v48, vcc_lo
	v_lshl_add_u32 v51, 0x200000, v49, -1
	v_lshlrev_b32_e64 v53, v49, 0x100000
	s_delay_alu instid0(VALU_DEP_3) | instskip(SKIP_1) | instid1(VALU_DEP_4)
	v_lshrrev_b32_e32 v50, v49, v48
	v_add_nc_u32_e32 v49, v49, v38
	v_and_b32_e32 v48, v51, v48
	s_delay_alu instid0(VALU_DEP_3) | instskip(NEXT) | instid1(VALU_DEP_2)
	v_bfe_u32 v52, v50, 21, 1
	v_cmp_eq_u32_e64 s14, v48, v53
	s_delay_alu instid0(VALU_DEP_2) | instskip(NEXT) | instid1(VALU_DEP_1)
	v_add_nc_u32_e32 v51, -1, v52
	v_cndmask_b32_e64 v48, 0, v51, s14
	v_lshrrev_b32_e32 v51, 23, v50
	s_mov_b32 s14, exec_lo
	s_delay_alu instid0(VALU_DEP_2) | instskip(NEXT) | instid1(VALU_DEP_2)
	v_add_nc_u32_e32 v48, v48, v50
	v_xor_b32_e32 v52, 1, v51
	s_delay_alu instid0(VALU_DEP_2) | instskip(NEXT) | instid1(VALU_DEP_1)
	v_and_b32_e32 v38, 0x1fffff, v48
	v_add_nc_u32_e32 v48, v38, v50
                                        ; implicit-def: $vgpr38
	s_delay_alu instid0(VALU_DEP_3)
	v_cmpx_ne_u32_e64 v49, v52
	s_xor_b32 s14, exec_lo, s14
; %bb.2343:                             ;   in Loop: Header=BB6_2207 Depth=3
	s_delay_alu instid0(VALU_DEP_2) | instskip(SKIP_2) | instid1(VALU_DEP_2)
	v_cmp_lt_u32_e32 vcc_lo, 0xffffff, v48
	v_sub_nc_u32_e32 v38, v49, v52
	v_cndmask_b32_e64 v49, 0, 1, vcc_lo
	v_add_co_ci_u32_e32 v38, vcc_lo, 0, v38, vcc_lo
	s_delay_alu instid0(VALU_DEP_2)
	v_lshrrev_b32_e32 v48, v49, v48
; %bb.2344:                             ;   in Loop: Header=BB6_2207 Depth=3
	s_and_not1_saveexec_b32 s14, s14
; %bb.2345:                             ;   in Loop: Header=BB6_2207 Depth=3
	s_delay_alu instid0(VALU_DEP_1)
	v_bfe_u32 v38, v48, 23, 1
; %bb.2346:                             ;   in Loop: Header=BB6_2207 Depth=3
	s_or_b32 exec_lo, exec_lo, s14
	v_lshrrev_b32_e32 v48, 21, v48
	s_delay_alu instid0(VALU_DEP_2) | instskip(SKIP_2) | instid1(VALU_DEP_2)
	v_cmp_gt_i32_e32 vcc_lo, 32, v38
	v_lshrrev_b32_e32 v39, 24, v39
	v_min_i32_e32 v49, 31, v38
	v_dual_cndmask_b32 v48, 3, v48 :: v_dual_and_b32 v39, 0x80, v39
	s_delay_alu instid0(VALU_DEP_1) | instskip(SKIP_1) | instid1(VALU_DEP_2)
	v_or_b32_e32 v38, v38, v48
	v_and_b32_e32 v50, 3, v48
	v_cmp_ne_u32_e32 vcc_lo, 0, v38
	v_lshlrev_b32_e32 v49, 2, v49
	s_delay_alu instid0(VALU_DEP_1) | instskip(NEXT) | instid1(VALU_DEP_1)
	v_or3_b32 v39, v49, v39, v50
	v_cndmask_b32_e32 v38, 0, v39, vcc_lo
.LBB6_2347:                             ;   in Loop: Header=BB6_2207 Depth=3
	s_or_b32 exec_lo, exec_lo, s38
.LBB6_2348:                             ;   in Loop: Header=BB6_2207 Depth=3
	s_delay_alu instid0(SALU_CYCLE_1) | instskip(SKIP_3) | instid1(VALU_DEP_1)
	s_or_b32 exec_lo, exec_lo, s37
	v_lshrrev_b32_e32 v39, 24, v10
	s_mov_b32 s14, 0
	s_mov_b32 s38, exec_lo
                                        ; implicit-def: $sgpr37
	v_cmpx_lt_i16_e32 0x7f, v39
	s_xor_b32 s38, exec_lo, s38
	s_cbranch_execnz .LBB6_2450
; %bb.2349:                             ;   in Loop: Header=BB6_2207 Depth=3
	s_or_saveexec_b32 s38, s38
	v_mov_b32_e32 v48, s37
	s_xor_b32 exec_lo, exec_lo, s38
	s_cbranch_execnz .LBB6_2453
.LBB6_2350:                             ;   in Loop: Header=BB6_2207 Depth=3
	s_or_b32 exec_lo, exec_lo, s38
	s_and_saveexec_b32 s37, s14
	s_cbranch_execz .LBB6_2352
.LBB6_2351:                             ;   in Loop: Header=BB6_2207 Depth=3
	v_bfe_u32 v48, v10, 24, 2
	s_delay_alu instid0(VALU_DEP_1) | instskip(NEXT) | instid1(VALU_DEP_1)
	v_clz_i32_u32_e32 v49, v48
	v_min_u32_e32 v49, 32, v49
	s_delay_alu instid0(VALU_DEP_1) | instskip(SKIP_1) | instid1(VALU_DEP_2)
	v_subrev_nc_u32_e32 v50, 29, v49
	v_sub_nc_u32_e32 v49, 30, v49
	v_lshlrev_b32_e32 v39, v50, v39
	v_bfe_u32 v50, v10, 26, 5
	v_and_b32_e32 v10, 0x80000000, v10
	s_delay_alu instid0(VALU_DEP_3) | instskip(NEXT) | instid1(VALU_DEP_3)
	v_and_b32_e32 v39, 3, v39
	v_cmp_eq_u32_e32 vcc_lo, 0, v50
	v_cndmask_b32_e32 v49, v50, v49, vcc_lo
	s_delay_alu instid0(VALU_DEP_3) | instskip(NEXT) | instid1(VALU_DEP_2)
	v_cndmask_b32_e32 v39, v48, v39, vcc_lo
	v_lshl_add_u32 v48, v49, 23, 0x37800000
	s_delay_alu instid0(VALU_DEP_2) | instskip(NEXT) | instid1(VALU_DEP_1)
	v_lshlrev_b32_e32 v39, 21, v39
	v_or3_b32 v48, v10, v48, v39
.LBB6_2352:                             ;   in Loop: Header=BB6_2207 Depth=3
	s_or_b32 exec_lo, exec_lo, s37
	s_delay_alu instid0(VALU_DEP_1) | instskip(NEXT) | instid1(VALU_DEP_1)
	v_mul_f32_e32 v39, s36, v48
	v_and_b32_e32 v10, 0x7f800000, v39
	s_delay_alu instid0(VALU_DEP_1)
	v_cmp_ne_u32_e32 vcc_lo, 0x7f800000, v10
	v_mov_b32_e32 v10, 0x80
	s_and_saveexec_b32 s37, vcc_lo
	s_cbranch_execz .LBB6_2360
; %bb.2353:                             ;   in Loop: Header=BB6_2207 Depth=3
	v_mov_b32_e32 v10, 0
	s_mov_b32 s38, exec_lo
	v_cmpx_ne_u32_e32 0, v39
	s_cbranch_execz .LBB6_2359
; %bb.2354:                             ;   in Loop: Header=BB6_2207 Depth=3
	v_bfe_u32 v10, v39, 23, 8
	s_delay_alu instid0(VALU_DEP_1) | instskip(SKIP_1) | instid1(VALU_DEP_2)
	v_sub_nc_u32_e32 v49, 0x70, v10
	v_cmp_gt_u32_e32 vcc_lo, 0x71, v10
	v_dual_cndmask_b32 v49, 0, v49 :: v_dual_and_b32 v48, 0x7fffff, v39
	s_delay_alu instid0(VALU_DEP_1) | instskip(SKIP_2) | instid1(VALU_DEP_4)
	v_or_b32_e32 v50, 0x800000, v48
	v_cmp_eq_u32_e32 vcc_lo, 0, v10
	v_add_nc_u32_e32 v10, 0xffffff91, v10
	v_cndmask_b32_e64 v49, v49, 0x6f, vcc_lo
	s_delay_alu instid0(VALU_DEP_2) | instskip(SKIP_1) | instid1(VALU_DEP_3)
	v_cndmask_b32_e64 v10, v10, 0xffffff92, vcc_lo
	v_cndmask_b32_e32 v48, v50, v48, vcc_lo
	v_lshl_add_u32 v51, 0x200000, v49, -1
	v_lshlrev_b32_e64 v53, v49, 0x100000
	s_delay_alu instid0(VALU_DEP_3) | instskip(SKIP_1) | instid1(VALU_DEP_4)
	v_lshrrev_b32_e32 v50, v49, v48
	v_add_nc_u32_e32 v49, v49, v10
	v_and_b32_e32 v48, v51, v48
	s_delay_alu instid0(VALU_DEP_3) | instskip(NEXT) | instid1(VALU_DEP_2)
	v_bfe_u32 v52, v50, 21, 1
	v_cmp_eq_u32_e64 s14, v48, v53
	s_delay_alu instid0(VALU_DEP_2) | instskip(NEXT) | instid1(VALU_DEP_1)
	v_add_nc_u32_e32 v51, -1, v52
	v_cndmask_b32_e64 v48, 0, v51, s14
	v_lshrrev_b32_e32 v51, 23, v50
	s_mov_b32 s14, exec_lo
	s_delay_alu instid0(VALU_DEP_2) | instskip(NEXT) | instid1(VALU_DEP_2)
	v_add_nc_u32_e32 v48, v48, v50
	v_xor_b32_e32 v52, 1, v51
	s_delay_alu instid0(VALU_DEP_2) | instskip(NEXT) | instid1(VALU_DEP_1)
	v_and_b32_e32 v10, 0x1fffff, v48
	v_add_nc_u32_e32 v48, v10, v50
                                        ; implicit-def: $vgpr10
	s_delay_alu instid0(VALU_DEP_3)
	v_cmpx_ne_u32_e64 v49, v52
	s_xor_b32 s14, exec_lo, s14
; %bb.2355:                             ;   in Loop: Header=BB6_2207 Depth=3
	s_delay_alu instid0(VALU_DEP_2) | instskip(SKIP_2) | instid1(VALU_DEP_2)
	v_cmp_lt_u32_e32 vcc_lo, 0xffffff, v48
	v_sub_nc_u32_e32 v10, v49, v52
	v_cndmask_b32_e64 v49, 0, 1, vcc_lo
	v_add_co_ci_u32_e32 v10, vcc_lo, 0, v10, vcc_lo
	s_delay_alu instid0(VALU_DEP_2)
	v_lshrrev_b32_e32 v48, v49, v48
; %bb.2356:                             ;   in Loop: Header=BB6_2207 Depth=3
	s_and_not1_saveexec_b32 s14, s14
; %bb.2357:                             ;   in Loop: Header=BB6_2207 Depth=3
	s_delay_alu instid0(VALU_DEP_1)
	v_bfe_u32 v10, v48, 23, 1
; %bb.2358:                             ;   in Loop: Header=BB6_2207 Depth=3
	s_or_b32 exec_lo, exec_lo, s14
	v_lshrrev_b32_e32 v48, 21, v48
	s_delay_alu instid0(VALU_DEP_2) | instskip(SKIP_2) | instid1(VALU_DEP_2)
	v_cmp_gt_i32_e32 vcc_lo, 32, v10
	v_lshrrev_b32_e32 v39, 24, v39
	v_min_i32_e32 v49, 31, v10
	v_dual_cndmask_b32 v48, 3, v48 :: v_dual_and_b32 v39, 0x80, v39
	s_delay_alu instid0(VALU_DEP_1) | instskip(SKIP_1) | instid1(VALU_DEP_2)
	v_or_b32_e32 v10, v10, v48
	v_and_b32_e32 v50, 3, v48
	v_cmp_ne_u32_e32 vcc_lo, 0, v10
	v_lshlrev_b32_e32 v49, 2, v49
	s_delay_alu instid0(VALU_DEP_1) | instskip(NEXT) | instid1(VALU_DEP_1)
	v_or3_b32 v39, v49, v39, v50
	v_cndmask_b32_e32 v10, 0, v39, vcc_lo
.LBB6_2359:                             ;   in Loop: Header=BB6_2207 Depth=3
	s_or_b32 exec_lo, exec_lo, s38
.LBB6_2360:                             ;   in Loop: Header=BB6_2207 Depth=3
	s_delay_alu instid0(SALU_CYCLE_1) | instskip(SKIP_3) | instid1(VALU_DEP_1)
	s_or_b32 exec_lo, exec_lo, s37
	v_and_b32_e32 v48, 0xff, v11
	s_mov_b32 s14, 0
	s_mov_b32 s38, exec_lo
                                        ; implicit-def: $sgpr37
	v_cmpx_lt_i16_e32 0x7f, v48
	s_xor_b32 s38, exec_lo, s38
	s_cbranch_execnz .LBB6_2454
; %bb.2361:                             ;   in Loop: Header=BB6_2207 Depth=3
	s_or_saveexec_b32 s38, s38
	v_mov_b32_e32 v39, s37
	s_xor_b32 exec_lo, exec_lo, s38
	s_cbranch_execnz .LBB6_2457
.LBB6_2362:                             ;   in Loop: Header=BB6_2207 Depth=3
	s_or_b32 exec_lo, exec_lo, s38
	s_and_saveexec_b32 s37, s14
	s_cbranch_execz .LBB6_2364
.LBB6_2363:                             ;   in Loop: Header=BB6_2207 Depth=3
	v_bfe_u32 v50, v11, 2, 5
	v_lshlrev_b32_e32 v51, 24, v11
	s_delay_alu instid0(VALU_DEP_2) | instskip(SKIP_1) | instid1(VALU_DEP_1)
	v_cmp_eq_u32_e32 vcc_lo, 0, v50
	v_and_b32_e32 v39, 3, v11
	v_clz_i32_u32_e32 v48, v39
	s_delay_alu instid0(VALU_DEP_1) | instskip(NEXT) | instid1(VALU_DEP_1)
	v_min_u32_e32 v48, 32, v48
	v_subrev_nc_u32_e32 v49, 29, v48
	v_sub_nc_u32_e32 v48, 30, v48
	s_delay_alu instid0(VALU_DEP_1) | instskip(NEXT) | instid1(VALU_DEP_1)
	v_dual_cndmask_b32 v48, v50, v48 :: v_dual_lshlrev_b32 v49, v49, v11
	v_and_b32_e32 v49, 3, v49
	s_delay_alu instid0(VALU_DEP_2) | instskip(NEXT) | instid1(VALU_DEP_2)
	v_lshl_add_u32 v48, v48, 23, 0x37800000
	v_cndmask_b32_e32 v39, v39, v49, vcc_lo
	v_and_b32_e32 v49, 0x80000000, v51
	s_delay_alu instid0(VALU_DEP_2) | instskip(NEXT) | instid1(VALU_DEP_1)
	v_lshlrev_b32_e32 v39, 21, v39
	v_or3_b32 v39, v49, v48, v39
.LBB6_2364:                             ;   in Loop: Header=BB6_2207 Depth=3
	s_or_b32 exec_lo, exec_lo, s37
	s_delay_alu instid0(VALU_DEP_1) | instskip(NEXT) | instid1(VALU_DEP_1)
	v_mul_f32_e32 v48, s36, v39
	v_and_b32_e32 v39, 0x7f800000, v48
	s_delay_alu instid0(VALU_DEP_1)
	v_cmp_ne_u32_e32 vcc_lo, 0x7f800000, v39
	v_mov_b32_e32 v39, 0x80
	s_and_saveexec_b32 s37, vcc_lo
	s_cbranch_execz .LBB6_2372
; %bb.2365:                             ;   in Loop: Header=BB6_2207 Depth=3
	v_mov_b32_e32 v39, 0
	s_mov_b32 s38, exec_lo
	v_cmpx_ne_u32_e32 0, v48
	s_cbranch_execz .LBB6_2371
; %bb.2366:                             ;   in Loop: Header=BB6_2207 Depth=3
	v_bfe_u32 v39, v48, 23, 8
	s_delay_alu instid0(VALU_DEP_1) | instskip(SKIP_1) | instid1(VALU_DEP_2)
	v_sub_nc_u32_e32 v50, 0x70, v39
	v_cmp_gt_u32_e32 vcc_lo, 0x71, v39
	v_dual_cndmask_b32 v50, 0, v50 :: v_dual_and_b32 v49, 0x7fffff, v48
	s_delay_alu instid0(VALU_DEP_1) | instskip(SKIP_2) | instid1(VALU_DEP_4)
	v_or_b32_e32 v51, 0x800000, v49
	v_cmp_eq_u32_e32 vcc_lo, 0, v39
	v_add_nc_u32_e32 v39, 0xffffff91, v39
	v_cndmask_b32_e64 v50, v50, 0x6f, vcc_lo
	s_delay_alu instid0(VALU_DEP_2) | instskip(SKIP_1) | instid1(VALU_DEP_3)
	v_cndmask_b32_e64 v39, v39, 0xffffff92, vcc_lo
	v_cndmask_b32_e32 v49, v51, v49, vcc_lo
	v_lshl_add_u32 v52, 0x200000, v50, -1
	v_lshlrev_b32_e64 v54, v50, 0x100000
	s_delay_alu instid0(VALU_DEP_3) | instskip(NEXT) | instid1(VALU_DEP_3)
	v_lshrrev_b32_e32 v51, v50, v49
	v_and_b32_e32 v49, v52, v49
	s_delay_alu instid0(VALU_DEP_2) | instskip(NEXT) | instid1(VALU_DEP_2)
	v_bfe_u32 v53, v51, 21, 1
	v_cmp_eq_u32_e64 s14, v49, v54
	s_delay_alu instid0(VALU_DEP_2) | instskip(SKIP_1) | instid1(VALU_DEP_2)
	v_add_nc_u32_e32 v52, -1, v53
	v_lshrrev_b32_e32 v53, 23, v51
	v_cndmask_b32_e64 v49, 0, v52, s14
	v_add_nc_u32_e32 v52, v50, v39
	s_delay_alu instid0(VALU_DEP_3) | instskip(SKIP_1) | instid1(VALU_DEP_3)
	v_xor_b32_e32 v53, 1, v53
	s_mov_b32 s14, exec_lo
	v_add_nc_u32_e32 v49, v49, v51
	s_delay_alu instid0(VALU_DEP_1) | instskip(NEXT) | instid1(VALU_DEP_1)
	v_and_b32_e32 v39, 0x1fffff, v49
	v_add_nc_u32_e32 v49, v39, v51
                                        ; implicit-def: $vgpr39
	v_cmpx_ne_u32_e64 v52, v53
	s_xor_b32 s14, exec_lo, s14
; %bb.2367:                             ;   in Loop: Header=BB6_2207 Depth=3
	s_delay_alu instid0(VALU_DEP_2) | instskip(SKIP_2) | instid1(VALU_DEP_2)
	v_cmp_lt_u32_e32 vcc_lo, 0xffffff, v49
	v_sub_nc_u32_e32 v39, v52, v53
	v_cndmask_b32_e64 v50, 0, 1, vcc_lo
	v_add_co_ci_u32_e32 v39, vcc_lo, 0, v39, vcc_lo
	s_delay_alu instid0(VALU_DEP_2)
	v_lshrrev_b32_e32 v49, v50, v49
; %bb.2368:                             ;   in Loop: Header=BB6_2207 Depth=3
	s_and_not1_saveexec_b32 s14, s14
; %bb.2369:                             ;   in Loop: Header=BB6_2207 Depth=3
	s_delay_alu instid0(VALU_DEP_1)
	v_bfe_u32 v39, v49, 23, 1
; %bb.2370:                             ;   in Loop: Header=BB6_2207 Depth=3
	s_or_b32 exec_lo, exec_lo, s14
	v_lshrrev_b32_e32 v49, 21, v49
	s_delay_alu instid0(VALU_DEP_2) | instskip(SKIP_2) | instid1(VALU_DEP_2)
	v_cmp_gt_i32_e32 vcc_lo, 32, v39
	v_min_i32_e32 v50, 31, v39
	v_lshrrev_b32_e32 v48, 24, v48
	v_dual_cndmask_b32 v49, 3, v49 :: v_dual_lshlrev_b32 v50, 2, v50
	s_delay_alu instid0(VALU_DEP_2) | instskip(NEXT) | instid1(VALU_DEP_2)
	v_and_b32_e32 v48, 0x80, v48
	v_or_b32_e32 v39, v39, v49
	v_and_b32_e32 v51, 3, v49
	s_delay_alu instid0(VALU_DEP_2) | instskip(SKIP_1) | instid1(VALU_DEP_1)
	v_cmp_ne_u32_e32 vcc_lo, 0, v39
	v_and_b32_e32 v50, 0xfc, v50
	v_or3_b32 v48, v50, v48, v51
	s_delay_alu instid0(VALU_DEP_1)
	v_cndmask_b32_e32 v39, 0, v48, vcc_lo
.LBB6_2371:                             ;   in Loop: Header=BB6_2207 Depth=3
	s_or_b32 exec_lo, exec_lo, s38
.LBB6_2372:                             ;   in Loop: Header=BB6_2207 Depth=3
	s_delay_alu instid0(SALU_CYCLE_1) | instskip(SKIP_3) | instid1(VALU_DEP_1)
	s_or_b32 exec_lo, exec_lo, s37
	v_lshrrev_b16 v48, 8, v11
	s_mov_b32 s14, 0
	s_mov_b32 s38, exec_lo
                                        ; implicit-def: $sgpr37
	v_cmpx_lt_i16_e32 0x7f, v48
	s_xor_b32 s38, exec_lo, s38
	s_cbranch_execnz .LBB6_2458
; %bb.2373:                             ;   in Loop: Header=BB6_2207 Depth=3
	s_or_saveexec_b32 s38, s38
	v_mov_b32_e32 v49, s37
	s_xor_b32 exec_lo, exec_lo, s38
	s_cbranch_execnz .LBB6_2461
.LBB6_2374:                             ;   in Loop: Header=BB6_2207 Depth=3
	s_or_b32 exec_lo, exec_lo, s38
	s_and_saveexec_b32 s37, s14
	s_cbranch_execz .LBB6_2376
.LBB6_2375:                             ;   in Loop: Header=BB6_2207 Depth=3
	v_and_b32_e32 v49, 0xffff, v48
	v_lshlrev_b32_e32 v48, 24, v48
	s_delay_alu instid0(VALU_DEP_2) | instskip(NEXT) | instid1(VALU_DEP_2)
	v_and_b32_e32 v50, 3, v49
	v_and_b32_e32 v48, 0x80000000, v48
	s_delay_alu instid0(VALU_DEP_2) | instskip(NEXT) | instid1(VALU_DEP_1)
	v_clz_i32_u32_e32 v51, v50
	v_min_u32_e32 v51, 32, v51
	s_delay_alu instid0(VALU_DEP_1) | instskip(SKIP_1) | instid1(VALU_DEP_2)
	v_subrev_nc_u32_e32 v52, 29, v51
	v_sub_nc_u32_e32 v51, 30, v51
	v_lshlrev_b32_e32 v52, v52, v49
	v_bfe_u32 v49, v49, 2, 5
	s_delay_alu instid0(VALU_DEP_2) | instskip(NEXT) | instid1(VALU_DEP_2)
	v_and_b32_e32 v52, 3, v52
	v_cmp_eq_u32_e32 vcc_lo, 0, v49
	s_delay_alu instid0(VALU_DEP_2) | instskip(NEXT) | instid1(VALU_DEP_1)
	v_dual_cndmask_b32 v49, v49, v51 :: v_dual_cndmask_b32 v50, v50, v52
	v_lshl_add_u32 v49, v49, 23, 0x37800000
	s_delay_alu instid0(VALU_DEP_2) | instskip(NEXT) | instid1(VALU_DEP_1)
	v_lshlrev_b32_e32 v50, 21, v50
	v_or3_b32 v49, v48, v49, v50
.LBB6_2376:                             ;   in Loop: Header=BB6_2207 Depth=3
	s_or_b32 exec_lo, exec_lo, s37
	s_delay_alu instid0(VALU_DEP_1) | instskip(NEXT) | instid1(VALU_DEP_1)
	v_mul_f32_e32 v49, s36, v49
	v_and_b32_e32 v48, 0x7f800000, v49
	s_delay_alu instid0(VALU_DEP_1)
	v_cmp_ne_u32_e32 vcc_lo, 0x7f800000, v48
	v_mov_b32_e32 v48, 0x8000
	s_and_saveexec_b32 s37, vcc_lo
	s_cbranch_execz .LBB6_2384
; %bb.2377:                             ;   in Loop: Header=BB6_2207 Depth=3
	v_mov_b32_e32 v48, 0
	s_mov_b32 s38, exec_lo
	v_cmpx_ne_u32_e32 0, v49
	s_cbranch_execz .LBB6_2383
; %bb.2378:                             ;   in Loop: Header=BB6_2207 Depth=3
	v_bfe_u32 v48, v49, 23, 8
	s_delay_alu instid0(VALU_DEP_1) | instskip(SKIP_1) | instid1(VALU_DEP_2)
	v_sub_nc_u32_e32 v51, 0x70, v48
	v_cmp_gt_u32_e32 vcc_lo, 0x71, v48
	v_dual_cndmask_b32 v51, 0, v51 :: v_dual_and_b32 v50, 0x7fffff, v49
	s_delay_alu instid0(VALU_DEP_1) | instskip(SKIP_2) | instid1(VALU_DEP_4)
	v_or_b32_e32 v52, 0x800000, v50
	v_cmp_eq_u32_e32 vcc_lo, 0, v48
	v_add_nc_u32_e32 v48, 0xffffff91, v48
	v_cndmask_b32_e64 v51, v51, 0x6f, vcc_lo
	s_delay_alu instid0(VALU_DEP_2) | instskip(SKIP_1) | instid1(VALU_DEP_3)
	v_cndmask_b32_e64 v48, v48, 0xffffff92, vcc_lo
	v_cndmask_b32_e32 v50, v52, v50, vcc_lo
	v_lshl_add_u32 v53, 0x200000, v51, -1
	v_lshlrev_b32_e64 v55, v51, 0x100000
	s_delay_alu instid0(VALU_DEP_3) | instskip(NEXT) | instid1(VALU_DEP_3)
	v_lshrrev_b32_e32 v52, v51, v50
	v_and_b32_e32 v50, v53, v50
	s_delay_alu instid0(VALU_DEP_2) | instskip(NEXT) | instid1(VALU_DEP_2)
	v_bfe_u32 v54, v52, 21, 1
	v_cmp_eq_u32_e64 s14, v50, v55
	s_delay_alu instid0(VALU_DEP_2) | instskip(SKIP_1) | instid1(VALU_DEP_2)
	v_add_nc_u32_e32 v53, -1, v54
	v_lshrrev_b32_e32 v54, 23, v52
	v_cndmask_b32_e64 v50, 0, v53, s14
	v_add_nc_u32_e32 v53, v51, v48
	s_delay_alu instid0(VALU_DEP_3) | instskip(SKIP_1) | instid1(VALU_DEP_3)
	v_xor_b32_e32 v54, 1, v54
	s_mov_b32 s14, exec_lo
	v_add_nc_u32_e32 v50, v50, v52
	s_delay_alu instid0(VALU_DEP_1) | instskip(NEXT) | instid1(VALU_DEP_1)
	v_and_b32_e32 v48, 0x1fffff, v50
	v_add_nc_u32_e32 v52, v48, v52
                                        ; implicit-def: $vgpr48
	v_cmpx_ne_u32_e64 v53, v54
	s_xor_b32 s14, exec_lo, s14
; %bb.2379:                             ;   in Loop: Header=BB6_2207 Depth=3
	s_delay_alu instid0(VALU_DEP_2) | instskip(SKIP_2) | instid1(VALU_DEP_2)
	v_cmp_lt_u32_e32 vcc_lo, 0xffffff, v52
	v_sub_nc_u32_e32 v48, v53, v54
	v_cndmask_b32_e64 v50, 0, 1, vcc_lo
	v_add_co_ci_u32_e32 v48, vcc_lo, 0, v48, vcc_lo
	s_delay_alu instid0(VALU_DEP_2)
	v_lshrrev_b32_e32 v52, v50, v52
; %bb.2380:                             ;   in Loop: Header=BB6_2207 Depth=3
	s_and_not1_saveexec_b32 s14, s14
; %bb.2381:                             ;   in Loop: Header=BB6_2207 Depth=3
	s_delay_alu instid0(VALU_DEP_1)
	v_bfe_u32 v48, v52, 23, 1
; %bb.2382:                             ;   in Loop: Header=BB6_2207 Depth=3
	s_or_b32 exec_lo, exec_lo, s14
	v_lshrrev_b32_e32 v50, 21, v52
	s_delay_alu instid0(VALU_DEP_2) | instskip(SKIP_2) | instid1(VALU_DEP_2)
	v_cmp_gt_i32_e32 vcc_lo, 32, v48
	v_min_i32_e32 v51, 31, v48
	v_lshrrev_b32_e32 v49, 24, v49
	v_dual_cndmask_b32 v50, 3, v50 :: v_dual_lshlrev_b32 v51, 2, v51
	s_delay_alu instid0(VALU_DEP_2) | instskip(NEXT) | instid1(VALU_DEP_2)
	v_and_b32_e32 v49, 0x80, v49
	v_or_b32_e32 v48, v48, v50
	v_and_b32_e32 v52, 3, v50
	s_delay_alu instid0(VALU_DEP_2) | instskip(SKIP_1) | instid1(VALU_DEP_1)
	v_cmp_ne_u32_e32 vcc_lo, 0, v48
	v_and_b32_e32 v51, 0xfc, v51
	v_or3_b32 v49, v49, v51, v52
	s_delay_alu instid0(VALU_DEP_1) | instskip(NEXT) | instid1(VALU_DEP_1)
	v_lshlrev_b32_e32 v49, 8, v49
	v_cndmask_b32_e32 v48, 0, v49, vcc_lo
.LBB6_2383:                             ;   in Loop: Header=BB6_2207 Depth=3
	s_or_b32 exec_lo, exec_lo, s38
.LBB6_2384:                             ;   in Loop: Header=BB6_2207 Depth=3
	s_delay_alu instid0(SALU_CYCLE_1) | instskip(SKIP_3) | instid1(VALU_DEP_1)
	s_or_b32 exec_lo, exec_lo, s37
	v_lshrrev_b32_e32 v49, 16, v11
	s_mov_b32 s14, 0
	s_mov_b32 s38, exec_lo
                                        ; implicit-def: $sgpr37
	v_and_b32_e32 v53, 0xff, v49
	s_delay_alu instid0(VALU_DEP_1)
	v_cmpx_lt_i16_e32 0x7f, v53
	s_xor_b32 s38, exec_lo, s38
	s_cbranch_execnz .LBB6_2462
; %bb.2385:                             ;   in Loop: Header=BB6_2207 Depth=3
	s_or_saveexec_b32 s38, s38
	v_mov_b32_e32 v52, s37
	s_xor_b32 exec_lo, exec_lo, s38
	s_cbranch_execnz .LBB6_2465
.LBB6_2386:                             ;   in Loop: Header=BB6_2207 Depth=3
	s_or_b32 exec_lo, exec_lo, s38
	s_and_saveexec_b32 s37, s14
	s_cbranch_execz .LBB6_2388
.LBB6_2387:                             ;   in Loop: Header=BB6_2207 Depth=3
	v_bfe_u32 v50, v11, 16, 2
	v_lshlrev_b32_e32 v53, 8, v11
	s_delay_alu instid0(VALU_DEP_2) | instskip(NEXT) | instid1(VALU_DEP_1)
	v_clz_i32_u32_e32 v51, v50
	v_min_u32_e32 v51, 32, v51
	s_delay_alu instid0(VALU_DEP_1) | instskip(SKIP_1) | instid1(VALU_DEP_2)
	v_subrev_nc_u32_e32 v52, 29, v51
	v_sub_nc_u32_e32 v51, 30, v51
	v_lshlrev_b32_e32 v49, v52, v49
	v_bfe_u32 v52, v11, 18, 5
	s_delay_alu instid0(VALU_DEP_2) | instskip(NEXT) | instid1(VALU_DEP_2)
	v_and_b32_e32 v49, 3, v49
	v_cmp_eq_u32_e32 vcc_lo, 0, v52
	v_cndmask_b32_e32 v51, v52, v51, vcc_lo
	s_delay_alu instid0(VALU_DEP_3) | instskip(SKIP_1) | instid1(VALU_DEP_3)
	v_cndmask_b32_e32 v49, v50, v49, vcc_lo
	v_and_b32_e32 v50, 0x80000000, v53
	v_lshl_add_u32 v51, v51, 23, 0x37800000
	s_delay_alu instid0(VALU_DEP_3) | instskip(NEXT) | instid1(VALU_DEP_1)
	v_lshlrev_b32_e32 v49, 21, v49
	v_or3_b32 v52, v50, v51, v49
.LBB6_2388:                             ;   in Loop: Header=BB6_2207 Depth=3
	s_or_b32 exec_lo, exec_lo, s37
	s_delay_alu instid0(VALU_DEP_1) | instskip(NEXT) | instid1(VALU_DEP_1)
	v_mul_f32_e32 v52, s36, v52
	v_and_b32_e32 v49, 0x7f800000, v52
	s_delay_alu instid0(VALU_DEP_1)
	v_cmp_ne_u32_e32 vcc_lo, 0x7f800000, v49
	v_mov_b32_e32 v49, 0x80
	s_and_saveexec_b32 s37, vcc_lo
	s_cbranch_execz .LBB6_2396
; %bb.2389:                             ;   in Loop: Header=BB6_2207 Depth=3
	v_mov_b32_e32 v49, 0
	s_mov_b32 s38, exec_lo
	v_cmpx_ne_u32_e32 0, v52
	s_cbranch_execz .LBB6_2395
; %bb.2390:                             ;   in Loop: Header=BB6_2207 Depth=3
	v_bfe_u32 v49, v52, 23, 8
	s_delay_alu instid0(VALU_DEP_1) | instskip(SKIP_1) | instid1(VALU_DEP_2)
	v_sub_nc_u32_e32 v51, 0x70, v49
	v_cmp_gt_u32_e32 vcc_lo, 0x71, v49
	v_dual_cndmask_b32 v51, 0, v51 :: v_dual_and_b32 v50, 0x7fffff, v52
	s_delay_alu instid0(VALU_DEP_1) | instskip(SKIP_2) | instid1(VALU_DEP_4)
	v_or_b32_e32 v53, 0x800000, v50
	v_cmp_eq_u32_e32 vcc_lo, 0, v49
	v_add_nc_u32_e32 v49, 0xffffff91, v49
	v_cndmask_b32_e64 v51, v51, 0x6f, vcc_lo
	s_delay_alu instid0(VALU_DEP_4) | instskip(NEXT) | instid1(VALU_DEP_3)
	v_cndmask_b32_e32 v50, v53, v50, vcc_lo
	v_cndmask_b32_e64 v49, v49, 0xffffff92, vcc_lo
	s_delay_alu instid0(VALU_DEP_3) | instskip(NEXT) | instid1(VALU_DEP_3)
	v_lshl_add_u32 v54, 0x200000, v51, -1
	v_lshrrev_b32_e32 v53, v51, v50
	v_lshlrev_b32_e64 v85, v51, 0x100000
	s_delay_alu instid0(VALU_DEP_3) | instskip(NEXT) | instid1(VALU_DEP_3)
	v_and_b32_e32 v50, v54, v50
	v_bfe_u32 v55, v53, 21, 1
	s_delay_alu instid0(VALU_DEP_2) | instskip(NEXT) | instid1(VALU_DEP_2)
	v_cmp_eq_u32_e64 s14, v50, v85
	v_add_nc_u32_e32 v54, -1, v55
	v_lshrrev_b32_e32 v55, 23, v53
	s_delay_alu instid0(VALU_DEP_2) | instskip(SKIP_1) | instid1(VALU_DEP_3)
	v_cndmask_b32_e64 v50, 0, v54, s14
	v_add_nc_u32_e32 v54, v51, v49
	v_xor_b32_e32 v55, 1, v55
	s_mov_b32 s14, exec_lo
	s_delay_alu instid0(VALU_DEP_3) | instskip(NEXT) | instid1(VALU_DEP_1)
	v_add_nc_u32_e32 v50, v50, v53
	v_and_b32_e32 v49, 0x1fffff, v50
	s_delay_alu instid0(VALU_DEP_1)
	v_add_nc_u32_e32 v53, v49, v53
                                        ; implicit-def: $vgpr49
	v_cmpx_ne_u32_e64 v54, v55
	s_xor_b32 s14, exec_lo, s14
; %bb.2391:                             ;   in Loop: Header=BB6_2207 Depth=3
	s_delay_alu instid0(VALU_DEP_2) | instskip(SKIP_2) | instid1(VALU_DEP_2)
	v_cmp_lt_u32_e32 vcc_lo, 0xffffff, v53
	v_sub_nc_u32_e32 v49, v54, v55
	v_cndmask_b32_e64 v50, 0, 1, vcc_lo
	v_add_co_ci_u32_e32 v49, vcc_lo, 0, v49, vcc_lo
	s_delay_alu instid0(VALU_DEP_2)
	v_lshrrev_b32_e32 v53, v50, v53
; %bb.2392:                             ;   in Loop: Header=BB6_2207 Depth=3
	s_and_not1_saveexec_b32 s14, s14
; %bb.2393:                             ;   in Loop: Header=BB6_2207 Depth=3
	s_delay_alu instid0(VALU_DEP_1)
	v_bfe_u32 v49, v53, 23, 1
; %bb.2394:                             ;   in Loop: Header=BB6_2207 Depth=3
	s_or_b32 exec_lo, exec_lo, s14
	v_lshrrev_b32_e32 v50, 21, v53
	s_delay_alu instid0(VALU_DEP_2) | instskip(SKIP_2) | instid1(VALU_DEP_2)
	v_cmp_gt_i32_e32 vcc_lo, 32, v49
	v_min_i32_e32 v51, 31, v49
	v_lshrrev_b32_e32 v52, 24, v52
	v_dual_cndmask_b32 v50, 3, v50 :: v_dual_lshlrev_b32 v51, 2, v51
	s_delay_alu instid0(VALU_DEP_1) | instskip(SKIP_1) | instid1(VALU_DEP_3)
	v_or_b32_e32 v49, v49, v50
	v_and_b32_e32 v53, 3, v50
	v_and_b32_e32 v51, 0xfc, v51
	s_delay_alu instid0(VALU_DEP_3) | instskip(SKIP_1) | instid1(VALU_DEP_1)
	v_cmp_ne_u32_e32 vcc_lo, 0, v49
	v_and_b32_e32 v52, 0x80, v52
	v_or3_b32 v50, v51, v52, v53
	s_delay_alu instid0(VALU_DEP_1)
	v_cndmask_b32_e32 v49, 0, v50, vcc_lo
.LBB6_2395:                             ;   in Loop: Header=BB6_2207 Depth=3
	s_or_b32 exec_lo, exec_lo, s38
.LBB6_2396:                             ;   in Loop: Header=BB6_2207 Depth=3
	s_delay_alu instid0(SALU_CYCLE_1) | instskip(SKIP_3) | instid1(VALU_DEP_1)
	s_or_b32 exec_lo, exec_lo, s37
	v_lshrrev_b32_e32 v52, 24, v11
	s_mov_b32 s14, 0
	s_mov_b32 s38, exec_lo
                                        ; implicit-def: $sgpr37
	v_cmpx_lt_i16_e32 0x7f, v52
	s_xor_b32 s38, exec_lo, s38
	s_cbranch_execnz .LBB6_2466
; %bb.2397:                             ;   in Loop: Header=BB6_2207 Depth=3
	s_or_saveexec_b32 s38, s38
	v_mov_b32_e32 v53, s37
	s_xor_b32 exec_lo, exec_lo, s38
	s_cbranch_execnz .LBB6_2469
.LBB6_2398:                             ;   in Loop: Header=BB6_2207 Depth=3
	s_or_b32 exec_lo, exec_lo, s38
	s_and_saveexec_b32 s37, s14
	s_cbranch_execz .LBB6_2400
.LBB6_2399:                             ;   in Loop: Header=BB6_2207 Depth=3
	v_bfe_u32 v50, v11, 24, 2
	s_delay_alu instid0(VALU_DEP_1) | instskip(NEXT) | instid1(VALU_DEP_1)
	v_clz_i32_u32_e32 v51, v50
	v_min_u32_e32 v51, 32, v51
	s_delay_alu instid0(VALU_DEP_1) | instskip(SKIP_1) | instid1(VALU_DEP_2)
	v_subrev_nc_u32_e32 v53, 29, v51
	v_sub_nc_u32_e32 v51, 30, v51
	v_lshlrev_b32_e32 v52, v53, v52
	v_bfe_u32 v53, v11, 26, 5
	v_and_b32_e32 v11, 0x80000000, v11
	s_delay_alu instid0(VALU_DEP_2) | instskip(NEXT) | instid1(VALU_DEP_4)
	v_cmp_eq_u32_e32 vcc_lo, 0, v53
	v_dual_cndmask_b32 v51, v53, v51 :: v_dual_and_b32 v52, 3, v52
	s_delay_alu instid0(VALU_DEP_1) | instskip(NEXT) | instid1(VALU_DEP_2)
	v_cndmask_b32_e32 v50, v50, v52, vcc_lo
	v_lshl_add_u32 v51, v51, 23, 0x37800000
	s_delay_alu instid0(VALU_DEP_2) | instskip(NEXT) | instid1(VALU_DEP_1)
	v_lshlrev_b32_e32 v50, 21, v50
	v_or3_b32 v53, v11, v51, v50
.LBB6_2400:                             ;   in Loop: Header=BB6_2207 Depth=3
	s_or_b32 exec_lo, exec_lo, s37
	s_delay_alu instid0(VALU_DEP_1) | instskip(SKIP_1) | instid1(VALU_DEP_1)
	v_dual_mul_f32 v11, s36, v53 :: v_dual_mov_b32 v52, 0x8000
	s_mov_b32 s36, exec_lo
	v_and_b32_e32 v50, 0x7f800000, v11
	s_delay_alu instid0(VALU_DEP_1)
	v_cmpx_ne_u32_e32 0x7f800000, v50
	s_cbranch_execz .LBB6_2206
; %bb.2401:                             ;   in Loop: Header=BB6_2207 Depth=3
	v_mov_b32_e32 v52, 0
	s_mov_b32 s37, exec_lo
	v_cmpx_ne_u32_e32 0, v11
	s_cbranch_execz .LBB6_2205
; %bb.2402:                             ;   in Loop: Header=BB6_2207 Depth=3
	v_bfe_u32 v50, v11, 23, 8
	s_delay_alu instid0(VALU_DEP_1) | instskip(SKIP_1) | instid1(VALU_DEP_2)
	v_sub_nc_u32_e32 v52, 0x70, v50
	v_cmp_gt_u32_e32 vcc_lo, 0x71, v50
	v_dual_cndmask_b32 v52, 0, v52 :: v_dual_and_b32 v51, 0x7fffff, v11
	s_delay_alu instid0(VALU_DEP_1) | instskip(SKIP_2) | instid1(VALU_DEP_4)
	v_or_b32_e32 v53, 0x800000, v51
	v_cmp_eq_u32_e32 vcc_lo, 0, v50
	v_add_nc_u32_e32 v50, 0xffffff91, v50
	v_cndmask_b32_e64 v52, v52, 0x6f, vcc_lo
	s_delay_alu instid0(VALU_DEP_4) | instskip(NEXT) | instid1(VALU_DEP_3)
	v_cndmask_b32_e32 v51, v53, v51, vcc_lo
	v_cndmask_b32_e64 v50, v50, 0xffffff92, vcc_lo
	s_delay_alu instid0(VALU_DEP_3) | instskip(NEXT) | instid1(VALU_DEP_3)
	v_lshl_add_u32 v54, 0x200000, v52, -1
	v_lshrrev_b32_e32 v53, v52, v51
	v_lshlrev_b32_e64 v85, v52, 0x100000
	s_delay_alu instid0(VALU_DEP_3) | instskip(NEXT) | instid1(VALU_DEP_3)
	v_and_b32_e32 v51, v54, v51
	v_bfe_u32 v55, v53, 21, 1
	s_delay_alu instid0(VALU_DEP_2) | instskip(NEXT) | instid1(VALU_DEP_2)
	v_cmp_eq_u32_e64 s14, v51, v85
	v_add_nc_u32_e32 v54, -1, v55
	v_lshrrev_b32_e32 v55, 23, v53
	s_delay_alu instid0(VALU_DEP_2) | instskip(SKIP_1) | instid1(VALU_DEP_3)
	v_cndmask_b32_e64 v51, 0, v54, s14
	v_add_nc_u32_e32 v54, v52, v50
	v_xor_b32_e32 v55, 1, v55
	s_mov_b32 s14, exec_lo
                                        ; implicit-def: $vgpr52
	s_delay_alu instid0(VALU_DEP_3) | instskip(NEXT) | instid1(VALU_DEP_1)
	v_add_nc_u32_e32 v51, v51, v53
	v_and_b32_e32 v50, 0x1fffff, v51
	s_delay_alu instid0(VALU_DEP_1)
	v_add_nc_u32_e32 v53, v50, v53
	v_cmpx_ne_u32_e64 v54, v55
	s_xor_b32 s14, exec_lo, s14
; %bb.2403:                             ;   in Loop: Header=BB6_2207 Depth=3
	s_delay_alu instid0(VALU_DEP_2) | instskip(SKIP_2) | instid1(VALU_DEP_2)
	v_cmp_lt_u32_e32 vcc_lo, 0xffffff, v53
	v_sub_nc_u32_e32 v50, v54, v55
	v_cndmask_b32_e64 v51, 0, 1, vcc_lo
	v_add_co_ci_u32_e32 v52, vcc_lo, 0, v50, vcc_lo
	s_delay_alu instid0(VALU_DEP_2)
	v_lshrrev_b32_e32 v53, v51, v53
; %bb.2404:                             ;   in Loop: Header=BB6_2207 Depth=3
	s_and_not1_saveexec_b32 s14, s14
	s_cbranch_execz .LBB6_2204
; %bb.2405:                             ;   in Loop: Header=BB6_2207 Depth=3
	s_delay_alu instid0(VALU_DEP_1)
	v_bfe_u32 v52, v53, 23, 1
	s_branch .LBB6_2204
.LBB6_2406:                             ;   in Loop: Header=BB6_2207 Depth=3
	s_mov_b32 s14, -1
	s_mov_b32 s39, exec_lo
                                        ; implicit-def: $sgpr37
	v_cmpx_eq_u16_e32 0x80, v26
; %bb.2407:                             ;   in Loop: Header=BB6_2207 Depth=3
	s_mov_b32 s37, 0x7f800001
	s_xor_b32 s14, exec_lo, -1
; %bb.2408:                             ;   in Loop: Header=BB6_2207 Depth=3
	s_or_b32 exec_lo, exec_lo, s39
	s_delay_alu instid0(SALU_CYCLE_1)
	s_and_b32 s14, s14, exec_lo
                                        ; implicit-def: $vgpr26
	s_or_saveexec_b32 s38, s38
	v_mov_b32_e32 v13, s37
	s_xor_b32 exec_lo, exec_lo, s38
	s_cbranch_execz .LBB6_2218
.LBB6_2409:                             ;   in Loop: Header=BB6_2207 Depth=3
	v_cmp_ne_u16_e32 vcc_lo, 0, v26
	v_mov_b32_e32 v13, 0
	s_and_not1_b32 s14, s14, exec_lo
	s_and_b32 vcc_lo, vcc_lo, exec_lo
	s_delay_alu instid0(SALU_CYCLE_1)
	s_or_b32 s14, s14, vcc_lo
	s_or_b32 exec_lo, exec_lo, s38
	s_and_saveexec_b32 s37, s14
	s_cbranch_execnz .LBB6_2219
	s_branch .LBB6_2220
.LBB6_2410:                             ;   in Loop: Header=BB6_2207 Depth=3
	s_mov_b32 s14, -1
	s_mov_b32 s39, exec_lo
                                        ; implicit-def: $sgpr37
	v_cmpx_eq_u16_e32 0x80, v13
; %bb.2411:                             ;   in Loop: Header=BB6_2207 Depth=3
	s_mov_b32 s37, 0x7f800001
	s_xor_b32 s14, exec_lo, -1
; %bb.2412:                             ;   in Loop: Header=BB6_2207 Depth=3
	s_or_b32 exec_lo, exec_lo, s39
	s_delay_alu instid0(SALU_CYCLE_1)
	s_and_b32 s14, s14, exec_lo
	s_or_saveexec_b32 s38, s38
	v_mov_b32_e32 v26, s37
	s_xor_b32 exec_lo, exec_lo, s38
	s_cbranch_execz .LBB6_2230
.LBB6_2413:                             ;   in Loop: Header=BB6_2207 Depth=3
	v_cmp_ne_u16_e32 vcc_lo, 0, v13
	v_mov_b32_e32 v26, 0
	s_and_not1_b32 s14, s14, exec_lo
	s_and_b32 vcc_lo, vcc_lo, exec_lo
	s_delay_alu instid0(SALU_CYCLE_1)
	s_or_b32 s14, s14, vcc_lo
	s_or_b32 exec_lo, exec_lo, s38
	s_and_saveexec_b32 s37, s14
	s_cbranch_execnz .LBB6_2231
	s_branch .LBB6_2232
.LBB6_2414:                             ;   in Loop: Header=BB6_2207 Depth=3
	s_mov_b32 s14, -1
	s_mov_b32 s39, exec_lo
                                        ; implicit-def: $sgpr37
	v_cmpx_eq_u16_e32 0x80, v27
; %bb.2415:                             ;   in Loop: Header=BB6_2207 Depth=3
	s_mov_b32 s37, 0x7f800001
	s_xor_b32 s14, exec_lo, -1
; %bb.2416:                             ;   in Loop: Header=BB6_2207 Depth=3
	s_or_b32 exec_lo, exec_lo, s39
	s_delay_alu instid0(SALU_CYCLE_1)
	s_and_b32 s14, s14, exec_lo
                                        ; implicit-def: $vgpr27
	s_or_saveexec_b32 s38, s38
	v_mov_b32_e32 v26, s37
	s_xor_b32 exec_lo, exec_lo, s38
	s_cbranch_execz .LBB6_2242
.LBB6_2417:                             ;   in Loop: Header=BB6_2207 Depth=3
	v_cmp_ne_u16_e32 vcc_lo, 0, v27
	v_mov_b32_e32 v26, 0
	s_and_not1_b32 s14, s14, exec_lo
	s_and_b32 vcc_lo, vcc_lo, exec_lo
	s_delay_alu instid0(SALU_CYCLE_1)
	s_or_b32 s14, s14, vcc_lo
	s_or_b32 exec_lo, exec_lo, s38
	s_and_saveexec_b32 s37, s14
	s_cbranch_execnz .LBB6_2243
	s_branch .LBB6_2244
.LBB6_2418:                             ;   in Loop: Header=BB6_2207 Depth=3
	s_mov_b32 s14, -1
	s_mov_b32 s39, exec_lo
                                        ; implicit-def: $sgpr37
	v_cmpx_eq_u16_e32 0x80, v13
; %bb.2419:                             ;   in Loop: Header=BB6_2207 Depth=3
	s_mov_b32 s37, 0x7f800001
	s_xor_b32 s14, exec_lo, -1
; %bb.2420:                             ;   in Loop: Header=BB6_2207 Depth=3
	s_or_b32 exec_lo, exec_lo, s39
	s_delay_alu instid0(SALU_CYCLE_1)
	s_and_b32 s14, s14, exec_lo
	s_or_saveexec_b32 s38, s38
	v_mov_b32_e32 v26, s37
	s_xor_b32 exec_lo, exec_lo, s38
	s_cbranch_execz .LBB6_2254
.LBB6_2421:                             ;   in Loop: Header=BB6_2207 Depth=3
	v_cmp_ne_u16_e32 vcc_lo, 0, v13
	v_mov_b32_e32 v26, 0
	s_and_not1_b32 s14, s14, exec_lo
	s_and_b32 vcc_lo, vcc_lo, exec_lo
	s_delay_alu instid0(SALU_CYCLE_1)
	s_or_b32 s14, s14, vcc_lo
	s_or_b32 exec_lo, exec_lo, s38
	s_and_saveexec_b32 s37, s14
	s_cbranch_execnz .LBB6_2255
	s_branch .LBB6_2256
.LBB6_2422:                             ;   in Loop: Header=BB6_2207 Depth=3
	s_mov_b32 s14, -1
	s_mov_b32 s39, exec_lo
                                        ; implicit-def: $sgpr37
	v_cmpx_eq_u16_e32 0x80, v26
; %bb.2423:                             ;   in Loop: Header=BB6_2207 Depth=3
	s_mov_b32 s37, 0x7f800001
	s_xor_b32 s14, exec_lo, -1
; %bb.2424:                             ;   in Loop: Header=BB6_2207 Depth=3
	s_or_b32 exec_lo, exec_lo, s39
	s_delay_alu instid0(SALU_CYCLE_1)
	s_and_b32 s14, s14, exec_lo
                                        ; implicit-def: $vgpr26
	s_or_saveexec_b32 s38, s38
	v_mov_b32_e32 v13, s37
	s_xor_b32 exec_lo, exec_lo, s38
	s_cbranch_execz .LBB6_2266
.LBB6_2425:                             ;   in Loop: Header=BB6_2207 Depth=3
	v_cmp_ne_u16_e32 vcc_lo, 0, v26
	v_mov_b32_e32 v13, 0
	s_and_not1_b32 s14, s14, exec_lo
	s_and_b32 vcc_lo, vcc_lo, exec_lo
	s_delay_alu instid0(SALU_CYCLE_1)
	s_or_b32 s14, s14, vcc_lo
	s_or_b32 exec_lo, exec_lo, s38
	s_and_saveexec_b32 s37, s14
	s_cbranch_execnz .LBB6_2267
	s_branch .LBB6_2268
.LBB6_2426:                             ;   in Loop: Header=BB6_2207 Depth=3
	s_mov_b32 s14, -1
	s_mov_b32 s39, exec_lo
                                        ; implicit-def: $sgpr37
	v_cmpx_eq_u16_e32 0x80, v26
; %bb.2427:                             ;   in Loop: Header=BB6_2207 Depth=3
	s_mov_b32 s37, 0x7f800001
	s_xor_b32 s14, exec_lo, -1
; %bb.2428:                             ;   in Loop: Header=BB6_2207 Depth=3
	s_or_b32 exec_lo, exec_lo, s39
	s_delay_alu instid0(SALU_CYCLE_1)
	s_and_b32 s14, s14, exec_lo
	s_or_saveexec_b32 s38, s38
	v_mov_b32_e32 v27, s37
	s_xor_b32 exec_lo, exec_lo, s38
	s_cbranch_execz .LBB6_2278
.LBB6_2429:                             ;   in Loop: Header=BB6_2207 Depth=3
	v_cmp_ne_u16_e32 vcc_lo, 0, v26
	v_mov_b32_e32 v27, 0
	s_and_not1_b32 s14, s14, exec_lo
	s_and_b32 vcc_lo, vcc_lo, exec_lo
	s_delay_alu instid0(SALU_CYCLE_1)
	s_or_b32 s14, s14, vcc_lo
	s_or_b32 exec_lo, exec_lo, s38
	s_and_saveexec_b32 s37, s14
	s_cbranch_execnz .LBB6_2279
	s_branch .LBB6_2280
.LBB6_2430:                             ;   in Loop: Header=BB6_2207 Depth=3
	s_mov_b32 s14, -1
	s_mov_b32 s39, exec_lo
                                        ; implicit-def: $sgpr37
	v_cmpx_eq_u16_e32 0x80, v37
; %bb.2431:                             ;   in Loop: Header=BB6_2207 Depth=3
	s_mov_b32 s37, 0x7f800001
	s_xor_b32 s14, exec_lo, -1
; %bb.2432:                             ;   in Loop: Header=BB6_2207 Depth=3
	s_or_b32 exec_lo, exec_lo, s39
	s_delay_alu instid0(SALU_CYCLE_1)
	s_and_b32 s14, s14, exec_lo
                                        ; implicit-def: $vgpr37
	s_or_saveexec_b32 s38, s38
	v_mov_b32_e32 v27, s37
	s_xor_b32 exec_lo, exec_lo, s38
	s_cbranch_execz .LBB6_2290
.LBB6_2433:                             ;   in Loop: Header=BB6_2207 Depth=3
	v_cmp_ne_u16_e32 vcc_lo, 0, v37
	v_mov_b32_e32 v27, 0
	s_and_not1_b32 s14, s14, exec_lo
	s_and_b32 vcc_lo, vcc_lo, exec_lo
	s_delay_alu instid0(SALU_CYCLE_1)
	s_or_b32 s14, s14, vcc_lo
	s_or_b32 exec_lo, exec_lo, s38
	s_and_saveexec_b32 s37, s14
	s_cbranch_execnz .LBB6_2291
	s_branch .LBB6_2292
.LBB6_2434:                             ;   in Loop: Header=BB6_2207 Depth=3
	s_mov_b32 s14, -1
	s_mov_b32 s39, exec_lo
                                        ; implicit-def: $sgpr37
	v_cmpx_eq_u16_e32 0x80, v27
; %bb.2435:                             ;   in Loop: Header=BB6_2207 Depth=3
	s_mov_b32 s37, 0x7f800001
	s_xor_b32 s14, exec_lo, -1
; %bb.2436:                             ;   in Loop: Header=BB6_2207 Depth=3
	s_or_b32 exec_lo, exec_lo, s39
	s_delay_alu instid0(SALU_CYCLE_1)
	s_and_b32 s14, s14, exec_lo
	s_or_saveexec_b32 s38, s38
	v_mov_b32_e32 v37, s37
	s_xor_b32 exec_lo, exec_lo, s38
	s_cbranch_execz .LBB6_2302
.LBB6_2437:                             ;   in Loop: Header=BB6_2207 Depth=3
	v_cmp_ne_u16_e32 vcc_lo, 0, v27
	v_mov_b32_e32 v37, 0
	s_and_not1_b32 s14, s14, exec_lo
	s_and_b32 vcc_lo, vcc_lo, exec_lo
	s_delay_alu instid0(SALU_CYCLE_1)
	s_or_b32 s14, s14, vcc_lo
	s_or_b32 exec_lo, exec_lo, s38
	s_and_saveexec_b32 s37, s14
	s_cbranch_execnz .LBB6_2303
	s_branch .LBB6_2304
.LBB6_2438:                             ;   in Loop: Header=BB6_2207 Depth=3
	s_mov_b32 s14, -1
	s_mov_b32 s39, exec_lo
                                        ; implicit-def: $sgpr37
	v_cmpx_eq_u16_e32 0x80, v37
; %bb.2439:                             ;   in Loop: Header=BB6_2207 Depth=3
	s_mov_b32 s37, 0x7f800001
	s_xor_b32 s14, exec_lo, -1
; %bb.2440:                             ;   in Loop: Header=BB6_2207 Depth=3
	s_or_b32 exec_lo, exec_lo, s39
	s_delay_alu instid0(SALU_CYCLE_1)
	s_and_b32 s14, s14, exec_lo
                                        ; implicit-def: $vgpr37
	s_or_saveexec_b32 s38, s38
	v_mov_b32_e32 v27, s37
	s_xor_b32 exec_lo, exec_lo, s38
	s_cbranch_execz .LBB6_2314
.LBB6_2441:                             ;   in Loop: Header=BB6_2207 Depth=3
	v_cmp_ne_u16_e32 vcc_lo, 0, v37
	v_mov_b32_e32 v27, 0
	s_and_not1_b32 s14, s14, exec_lo
	s_and_b32 vcc_lo, vcc_lo, exec_lo
	s_delay_alu instid0(SALU_CYCLE_1)
	s_or_b32 s14, s14, vcc_lo
	s_or_b32 exec_lo, exec_lo, s38
	s_and_saveexec_b32 s37, s14
	s_cbranch_execnz .LBB6_2315
	s_branch .LBB6_2316
.LBB6_2442:                             ;   in Loop: Header=BB6_2207 Depth=3
	s_mov_b32 s14, -1
	s_mov_b32 s39, exec_lo
                                        ; implicit-def: $sgpr37
	v_cmpx_eq_u16_e32 0x80, v37
; %bb.2443:                             ;   in Loop: Header=BB6_2207 Depth=3
	s_mov_b32 s37, 0x7f800001
	s_xor_b32 s14, exec_lo, -1
; %bb.2444:                             ;   in Loop: Header=BB6_2207 Depth=3
	s_or_b32 exec_lo, exec_lo, s39
	s_delay_alu instid0(SALU_CYCLE_1)
	s_and_b32 s14, s14, exec_lo
	s_or_saveexec_b32 s38, s38
	v_mov_b32_e32 v38, s37
	s_xor_b32 exec_lo, exec_lo, s38
	s_cbranch_execz .LBB6_2326
.LBB6_2445:                             ;   in Loop: Header=BB6_2207 Depth=3
	v_cmp_ne_u16_e32 vcc_lo, 0, v37
	v_mov_b32_e32 v38, 0
	s_and_not1_b32 s14, s14, exec_lo
	s_and_b32 vcc_lo, vcc_lo, exec_lo
	s_delay_alu instid0(SALU_CYCLE_1)
	s_or_b32 s14, s14, vcc_lo
	s_or_b32 exec_lo, exec_lo, s38
	s_and_saveexec_b32 s37, s14
	s_cbranch_execnz .LBB6_2327
	s_branch .LBB6_2328
.LBB6_2446:                             ;   in Loop: Header=BB6_2207 Depth=3
	s_mov_b32 s14, -1
	s_mov_b32 s39, exec_lo
                                        ; implicit-def: $sgpr37
	v_cmpx_eq_u16_e32 0x80, v48
; %bb.2447:                             ;   in Loop: Header=BB6_2207 Depth=3
	s_mov_b32 s37, 0x7f800001
	s_xor_b32 s14, exec_lo, -1
; %bb.2448:                             ;   in Loop: Header=BB6_2207 Depth=3
	s_or_b32 exec_lo, exec_lo, s39
	s_delay_alu instid0(SALU_CYCLE_1)
	s_and_b32 s14, s14, exec_lo
                                        ; implicit-def: $vgpr48
	s_or_saveexec_b32 s38, s38
	v_mov_b32_e32 v39, s37
	s_xor_b32 exec_lo, exec_lo, s38
	s_cbranch_execz .LBB6_2338
.LBB6_2449:                             ;   in Loop: Header=BB6_2207 Depth=3
	v_cmp_ne_u16_e32 vcc_lo, 0, v48
	v_mov_b32_e32 v39, 0
	s_and_not1_b32 s14, s14, exec_lo
	s_and_b32 vcc_lo, vcc_lo, exec_lo
	s_delay_alu instid0(SALU_CYCLE_1)
	s_or_b32 s14, s14, vcc_lo
	s_or_b32 exec_lo, exec_lo, s38
	s_and_saveexec_b32 s37, s14
	s_cbranch_execnz .LBB6_2339
	s_branch .LBB6_2340
.LBB6_2450:                             ;   in Loop: Header=BB6_2207 Depth=3
	s_mov_b32 s14, -1
	s_mov_b32 s39, exec_lo
                                        ; implicit-def: $sgpr37
	v_cmpx_eq_u16_e32 0x80, v39
; %bb.2451:                             ;   in Loop: Header=BB6_2207 Depth=3
	s_mov_b32 s37, 0x7f800001
	s_xor_b32 s14, exec_lo, -1
; %bb.2452:                             ;   in Loop: Header=BB6_2207 Depth=3
	s_or_b32 exec_lo, exec_lo, s39
	s_delay_alu instid0(SALU_CYCLE_1)
	s_and_b32 s14, s14, exec_lo
	s_or_saveexec_b32 s38, s38
	v_mov_b32_e32 v48, s37
	s_xor_b32 exec_lo, exec_lo, s38
	s_cbranch_execz .LBB6_2350
.LBB6_2453:                             ;   in Loop: Header=BB6_2207 Depth=3
	v_cmp_ne_u16_e32 vcc_lo, 0, v39
	v_mov_b32_e32 v48, 0
	s_and_not1_b32 s14, s14, exec_lo
	s_and_b32 vcc_lo, vcc_lo, exec_lo
	s_delay_alu instid0(SALU_CYCLE_1)
	s_or_b32 s14, s14, vcc_lo
	s_or_b32 exec_lo, exec_lo, s38
	s_and_saveexec_b32 s37, s14
	s_cbranch_execnz .LBB6_2351
	s_branch .LBB6_2352
.LBB6_2454:                             ;   in Loop: Header=BB6_2207 Depth=3
	s_mov_b32 s14, -1
	s_mov_b32 s39, exec_lo
                                        ; implicit-def: $sgpr37
	v_cmpx_eq_u16_e32 0x80, v48
; %bb.2455:                             ;   in Loop: Header=BB6_2207 Depth=3
	s_mov_b32 s37, 0x7f800001
	s_xor_b32 s14, exec_lo, -1
; %bb.2456:                             ;   in Loop: Header=BB6_2207 Depth=3
	s_or_b32 exec_lo, exec_lo, s39
	s_delay_alu instid0(SALU_CYCLE_1)
	s_and_b32 s14, s14, exec_lo
                                        ; implicit-def: $vgpr48
	s_or_saveexec_b32 s38, s38
	v_mov_b32_e32 v39, s37
	s_xor_b32 exec_lo, exec_lo, s38
	s_cbranch_execz .LBB6_2362
.LBB6_2457:                             ;   in Loop: Header=BB6_2207 Depth=3
	v_cmp_ne_u16_e32 vcc_lo, 0, v48
	v_mov_b32_e32 v39, 0
	s_and_not1_b32 s14, s14, exec_lo
	s_and_b32 vcc_lo, vcc_lo, exec_lo
	s_delay_alu instid0(SALU_CYCLE_1)
	s_or_b32 s14, s14, vcc_lo
	s_or_b32 exec_lo, exec_lo, s38
	s_and_saveexec_b32 s37, s14
	s_cbranch_execnz .LBB6_2363
	s_branch .LBB6_2364
.LBB6_2458:                             ;   in Loop: Header=BB6_2207 Depth=3
	s_mov_b32 s14, -1
	s_mov_b32 s39, exec_lo
                                        ; implicit-def: $sgpr37
	v_cmpx_eq_u16_e32 0x80, v48
; %bb.2459:                             ;   in Loop: Header=BB6_2207 Depth=3
	s_mov_b32 s37, 0x7f800001
	s_xor_b32 s14, exec_lo, -1
; %bb.2460:                             ;   in Loop: Header=BB6_2207 Depth=3
	s_or_b32 exec_lo, exec_lo, s39
	s_delay_alu instid0(SALU_CYCLE_1)
	s_and_b32 s14, s14, exec_lo
	s_or_saveexec_b32 s38, s38
	v_mov_b32_e32 v49, s37
	s_xor_b32 exec_lo, exec_lo, s38
	s_cbranch_execz .LBB6_2374
.LBB6_2461:                             ;   in Loop: Header=BB6_2207 Depth=3
	v_cmp_ne_u16_e32 vcc_lo, 0, v48
	v_mov_b32_e32 v49, 0
	s_and_not1_b32 s14, s14, exec_lo
	s_and_b32 vcc_lo, vcc_lo, exec_lo
	s_delay_alu instid0(SALU_CYCLE_1)
	s_or_b32 s14, s14, vcc_lo
	s_or_b32 exec_lo, exec_lo, s38
	s_and_saveexec_b32 s37, s14
	s_cbranch_execnz .LBB6_2375
	s_branch .LBB6_2376
.LBB6_2462:                             ;   in Loop: Header=BB6_2207 Depth=3
	s_mov_b32 s14, -1
	s_mov_b32 s39, exec_lo
                                        ; implicit-def: $sgpr37
	v_cmpx_eq_u16_e32 0x80, v53
; %bb.2463:                             ;   in Loop: Header=BB6_2207 Depth=3
	s_mov_b32 s37, 0x7f800001
	s_xor_b32 s14, exec_lo, -1
; %bb.2464:                             ;   in Loop: Header=BB6_2207 Depth=3
	s_or_b32 exec_lo, exec_lo, s39
	s_delay_alu instid0(SALU_CYCLE_1)
	s_and_b32 s14, s14, exec_lo
                                        ; implicit-def: $vgpr53
	s_or_saveexec_b32 s38, s38
	v_mov_b32_e32 v52, s37
	s_xor_b32 exec_lo, exec_lo, s38
	s_cbranch_execz .LBB6_2386
.LBB6_2465:                             ;   in Loop: Header=BB6_2207 Depth=3
	v_cmp_ne_u16_e32 vcc_lo, 0, v53
	v_mov_b32_e32 v52, 0
	s_and_not1_b32 s14, s14, exec_lo
	s_and_b32 vcc_lo, vcc_lo, exec_lo
	s_delay_alu instid0(SALU_CYCLE_1)
	s_or_b32 s14, s14, vcc_lo
	s_or_b32 exec_lo, exec_lo, s38
	s_and_saveexec_b32 s37, s14
	s_cbranch_execnz .LBB6_2387
	s_branch .LBB6_2388
.LBB6_2466:                             ;   in Loop: Header=BB6_2207 Depth=3
	s_mov_b32 s14, -1
	s_mov_b32 s39, exec_lo
                                        ; implicit-def: $sgpr37
	v_cmpx_eq_u16_e32 0x80, v52
; %bb.2467:                             ;   in Loop: Header=BB6_2207 Depth=3
	s_mov_b32 s37, 0x7f800001
	s_xor_b32 s14, exec_lo, -1
; %bb.2468:                             ;   in Loop: Header=BB6_2207 Depth=3
	s_or_b32 exec_lo, exec_lo, s39
	s_delay_alu instid0(SALU_CYCLE_1)
	s_and_b32 s14, s14, exec_lo
	s_or_saveexec_b32 s38, s38
	v_mov_b32_e32 v53, s37
	s_xor_b32 exec_lo, exec_lo, s38
	s_cbranch_execz .LBB6_2398
.LBB6_2469:                             ;   in Loop: Header=BB6_2207 Depth=3
	v_cmp_ne_u16_e32 vcc_lo, 0, v52
	v_mov_b32_e32 v53, 0
	s_and_not1_b32 s14, s14, exec_lo
	s_and_b32 vcc_lo, vcc_lo, exec_lo
	s_delay_alu instid0(SALU_CYCLE_1)
	s_or_b32 s14, s14, vcc_lo
	s_or_b32 exec_lo, exec_lo, s38
	s_and_saveexec_b32 s37, s14
	s_cbranch_execnz .LBB6_2399
	s_branch .LBB6_2400
.LBB6_2470:                             ;   in Loop: Header=BB6_59 Depth=2
	s_or_b32 exec_lo, exec_lo, s34
.LBB6_2471:                             ;   in Loop: Header=BB6_59 Depth=2
	s_delay_alu instid0(SALU_CYCLE_1)
	s_or_b32 exec_lo, exec_lo, s31
	scratch_load_b32 v8, off, s33 offset:644 ; 4-byte Folded Reload
	v_mov_b32_e32 v18, 0
	s_mov_b32 s14, 0
	s_mov_b32 s31, exec_lo
                                        ; implicit-def: $vgpr20
                                        ; implicit-def: $vgpr10
	s_waitcnt vmcnt(0)
	v_and_b32_e32 v8, 15, v8
	s_delay_alu instid0(VALU_DEP_1) | instskip(NEXT) | instid1(VALU_DEP_1)
	v_cndmask_b32_e64 v19, v69, v8, s13
	v_cmpx_ne_u32_e32 0, v19
	s_cbranch_execz .LBB6_2473
; %bb.2472:                             ;   in Loop: Header=BB6_59 Depth=2
	v_cmp_lt_i32_e32 vcc_lo, 0, v70
	v_lshrrev_b32_e32 v9, 5, v1
	v_sub_nc_u32_e32 v8, v69, v8
	s_mov_b32 s14, exec_lo
	s_delay_alu instid0(VALU_DEP_2) | instskip(NEXT) | instid1(VALU_DEP_2)
	v_cndmask_b32_e32 v9, 0, v9, vcc_lo
	v_cndmask_b32_e64 v8, 0, v8, s13
	s_delay_alu instid0(VALU_DEP_2) | instskip(NEXT) | instid1(VALU_DEP_2)
	v_sub_nc_u32_e32 v9, v9, v70
	v_add3_u32 v18, v2, v21, v8
	s_delay_alu instid0(VALU_DEP_2) | instskip(NEXT) | instid1(VALU_DEP_1)
	v_lshl_add_u32 v20, v9, 5, v68
	v_ashrrev_i32_e32 v9, 31, v20
	s_delay_alu instid0(VALU_DEP_1) | instskip(NEXT) | instid1(VALU_DEP_1)
	v_lshrrev_b32_e32 v9, 27, v9
	v_add_nc_u32_e32 v9, v20, v9
	s_delay_alu instid0(VALU_DEP_1)
	v_ashrrev_i32_e32 v10, 5, v9
.LBB6_2473:                             ;   in Loop: Header=BB6_59 Depth=2
	s_or_b32 exec_lo, exec_lo, s31
	s_delay_alu instid0(SALU_CYCLE_1)
	s_and_b32 s13, s14, exec_lo
.LBB6_2474:                             ;   in Loop: Header=BB6_59 Depth=2
	s_or_b32 exec_lo, exec_lo, s30
	s_clause 0x1
	scratch_load_b32 v156, off, s33 offset:512
	scratch_load_b32 v16, off, s33 offset:644
.LBB6_2475:                             ;   in Loop: Header=BB6_59 Depth=2
	s_and_saveexec_b32 s14, s13
	s_cbranch_execz .LBB6_3035
; %bb.2476:                             ;   in Loop: Header=BB6_59 Depth=2
	v_ashrrev_i32_e32 v2, 31, v19
	s_waitcnt vmcnt(0)
	v_mov_b32_e32 v98, v16
	s_mov_b32 s30, exec_lo
	s_delay_alu instid0(VALU_DEP_2) | instskip(NEXT) | instid1(VALU_DEP_1)
	v_lshrrev_b32_e32 v2, 22, v2
	v_add_nc_u32_e32 v2, v19, v2
	s_delay_alu instid0(VALU_DEP_1) | instskip(NEXT) | instid1(VALU_DEP_1)
	v_ashrrev_i32_e32 v21, 10, v2
	v_sub_nc_u32_e32 v2, v21, v10
	s_delay_alu instid0(VALU_DEP_1)
	v_cmpx_lt_i32_e32 0, v2
	s_cbranch_execz .LBB6_3003
; %bb.2477:                             ;   in Loop: Header=BB6_59 Depth=2
	s_cbranch_execz .LBB6_2478
; %bb.18563:
	s_getpc_b64 s[48:49]
.Lpost_getpc308:
	s_add_u32 s48, s48, (.LBB6_18083-.Lpost_getpc308)&4294967295
	s_addc_u32 s49, s49, (.LBB6_18083-.Lpost_getpc308)>>32
	s_setpc_b64 s[48:49]
.LBB6_2478:                             ;   in Loop: Header=BB6_59 Depth=2
	v_ashrrev_i32_e32 v8, 31, v20
	v_lshlrev_b32_e32 v10, 10, v10
	s_mov_b32 s31, 0
	s_delay_alu instid0(VALU_DEP_2) | instskip(NEXT) | instid1(VALU_DEP_1)
	v_lshrrev_b32_e32 v8, 27, v8
	v_add_nc_u32_e32 v11, v20, v8
	ds_load_b64 v[8:9], v0
	v_and_b32_e32 v11, 0xffffffe0, v11
	s_delay_alu instid0(VALU_DEP_1) | instskip(NEXT) | instid1(VALU_DEP_1)
	v_sub_nc_u32_e32 v11, v20, v11
	v_add3_u32 v68, v18, v11, v10
	s_delay_alu instid0(VALU_DEP_1)
	v_ashrrev_i32_e32 v69, 31, v68
	s_waitcnt lgkmcnt(0)
	v_dual_mov_b32 v11, v9 :: v_dual_mov_b32 v10, v8
.LBB6_2479:                             ;   Parent Loop BB6_51 Depth=1
                                        ;     Parent Loop BB6_59 Depth=2
                                        ; =>    This Inner Loop Header: Depth=3
	s_cbranch_execz .LBB6_2480
; %bb.18565:
	s_getpc_b64 s[48:49]
.Lpost_getpc309:
	s_add_u32 s48, s48, (.LBB6_18085-.Lpost_getpc309)&4294967295
	s_addc_u32 s49, s49, (.LBB6_18085-.Lpost_getpc309)>>32
	s_setpc_b64 s[48:49]
.LBB6_2480:                             ;   in Loop: Header=BB6_2479 Depth=3
	ds_load_b64 v[16:17], v0
	s_waitcnt lgkmcnt(0)
	v_and_b32_e32 v13, 0xff, v16
	v_readfirstlane_b32 s13, v16
	s_delay_alu instid0(VALU_DEP_2)
	v_cmp_gt_i16_e32 vcc_lo, 0x80, v13
	s_cbranch_vccnz .LBB6_2484
; %bb.2481:                             ;   in Loop: Header=BB6_2479 Depth=3
	v_cmp_eq_u16_e32 vcc_lo, 0x80, v13
	s_mov_b32 s34, -1
                                        ; implicit-def: $sgpr35
	s_cbranch_vccz .LBB6_2483
; %bb.2482:                             ;   in Loop: Header=BB6_2479 Depth=3
	s_mov_b32 s34, 0
	s_mov_b32 s35, 0x7f800001
.LBB6_2483:                             ;   in Loop: Header=BB6_2479 Depth=3
	s_mov_b32 vcc_lo, 0
	s_branch .LBB6_2485
.LBB6_2484:                             ;   in Loop: Header=BB6_2479 Depth=3
	s_mov_b32 vcc_lo, -1
	s_mov_b32 s34, 0
                                        ; implicit-def: $sgpr35
.LBB6_2485:                             ;   in Loop: Header=BB6_2479 Depth=3
	s_and_b32 vcc_lo, exec_lo, vcc_lo
	s_cbranch_vccz .LBB6_2487
; %bb.2486:                             ;   in Loop: Header=BB6_2479 Depth=3
	v_cmp_ne_u16_e64 s34, 0, v13
	s_mov_b32 s35, 0
.LBB6_2487:                             ;   in Loop: Header=BB6_2479 Depth=3
	s_delay_alu instid0(SALU_CYCLE_1) | instskip(NEXT) | instid1(VALU_DEP_2)
	v_mov_b32_e32 v70, s35
	s_and_not1_b32 vcc_lo, exec_lo, s34
	s_cbranch_vccnz .LBB6_2489
; %bb.2488:                             ;   in Loop: Header=BB6_2479 Depth=3
	s_and_b32 vcc_lo, s13, 3
	s_bfe_u32 s35, s13, 0x50002
	s_clz_i32_u32 s34, vcc_lo
	v_lshlrev_b32_e32 v13, 24, v16
	s_min_u32 s34, s34, 32
	s_delay_alu instid0(SALU_CYCLE_1)
	s_sub_i32 s36, s34, 29
	s_sub_i32 s34, 30, s34
	s_lshl_b32 s13, s13, s36
	v_and_b32_e32 v13, 0x80000000, v13
	s_and_b32 s13, s13, 3
	s_cmp_eq_u32 s35, 0
	s_cselect_b32 s34, s34, s35
	s_cselect_b32 s13, s13, vcc_lo
	s_lshl_b32 vcc_lo, s34, 23
	s_lshl_b32 s13, s13, 21
	s_add_i32 vcc_lo, vcc_lo, 0x37800000
	s_delay_alu instid0(SALU_CYCLE_1) | instskip(NEXT) | instid1(VALU_DEP_1)
	v_or_b32_e32 v13, vcc_lo, v13
	v_or_b32_e32 v70, s13, v13
.LBB6_2489:                             ;   in Loop: Header=BB6_2479 Depth=3
	v_add_co_u32 v16, vcc_lo, v68, v10
	v_add_co_ci_u32_e32 v17, vcc_lo, v69, v11, vcc_lo
	s_mov_b32 s13, 0
	s_mov_b32 s35, exec_lo
                                        ; implicit-def: $sgpr34
	flat_load_u8 v13, v[16:17] slc dlc
	s_waitcnt vmcnt(0) lgkmcnt(0)
	v_cmpx_lt_i16_e32 0x7f, v13
	s_xor_b32 s35, exec_lo, s35
	s_cbranch_execnz .LBB6_2874
; %bb.2490:                             ;   in Loop: Header=BB6_2479 Depth=3
	s_or_saveexec_b32 s35, s35
	v_mov_b32_e32 v26, s34
	s_xor_b32 exec_lo, exec_lo, s35
	s_cbranch_execnz .LBB6_2877
.LBB6_2491:                             ;   in Loop: Header=BB6_2479 Depth=3
	s_or_b32 exec_lo, exec_lo, s35
	s_and_saveexec_b32 s34, s13
	s_cbranch_execz .LBB6_2493
.LBB6_2492:                             ;   in Loop: Header=BB6_2479 Depth=3
	v_and_b32_e32 v26, 0xffff, v13
	v_lshlrev_b32_e32 v13, 24, v13
	s_delay_alu instid0(VALU_DEP_2) | instskip(NEXT) | instid1(VALU_DEP_2)
	v_and_b32_e32 v27, 3, v26
	v_and_b32_e32 v13, 0x80000000, v13
	s_delay_alu instid0(VALU_DEP_2) | instskip(NEXT) | instid1(VALU_DEP_1)
	v_clz_i32_u32_e32 v36, v27
	v_min_u32_e32 v36, 32, v36
	s_delay_alu instid0(VALU_DEP_1) | instskip(SKIP_1) | instid1(VALU_DEP_2)
	v_subrev_nc_u32_e32 v37, 29, v36
	v_sub_nc_u32_e32 v36, 30, v36
	v_lshlrev_b32_e32 v37, v37, v26
	v_bfe_u32 v26, v26, 2, 5
	s_delay_alu instid0(VALU_DEP_2) | instskip(NEXT) | instid1(VALU_DEP_2)
	v_and_b32_e32 v37, 3, v37
	v_cmp_eq_u32_e32 vcc_lo, 0, v26
	s_delay_alu instid0(VALU_DEP_2) | instskip(NEXT) | instid1(VALU_DEP_1)
	v_dual_cndmask_b32 v26, v26, v36 :: v_dual_cndmask_b32 v27, v27, v37
	v_lshl_add_u32 v26, v26, 23, 0x37800000
	s_delay_alu instid0(VALU_DEP_2) | instskip(NEXT) | instid1(VALU_DEP_1)
	v_lshlrev_b32_e32 v27, 21, v27
	v_or3_b32 v26, v13, v26, v27
.LBB6_2493:                             ;   in Loop: Header=BB6_2479 Depth=3
	s_or_b32 exec_lo, exec_lo, s34
	s_delay_alu instid0(VALU_DEP_1) | instskip(SKIP_2) | instid1(VALU_DEP_2)
	v_mul_f32_e32 v13, v70, v26
	v_mov_b32_e32 v71, 0x80
	s_mov_b32 s34, exec_lo
	v_and_b32_e32 v26, 0x7f800000, v13
	s_delay_alu instid0(VALU_DEP_1)
	v_cmpx_ne_u32_e32 0x7f800000, v26
	s_cbranch_execz .LBB6_2501
; %bb.2494:                             ;   in Loop: Header=BB6_2479 Depth=3
	v_mov_b32_e32 v71, 0
	s_mov_b32 s35, exec_lo
	v_cmpx_ne_u32_e32 0, v13
	s_cbranch_execz .LBB6_2500
; %bb.2495:                             ;   in Loop: Header=BB6_2479 Depth=3
	v_bfe_u32 v26, v13, 23, 8
	s_delay_alu instid0(VALU_DEP_1) | instskip(SKIP_1) | instid1(VALU_DEP_2)
	v_sub_nc_u32_e32 v36, 0x70, v26
	v_cmp_gt_u32_e32 vcc_lo, 0x71, v26
	v_dual_cndmask_b32 v36, 0, v36 :: v_dual_and_b32 v27, 0x7fffff, v13
	s_delay_alu instid0(VALU_DEP_1) | instskip(SKIP_2) | instid1(VALU_DEP_4)
	v_or_b32_e32 v37, 0x800000, v27
	v_cmp_eq_u32_e32 vcc_lo, 0, v26
	v_add_nc_u32_e32 v26, 0xffffff91, v26
	v_cndmask_b32_e64 v36, v36, 0x6f, vcc_lo
	s_delay_alu instid0(VALU_DEP_4) | instskip(NEXT) | instid1(VALU_DEP_3)
	v_cndmask_b32_e32 v27, v37, v27, vcc_lo
	v_cndmask_b32_e64 v26, v26, 0xffffff92, vcc_lo
	s_delay_alu instid0(VALU_DEP_3) | instskip(NEXT) | instid1(VALU_DEP_3)
	v_lshl_add_u32 v37, 0x200000, v36, -1
	v_lshrrev_b32_e32 v38, v36, v27
	v_lshlrev_b32_e64 v48, v36, 0x100000
	s_delay_alu instid0(VALU_DEP_4) | instskip(NEXT) | instid1(VALU_DEP_4)
	v_add_nc_u32_e32 v36, v36, v26
	v_and_b32_e32 v27, v37, v27
	s_delay_alu instid0(VALU_DEP_4) | instskip(NEXT) | instid1(VALU_DEP_2)
	v_bfe_u32 v39, v38, 21, 1
	v_cmp_eq_u32_e64 s13, v27, v48
	s_delay_alu instid0(VALU_DEP_2) | instskip(NEXT) | instid1(VALU_DEP_1)
	v_add_nc_u32_e32 v37, -1, v39
	v_cndmask_b32_e64 v27, 0, v37, s13
	v_lshrrev_b32_e32 v37, 23, v38
	s_mov_b32 s13, exec_lo
	s_delay_alu instid0(VALU_DEP_2) | instskip(NEXT) | instid1(VALU_DEP_2)
	v_add_nc_u32_e32 v27, v27, v38
	v_xor_b32_e32 v37, 1, v37
	s_delay_alu instid0(VALU_DEP_2) | instskip(NEXT) | instid1(VALU_DEP_1)
	v_and_b32_e32 v26, 0x1fffff, v27
	v_add_nc_u32_e32 v27, v26, v38
                                        ; implicit-def: $vgpr26
	s_delay_alu instid0(VALU_DEP_3)
	v_cmpx_ne_u32_e64 v36, v37
	s_xor_b32 s13, exec_lo, s13
; %bb.2496:                             ;   in Loop: Header=BB6_2479 Depth=3
	s_delay_alu instid0(VALU_DEP_2) | instskip(SKIP_2) | instid1(VALU_DEP_2)
	v_cmp_lt_u32_e32 vcc_lo, 0xffffff, v27
	v_sub_nc_u32_e32 v26, v36, v37
	v_cndmask_b32_e64 v36, 0, 1, vcc_lo
	v_add_co_ci_u32_e32 v26, vcc_lo, 0, v26, vcc_lo
	s_delay_alu instid0(VALU_DEP_2)
	v_lshrrev_b32_e32 v27, v36, v27
; %bb.2497:                             ;   in Loop: Header=BB6_2479 Depth=3
	s_and_not1_saveexec_b32 s13, s13
; %bb.2498:                             ;   in Loop: Header=BB6_2479 Depth=3
	s_delay_alu instid0(VALU_DEP_1)
	v_bfe_u32 v26, v27, 23, 1
; %bb.2499:                             ;   in Loop: Header=BB6_2479 Depth=3
	s_or_b32 exec_lo, exec_lo, s13
	v_lshrrev_b32_e32 v27, 21, v27
	s_delay_alu instid0(VALU_DEP_2) | instskip(SKIP_2) | instid1(VALU_DEP_4)
	v_cmp_gt_i32_e32 vcc_lo, 32, v26
	v_lshrrev_b32_e32 v13, 24, v13
	v_min_i32_e32 v36, 31, v26
	v_cndmask_b32_e32 v27, 3, v27, vcc_lo
	s_delay_alu instid0(VALU_DEP_3) | instskip(NEXT) | instid1(VALU_DEP_3)
	v_and_b32_e32 v13, 0x80, v13
	v_lshlrev_b32_e32 v36, 2, v36
	s_delay_alu instid0(VALU_DEP_3) | instskip(SKIP_1) | instid1(VALU_DEP_2)
	v_and_b32_e32 v37, 3, v27
	v_or_b32_e32 v26, v26, v27
	v_or3_b32 v13, v36, v13, v37
	s_delay_alu instid0(VALU_DEP_2) | instskip(NEXT) | instid1(VALU_DEP_2)
	v_cmp_ne_u32_e32 vcc_lo, 0, v26
	v_cndmask_b32_e32 v71, 0, v13, vcc_lo
.LBB6_2500:                             ;   in Loop: Header=BB6_2479 Depth=3
	s_or_b32 exec_lo, exec_lo, s35
.LBB6_2501:                             ;   in Loop: Header=BB6_2479 Depth=3
	s_delay_alu instid0(SALU_CYCLE_1)
	s_or_b32 exec_lo, exec_lo, s34
	flat_load_u8 v13, v[16:17] offset:32 slc dlc
	s_mov_b32 s13, 0
	s_mov_b32 s35, exec_lo
                                        ; implicit-def: $sgpr34
	s_waitcnt vmcnt(0) lgkmcnt(0)
	v_cmpx_lt_i16_e32 0x7f, v13
	s_xor_b32 s35, exec_lo, s35
	s_cbranch_execnz .LBB6_2878
; %bb.2502:                             ;   in Loop: Header=BB6_2479 Depth=3
	s_or_saveexec_b32 s35, s35
	v_mov_b32_e32 v26, s34
	s_xor_b32 exec_lo, exec_lo, s35
	s_cbranch_execnz .LBB6_2881
.LBB6_2503:                             ;   in Loop: Header=BB6_2479 Depth=3
	s_or_b32 exec_lo, exec_lo, s35
	s_and_saveexec_b32 s34, s13
	s_cbranch_execz .LBB6_2505
.LBB6_2504:                             ;   in Loop: Header=BB6_2479 Depth=3
	v_and_b32_e32 v26, 0xffff, v13
	v_lshlrev_b32_e32 v13, 24, v13
	s_delay_alu instid0(VALU_DEP_2) | instskip(NEXT) | instid1(VALU_DEP_2)
	v_and_b32_e32 v27, 3, v26
	v_and_b32_e32 v13, 0x80000000, v13
	s_delay_alu instid0(VALU_DEP_2) | instskip(NEXT) | instid1(VALU_DEP_1)
	v_clz_i32_u32_e32 v36, v27
	v_min_u32_e32 v36, 32, v36
	s_delay_alu instid0(VALU_DEP_1) | instskip(SKIP_1) | instid1(VALU_DEP_2)
	v_subrev_nc_u32_e32 v37, 29, v36
	v_sub_nc_u32_e32 v36, 30, v36
	v_lshlrev_b32_e32 v37, v37, v26
	v_bfe_u32 v26, v26, 2, 5
	s_delay_alu instid0(VALU_DEP_2) | instskip(NEXT) | instid1(VALU_DEP_2)
	v_and_b32_e32 v37, 3, v37
	v_cmp_eq_u32_e32 vcc_lo, 0, v26
	s_delay_alu instid0(VALU_DEP_2) | instskip(NEXT) | instid1(VALU_DEP_1)
	v_dual_cndmask_b32 v26, v26, v36 :: v_dual_cndmask_b32 v27, v27, v37
	v_lshl_add_u32 v26, v26, 23, 0x37800000
	s_delay_alu instid0(VALU_DEP_2) | instskip(NEXT) | instid1(VALU_DEP_1)
	v_lshlrev_b32_e32 v27, 21, v27
	v_or3_b32 v26, v13, v26, v27
.LBB6_2505:                             ;   in Loop: Header=BB6_2479 Depth=3
	s_or_b32 exec_lo, exec_lo, s34
	s_delay_alu instid0(VALU_DEP_1) | instskip(SKIP_1) | instid1(VALU_DEP_1)
	v_dual_mul_f32 v13, v70, v26 :: v_dual_mov_b32 v80, 0x80
	s_mov_b32 s34, exec_lo
	v_and_b32_e32 v26, 0x7f800000, v13
	s_delay_alu instid0(VALU_DEP_1)
	v_cmpx_ne_u32_e32 0x7f800000, v26
	s_cbranch_execz .LBB6_2513
; %bb.2506:                             ;   in Loop: Header=BB6_2479 Depth=3
	v_mov_b32_e32 v80, 0
	s_mov_b32 s35, exec_lo
	v_cmpx_ne_u32_e32 0, v13
	s_cbranch_execz .LBB6_2512
; %bb.2507:                             ;   in Loop: Header=BB6_2479 Depth=3
	v_bfe_u32 v26, v13, 23, 8
	s_delay_alu instid0(VALU_DEP_1) | instskip(SKIP_1) | instid1(VALU_DEP_2)
	v_sub_nc_u32_e32 v36, 0x70, v26
	v_cmp_gt_u32_e32 vcc_lo, 0x71, v26
	v_dual_cndmask_b32 v36, 0, v36 :: v_dual_and_b32 v27, 0x7fffff, v13
	s_delay_alu instid0(VALU_DEP_1) | instskip(SKIP_2) | instid1(VALU_DEP_4)
	v_or_b32_e32 v37, 0x800000, v27
	v_cmp_eq_u32_e32 vcc_lo, 0, v26
	v_add_nc_u32_e32 v26, 0xffffff91, v26
	v_cndmask_b32_e64 v36, v36, 0x6f, vcc_lo
	s_delay_alu instid0(VALU_DEP_4) | instskip(NEXT) | instid1(VALU_DEP_3)
	v_cndmask_b32_e32 v27, v37, v27, vcc_lo
	v_cndmask_b32_e64 v26, v26, 0xffffff92, vcc_lo
	s_delay_alu instid0(VALU_DEP_3) | instskip(NEXT) | instid1(VALU_DEP_3)
	v_lshl_add_u32 v37, 0x200000, v36, -1
	v_lshrrev_b32_e32 v38, v36, v27
	v_lshlrev_b32_e64 v48, v36, 0x100000
	s_delay_alu instid0(VALU_DEP_4) | instskip(NEXT) | instid1(VALU_DEP_4)
	v_add_nc_u32_e32 v36, v36, v26
	v_and_b32_e32 v27, v37, v27
	s_delay_alu instid0(VALU_DEP_4) | instskip(NEXT) | instid1(VALU_DEP_2)
	v_bfe_u32 v39, v38, 21, 1
	v_cmp_eq_u32_e64 s13, v27, v48
	s_delay_alu instid0(VALU_DEP_2) | instskip(NEXT) | instid1(VALU_DEP_1)
	v_add_nc_u32_e32 v37, -1, v39
	v_cndmask_b32_e64 v27, 0, v37, s13
	v_lshrrev_b32_e32 v37, 23, v38
	s_mov_b32 s13, exec_lo
	s_delay_alu instid0(VALU_DEP_2) | instskip(NEXT) | instid1(VALU_DEP_2)
	v_add_nc_u32_e32 v27, v27, v38
	v_xor_b32_e32 v37, 1, v37
	s_delay_alu instid0(VALU_DEP_2) | instskip(NEXT) | instid1(VALU_DEP_1)
	v_and_b32_e32 v26, 0x1fffff, v27
	v_add_nc_u32_e32 v27, v26, v38
                                        ; implicit-def: $vgpr26
	s_delay_alu instid0(VALU_DEP_3)
	v_cmpx_ne_u32_e64 v36, v37
	s_xor_b32 s13, exec_lo, s13
; %bb.2508:                             ;   in Loop: Header=BB6_2479 Depth=3
	s_delay_alu instid0(VALU_DEP_2) | instskip(SKIP_2) | instid1(VALU_DEP_2)
	v_cmp_lt_u32_e32 vcc_lo, 0xffffff, v27
	v_sub_nc_u32_e32 v26, v36, v37
	v_cndmask_b32_e64 v36, 0, 1, vcc_lo
	v_add_co_ci_u32_e32 v26, vcc_lo, 0, v26, vcc_lo
	s_delay_alu instid0(VALU_DEP_2)
	v_lshrrev_b32_e32 v27, v36, v27
; %bb.2509:                             ;   in Loop: Header=BB6_2479 Depth=3
	s_and_not1_saveexec_b32 s13, s13
; %bb.2510:                             ;   in Loop: Header=BB6_2479 Depth=3
	s_delay_alu instid0(VALU_DEP_1)
	v_bfe_u32 v26, v27, 23, 1
; %bb.2511:                             ;   in Loop: Header=BB6_2479 Depth=3
	s_or_b32 exec_lo, exec_lo, s13
	v_lshrrev_b32_e32 v27, 21, v27
	s_delay_alu instid0(VALU_DEP_2) | instskip(SKIP_2) | instid1(VALU_DEP_2)
	v_cmp_gt_i32_e32 vcc_lo, 32, v26
	v_min_i32_e32 v36, 31, v26
	v_lshrrev_b32_e32 v13, 24, v13
	v_dual_cndmask_b32 v27, 3, v27 :: v_dual_lshlrev_b32 v36, 2, v36
	s_delay_alu instid0(VALU_DEP_2) | instskip(NEXT) | instid1(VALU_DEP_2)
	v_and_b32_e32 v13, 0x80, v13
	v_or_b32_e32 v26, v26, v27
	s_delay_alu instid0(VALU_DEP_1) | instskip(SKIP_1) | instid1(VALU_DEP_1)
	v_cmp_ne_u32_e32 vcc_lo, 0, v26
	v_and_b32_e32 v37, 3, v27
	v_or3_b32 v13, v36, v13, v37
	s_delay_alu instid0(VALU_DEP_1)
	v_cndmask_b32_e32 v80, 0, v13, vcc_lo
.LBB6_2512:                             ;   in Loop: Header=BB6_2479 Depth=3
	s_or_b32 exec_lo, exec_lo, s35
.LBB6_2513:                             ;   in Loop: Header=BB6_2479 Depth=3
	s_delay_alu instid0(SALU_CYCLE_1)
	s_or_b32 exec_lo, exec_lo, s34
	flat_load_u8 v13, v[16:17] offset:64 slc dlc
	s_mov_b32 s13, 0
	s_mov_b32 s35, exec_lo
                                        ; implicit-def: $sgpr34
	s_waitcnt vmcnt(0) lgkmcnt(0)
	v_cmpx_lt_i16_e32 0x7f, v13
	s_xor_b32 s35, exec_lo, s35
	s_cbranch_execnz .LBB6_2882
; %bb.2514:                             ;   in Loop: Header=BB6_2479 Depth=3
	s_or_saveexec_b32 s35, s35
	v_mov_b32_e32 v26, s34
	s_xor_b32 exec_lo, exec_lo, s35
	s_cbranch_execnz .LBB6_2885
.LBB6_2515:                             ;   in Loop: Header=BB6_2479 Depth=3
	s_or_b32 exec_lo, exec_lo, s35
	s_and_saveexec_b32 s34, s13
	s_cbranch_execz .LBB6_2517
.LBB6_2516:                             ;   in Loop: Header=BB6_2479 Depth=3
	v_and_b32_e32 v26, 0xffff, v13
	v_lshlrev_b32_e32 v13, 24, v13
	s_delay_alu instid0(VALU_DEP_2) | instskip(NEXT) | instid1(VALU_DEP_2)
	v_and_b32_e32 v27, 3, v26
	v_and_b32_e32 v13, 0x80000000, v13
	s_delay_alu instid0(VALU_DEP_2) | instskip(NEXT) | instid1(VALU_DEP_1)
	v_clz_i32_u32_e32 v36, v27
	v_min_u32_e32 v36, 32, v36
	s_delay_alu instid0(VALU_DEP_1) | instskip(SKIP_1) | instid1(VALU_DEP_2)
	v_subrev_nc_u32_e32 v37, 29, v36
	v_sub_nc_u32_e32 v36, 30, v36
	v_lshlrev_b32_e32 v37, v37, v26
	v_bfe_u32 v26, v26, 2, 5
	s_delay_alu instid0(VALU_DEP_2) | instskip(NEXT) | instid1(VALU_DEP_2)
	v_and_b32_e32 v37, 3, v37
	v_cmp_eq_u32_e32 vcc_lo, 0, v26
	s_delay_alu instid0(VALU_DEP_2) | instskip(NEXT) | instid1(VALU_DEP_1)
	v_dual_cndmask_b32 v26, v26, v36 :: v_dual_cndmask_b32 v27, v27, v37
	v_lshl_add_u32 v26, v26, 23, 0x37800000
	s_delay_alu instid0(VALU_DEP_2) | instskip(NEXT) | instid1(VALU_DEP_1)
	v_lshlrev_b32_e32 v27, 21, v27
	v_or3_b32 v26, v13, v26, v27
.LBB6_2517:                             ;   in Loop: Header=BB6_2479 Depth=3
	s_or_b32 exec_lo, exec_lo, s34
	s_delay_alu instid0(VALU_DEP_1) | instskip(SKIP_2) | instid1(VALU_DEP_2)
	v_mul_f32_e32 v13, v70, v26
	v_mov_b32_e32 v81, 0x80
	s_mov_b32 s34, exec_lo
	v_and_b32_e32 v26, 0x7f800000, v13
	s_delay_alu instid0(VALU_DEP_1)
	v_cmpx_ne_u32_e32 0x7f800000, v26
	s_cbranch_execz .LBB6_2525
; %bb.2518:                             ;   in Loop: Header=BB6_2479 Depth=3
	v_mov_b32_e32 v81, 0
	s_mov_b32 s35, exec_lo
	v_cmpx_ne_u32_e32 0, v13
	s_cbranch_execz .LBB6_2524
; %bb.2519:                             ;   in Loop: Header=BB6_2479 Depth=3
	v_bfe_u32 v26, v13, 23, 8
	s_delay_alu instid0(VALU_DEP_1) | instskip(SKIP_1) | instid1(VALU_DEP_2)
	v_sub_nc_u32_e32 v36, 0x70, v26
	v_cmp_gt_u32_e32 vcc_lo, 0x71, v26
	v_dual_cndmask_b32 v36, 0, v36 :: v_dual_and_b32 v27, 0x7fffff, v13
	s_delay_alu instid0(VALU_DEP_1) | instskip(SKIP_2) | instid1(VALU_DEP_4)
	v_or_b32_e32 v37, 0x800000, v27
	v_cmp_eq_u32_e32 vcc_lo, 0, v26
	v_add_nc_u32_e32 v26, 0xffffff91, v26
	v_cndmask_b32_e64 v36, v36, 0x6f, vcc_lo
	s_delay_alu instid0(VALU_DEP_4) | instskip(NEXT) | instid1(VALU_DEP_3)
	v_cndmask_b32_e32 v27, v37, v27, vcc_lo
	v_cndmask_b32_e64 v26, v26, 0xffffff92, vcc_lo
	s_delay_alu instid0(VALU_DEP_3) | instskip(NEXT) | instid1(VALU_DEP_3)
	v_lshl_add_u32 v37, 0x200000, v36, -1
	v_lshrrev_b32_e32 v38, v36, v27
	v_lshlrev_b32_e64 v48, v36, 0x100000
	s_delay_alu instid0(VALU_DEP_4) | instskip(NEXT) | instid1(VALU_DEP_4)
	v_add_nc_u32_e32 v36, v36, v26
	v_and_b32_e32 v27, v37, v27
	s_delay_alu instid0(VALU_DEP_4) | instskip(NEXT) | instid1(VALU_DEP_2)
	v_bfe_u32 v39, v38, 21, 1
	v_cmp_eq_u32_e64 s13, v27, v48
	s_delay_alu instid0(VALU_DEP_2) | instskip(NEXT) | instid1(VALU_DEP_1)
	v_add_nc_u32_e32 v37, -1, v39
	v_cndmask_b32_e64 v27, 0, v37, s13
	v_lshrrev_b32_e32 v37, 23, v38
	s_mov_b32 s13, exec_lo
	s_delay_alu instid0(VALU_DEP_2) | instskip(NEXT) | instid1(VALU_DEP_2)
	v_add_nc_u32_e32 v27, v27, v38
	v_xor_b32_e32 v37, 1, v37
	s_delay_alu instid0(VALU_DEP_2) | instskip(NEXT) | instid1(VALU_DEP_1)
	v_and_b32_e32 v26, 0x1fffff, v27
	v_add_nc_u32_e32 v27, v26, v38
                                        ; implicit-def: $vgpr26
	s_delay_alu instid0(VALU_DEP_3)
	v_cmpx_ne_u32_e64 v36, v37
	s_xor_b32 s13, exec_lo, s13
; %bb.2520:                             ;   in Loop: Header=BB6_2479 Depth=3
	s_delay_alu instid0(VALU_DEP_2) | instskip(SKIP_2) | instid1(VALU_DEP_2)
	v_cmp_lt_u32_e32 vcc_lo, 0xffffff, v27
	v_sub_nc_u32_e32 v26, v36, v37
	v_cndmask_b32_e64 v36, 0, 1, vcc_lo
	v_add_co_ci_u32_e32 v26, vcc_lo, 0, v26, vcc_lo
	s_delay_alu instid0(VALU_DEP_2)
	v_lshrrev_b32_e32 v27, v36, v27
; %bb.2521:                             ;   in Loop: Header=BB6_2479 Depth=3
	s_and_not1_saveexec_b32 s13, s13
; %bb.2522:                             ;   in Loop: Header=BB6_2479 Depth=3
	s_delay_alu instid0(VALU_DEP_1)
	v_bfe_u32 v26, v27, 23, 1
; %bb.2523:                             ;   in Loop: Header=BB6_2479 Depth=3
	s_or_b32 exec_lo, exec_lo, s13
	v_lshrrev_b32_e32 v27, 21, v27
	s_delay_alu instid0(VALU_DEP_2) | instskip(SKIP_2) | instid1(VALU_DEP_4)
	v_cmp_gt_i32_e32 vcc_lo, 32, v26
	v_lshrrev_b32_e32 v13, 24, v13
	v_min_i32_e32 v36, 31, v26
	v_cndmask_b32_e32 v27, 3, v27, vcc_lo
	s_delay_alu instid0(VALU_DEP_3) | instskip(NEXT) | instid1(VALU_DEP_3)
	v_and_b32_e32 v13, 0x80, v13
	v_lshlrev_b32_e32 v36, 2, v36
	s_delay_alu instid0(VALU_DEP_3) | instskip(SKIP_1) | instid1(VALU_DEP_2)
	v_and_b32_e32 v37, 3, v27
	v_or_b32_e32 v26, v26, v27
	v_or3_b32 v13, v36, v13, v37
	s_delay_alu instid0(VALU_DEP_2) | instskip(NEXT) | instid1(VALU_DEP_2)
	v_cmp_ne_u32_e32 vcc_lo, 0, v26
	v_cndmask_b32_e32 v81, 0, v13, vcc_lo
.LBB6_2524:                             ;   in Loop: Header=BB6_2479 Depth=3
	s_or_b32 exec_lo, exec_lo, s35
.LBB6_2525:                             ;   in Loop: Header=BB6_2479 Depth=3
	s_delay_alu instid0(SALU_CYCLE_1)
	s_or_b32 exec_lo, exec_lo, s34
	flat_load_u8 v13, v[16:17] offset:96 slc dlc
	s_mov_b32 s13, 0
	s_mov_b32 s35, exec_lo
                                        ; implicit-def: $sgpr34
	s_waitcnt vmcnt(0) lgkmcnt(0)
	v_cmpx_lt_i16_e32 0x7f, v13
	s_xor_b32 s35, exec_lo, s35
	s_cbranch_execnz .LBB6_2886
; %bb.2526:                             ;   in Loop: Header=BB6_2479 Depth=3
	s_or_saveexec_b32 s35, s35
	v_mov_b32_e32 v26, s34
	s_xor_b32 exec_lo, exec_lo, s35
	s_cbranch_execnz .LBB6_2889
.LBB6_2527:                             ;   in Loop: Header=BB6_2479 Depth=3
	s_or_b32 exec_lo, exec_lo, s35
	s_and_saveexec_b32 s34, s13
	s_cbranch_execz .LBB6_2529
.LBB6_2528:                             ;   in Loop: Header=BB6_2479 Depth=3
	v_and_b32_e32 v26, 0xffff, v13
	v_lshlrev_b32_e32 v13, 24, v13
	s_delay_alu instid0(VALU_DEP_2) | instskip(NEXT) | instid1(VALU_DEP_2)
	v_and_b32_e32 v27, 3, v26
	v_and_b32_e32 v13, 0x80000000, v13
	s_delay_alu instid0(VALU_DEP_2) | instskip(NEXT) | instid1(VALU_DEP_1)
	v_clz_i32_u32_e32 v36, v27
	v_min_u32_e32 v36, 32, v36
	s_delay_alu instid0(VALU_DEP_1) | instskip(SKIP_1) | instid1(VALU_DEP_2)
	v_subrev_nc_u32_e32 v37, 29, v36
	v_sub_nc_u32_e32 v36, 30, v36
	v_lshlrev_b32_e32 v37, v37, v26
	v_bfe_u32 v26, v26, 2, 5
	s_delay_alu instid0(VALU_DEP_2) | instskip(NEXT) | instid1(VALU_DEP_2)
	v_and_b32_e32 v37, 3, v37
	v_cmp_eq_u32_e32 vcc_lo, 0, v26
	s_delay_alu instid0(VALU_DEP_2) | instskip(NEXT) | instid1(VALU_DEP_1)
	v_dual_cndmask_b32 v26, v26, v36 :: v_dual_cndmask_b32 v27, v27, v37
	v_lshl_add_u32 v26, v26, 23, 0x37800000
	s_delay_alu instid0(VALU_DEP_2) | instskip(NEXT) | instid1(VALU_DEP_1)
	v_lshlrev_b32_e32 v27, 21, v27
	v_or3_b32 v26, v13, v26, v27
.LBB6_2529:                             ;   in Loop: Header=BB6_2479 Depth=3
	s_or_b32 exec_lo, exec_lo, s34
	s_delay_alu instid0(VALU_DEP_1) | instskip(SKIP_1) | instid1(VALU_DEP_1)
	v_dual_mul_f32 v13, v70, v26 :: v_dual_mov_b32 v82, 0x80
	s_mov_b32 s34, exec_lo
	v_and_b32_e32 v26, 0x7f800000, v13
	s_delay_alu instid0(VALU_DEP_1)
	v_cmpx_ne_u32_e32 0x7f800000, v26
	s_cbranch_execz .LBB6_2537
; %bb.2530:                             ;   in Loop: Header=BB6_2479 Depth=3
	v_mov_b32_e32 v82, 0
	s_mov_b32 s35, exec_lo
	v_cmpx_ne_u32_e32 0, v13
	s_cbranch_execz .LBB6_2536
; %bb.2531:                             ;   in Loop: Header=BB6_2479 Depth=3
	v_bfe_u32 v26, v13, 23, 8
	s_delay_alu instid0(VALU_DEP_1) | instskip(SKIP_1) | instid1(VALU_DEP_2)
	v_sub_nc_u32_e32 v36, 0x70, v26
	v_cmp_gt_u32_e32 vcc_lo, 0x71, v26
	v_dual_cndmask_b32 v36, 0, v36 :: v_dual_and_b32 v27, 0x7fffff, v13
	s_delay_alu instid0(VALU_DEP_1) | instskip(SKIP_2) | instid1(VALU_DEP_4)
	v_or_b32_e32 v37, 0x800000, v27
	v_cmp_eq_u32_e32 vcc_lo, 0, v26
	v_add_nc_u32_e32 v26, 0xffffff91, v26
	v_cndmask_b32_e64 v36, v36, 0x6f, vcc_lo
	s_delay_alu instid0(VALU_DEP_4) | instskip(NEXT) | instid1(VALU_DEP_3)
	v_cndmask_b32_e32 v27, v37, v27, vcc_lo
	v_cndmask_b32_e64 v26, v26, 0xffffff92, vcc_lo
	s_delay_alu instid0(VALU_DEP_3) | instskip(NEXT) | instid1(VALU_DEP_3)
	v_lshl_add_u32 v37, 0x200000, v36, -1
	v_lshrrev_b32_e32 v38, v36, v27
	v_lshlrev_b32_e64 v48, v36, 0x100000
	s_delay_alu instid0(VALU_DEP_4) | instskip(NEXT) | instid1(VALU_DEP_4)
	v_add_nc_u32_e32 v36, v36, v26
	v_and_b32_e32 v27, v37, v27
	s_delay_alu instid0(VALU_DEP_4) | instskip(NEXT) | instid1(VALU_DEP_2)
	v_bfe_u32 v39, v38, 21, 1
	v_cmp_eq_u32_e64 s13, v27, v48
	s_delay_alu instid0(VALU_DEP_2) | instskip(NEXT) | instid1(VALU_DEP_1)
	v_add_nc_u32_e32 v37, -1, v39
	v_cndmask_b32_e64 v27, 0, v37, s13
	v_lshrrev_b32_e32 v37, 23, v38
	s_mov_b32 s13, exec_lo
	s_delay_alu instid0(VALU_DEP_2) | instskip(NEXT) | instid1(VALU_DEP_2)
	v_add_nc_u32_e32 v27, v27, v38
	v_xor_b32_e32 v37, 1, v37
	s_delay_alu instid0(VALU_DEP_2) | instskip(NEXT) | instid1(VALU_DEP_1)
	v_and_b32_e32 v26, 0x1fffff, v27
	v_add_nc_u32_e32 v27, v26, v38
                                        ; implicit-def: $vgpr26
	s_delay_alu instid0(VALU_DEP_3)
	v_cmpx_ne_u32_e64 v36, v37
	s_xor_b32 s13, exec_lo, s13
; %bb.2532:                             ;   in Loop: Header=BB6_2479 Depth=3
	s_delay_alu instid0(VALU_DEP_2) | instskip(SKIP_2) | instid1(VALU_DEP_2)
	v_cmp_lt_u32_e32 vcc_lo, 0xffffff, v27
	v_sub_nc_u32_e32 v26, v36, v37
	v_cndmask_b32_e64 v36, 0, 1, vcc_lo
	v_add_co_ci_u32_e32 v26, vcc_lo, 0, v26, vcc_lo
	s_delay_alu instid0(VALU_DEP_2)
	v_lshrrev_b32_e32 v27, v36, v27
; %bb.2533:                             ;   in Loop: Header=BB6_2479 Depth=3
	s_and_not1_saveexec_b32 s13, s13
; %bb.2534:                             ;   in Loop: Header=BB6_2479 Depth=3
	s_delay_alu instid0(VALU_DEP_1)
	v_bfe_u32 v26, v27, 23, 1
; %bb.2535:                             ;   in Loop: Header=BB6_2479 Depth=3
	s_or_b32 exec_lo, exec_lo, s13
	v_lshrrev_b32_e32 v27, 21, v27
	s_delay_alu instid0(VALU_DEP_2) | instskip(SKIP_2) | instid1(VALU_DEP_2)
	v_cmp_gt_i32_e32 vcc_lo, 32, v26
	v_min_i32_e32 v36, 31, v26
	v_lshrrev_b32_e32 v13, 24, v13
	v_dual_cndmask_b32 v27, 3, v27 :: v_dual_lshlrev_b32 v36, 2, v36
	s_delay_alu instid0(VALU_DEP_2) | instskip(NEXT) | instid1(VALU_DEP_2)
	v_and_b32_e32 v13, 0x80, v13
	v_or_b32_e32 v26, v26, v27
	s_delay_alu instid0(VALU_DEP_1) | instskip(SKIP_1) | instid1(VALU_DEP_1)
	v_cmp_ne_u32_e32 vcc_lo, 0, v26
	v_and_b32_e32 v37, 3, v27
	v_or3_b32 v13, v36, v13, v37
	s_delay_alu instid0(VALU_DEP_1)
	v_cndmask_b32_e32 v82, 0, v13, vcc_lo
.LBB6_2536:                             ;   in Loop: Header=BB6_2479 Depth=3
	s_or_b32 exec_lo, exec_lo, s35
.LBB6_2537:                             ;   in Loop: Header=BB6_2479 Depth=3
	s_delay_alu instid0(SALU_CYCLE_1)
	s_or_b32 exec_lo, exec_lo, s34
	flat_load_u8 v13, v[16:17] offset:128 slc dlc
	s_mov_b32 s13, 0
	s_mov_b32 s35, exec_lo
                                        ; implicit-def: $sgpr34
	s_waitcnt vmcnt(0) lgkmcnt(0)
	v_cmpx_lt_i16_e32 0x7f, v13
	s_xor_b32 s35, exec_lo, s35
	s_cbranch_execnz .LBB6_2890
; %bb.2538:                             ;   in Loop: Header=BB6_2479 Depth=3
	s_or_saveexec_b32 s35, s35
	v_mov_b32_e32 v26, s34
	s_xor_b32 exec_lo, exec_lo, s35
	s_cbranch_execnz .LBB6_2893
.LBB6_2539:                             ;   in Loop: Header=BB6_2479 Depth=3
	s_or_b32 exec_lo, exec_lo, s35
	s_and_saveexec_b32 s34, s13
	s_cbranch_execz .LBB6_2541
.LBB6_2540:                             ;   in Loop: Header=BB6_2479 Depth=3
	v_and_b32_e32 v26, 0xffff, v13
	v_lshlrev_b32_e32 v13, 24, v13
	s_delay_alu instid0(VALU_DEP_2) | instskip(NEXT) | instid1(VALU_DEP_2)
	v_and_b32_e32 v27, 3, v26
	v_and_b32_e32 v13, 0x80000000, v13
	s_delay_alu instid0(VALU_DEP_2) | instskip(NEXT) | instid1(VALU_DEP_1)
	v_clz_i32_u32_e32 v36, v27
	v_min_u32_e32 v36, 32, v36
	s_delay_alu instid0(VALU_DEP_1) | instskip(SKIP_1) | instid1(VALU_DEP_2)
	v_subrev_nc_u32_e32 v37, 29, v36
	v_sub_nc_u32_e32 v36, 30, v36
	v_lshlrev_b32_e32 v37, v37, v26
	v_bfe_u32 v26, v26, 2, 5
	s_delay_alu instid0(VALU_DEP_2) | instskip(NEXT) | instid1(VALU_DEP_2)
	v_and_b32_e32 v37, 3, v37
	v_cmp_eq_u32_e32 vcc_lo, 0, v26
	s_delay_alu instid0(VALU_DEP_2) | instskip(NEXT) | instid1(VALU_DEP_1)
	v_dual_cndmask_b32 v26, v26, v36 :: v_dual_cndmask_b32 v27, v27, v37
	v_lshl_add_u32 v26, v26, 23, 0x37800000
	s_delay_alu instid0(VALU_DEP_2) | instskip(NEXT) | instid1(VALU_DEP_1)
	v_lshlrev_b32_e32 v27, 21, v27
	v_or3_b32 v26, v13, v26, v27
.LBB6_2541:                             ;   in Loop: Header=BB6_2479 Depth=3
	s_or_b32 exec_lo, exec_lo, s34
	s_delay_alu instid0(VALU_DEP_1) | instskip(SKIP_2) | instid1(VALU_DEP_2)
	v_mul_f32_e32 v13, v70, v26
	v_mov_b32_e32 v83, 0x80
	s_mov_b32 s34, exec_lo
	v_and_b32_e32 v26, 0x7f800000, v13
	s_delay_alu instid0(VALU_DEP_1)
	v_cmpx_ne_u32_e32 0x7f800000, v26
	s_cbranch_execz .LBB6_2549
; %bb.2542:                             ;   in Loop: Header=BB6_2479 Depth=3
	v_mov_b32_e32 v83, 0
	s_mov_b32 s35, exec_lo
	v_cmpx_ne_u32_e32 0, v13
	s_cbranch_execz .LBB6_2548
; %bb.2543:                             ;   in Loop: Header=BB6_2479 Depth=3
	v_bfe_u32 v26, v13, 23, 8
	s_delay_alu instid0(VALU_DEP_1) | instskip(SKIP_1) | instid1(VALU_DEP_2)
	v_sub_nc_u32_e32 v36, 0x70, v26
	v_cmp_gt_u32_e32 vcc_lo, 0x71, v26
	v_dual_cndmask_b32 v36, 0, v36 :: v_dual_and_b32 v27, 0x7fffff, v13
	s_delay_alu instid0(VALU_DEP_1) | instskip(SKIP_2) | instid1(VALU_DEP_4)
	v_or_b32_e32 v37, 0x800000, v27
	v_cmp_eq_u32_e32 vcc_lo, 0, v26
	v_add_nc_u32_e32 v26, 0xffffff91, v26
	v_cndmask_b32_e64 v36, v36, 0x6f, vcc_lo
	s_delay_alu instid0(VALU_DEP_4) | instskip(NEXT) | instid1(VALU_DEP_3)
	v_cndmask_b32_e32 v27, v37, v27, vcc_lo
	v_cndmask_b32_e64 v26, v26, 0xffffff92, vcc_lo
	s_delay_alu instid0(VALU_DEP_3) | instskip(NEXT) | instid1(VALU_DEP_3)
	v_lshl_add_u32 v37, 0x200000, v36, -1
	v_lshrrev_b32_e32 v38, v36, v27
	v_lshlrev_b32_e64 v48, v36, 0x100000
	s_delay_alu instid0(VALU_DEP_4) | instskip(NEXT) | instid1(VALU_DEP_4)
	v_add_nc_u32_e32 v36, v36, v26
	v_and_b32_e32 v27, v37, v27
	s_delay_alu instid0(VALU_DEP_4) | instskip(NEXT) | instid1(VALU_DEP_2)
	v_bfe_u32 v39, v38, 21, 1
	v_cmp_eq_u32_e64 s13, v27, v48
	s_delay_alu instid0(VALU_DEP_2) | instskip(NEXT) | instid1(VALU_DEP_1)
	v_add_nc_u32_e32 v37, -1, v39
	v_cndmask_b32_e64 v27, 0, v37, s13
	v_lshrrev_b32_e32 v37, 23, v38
	s_mov_b32 s13, exec_lo
	s_delay_alu instid0(VALU_DEP_2) | instskip(NEXT) | instid1(VALU_DEP_2)
	v_add_nc_u32_e32 v27, v27, v38
	v_xor_b32_e32 v37, 1, v37
	s_delay_alu instid0(VALU_DEP_2) | instskip(NEXT) | instid1(VALU_DEP_1)
	v_and_b32_e32 v26, 0x1fffff, v27
	v_add_nc_u32_e32 v27, v26, v38
                                        ; implicit-def: $vgpr26
	s_delay_alu instid0(VALU_DEP_3)
	v_cmpx_ne_u32_e64 v36, v37
	s_xor_b32 s13, exec_lo, s13
; %bb.2544:                             ;   in Loop: Header=BB6_2479 Depth=3
	s_delay_alu instid0(VALU_DEP_2) | instskip(SKIP_2) | instid1(VALU_DEP_2)
	v_cmp_lt_u32_e32 vcc_lo, 0xffffff, v27
	v_sub_nc_u32_e32 v26, v36, v37
	v_cndmask_b32_e64 v36, 0, 1, vcc_lo
	v_add_co_ci_u32_e32 v26, vcc_lo, 0, v26, vcc_lo
	s_delay_alu instid0(VALU_DEP_2)
	v_lshrrev_b32_e32 v27, v36, v27
; %bb.2545:                             ;   in Loop: Header=BB6_2479 Depth=3
	s_and_not1_saveexec_b32 s13, s13
; %bb.2546:                             ;   in Loop: Header=BB6_2479 Depth=3
	s_delay_alu instid0(VALU_DEP_1)
	v_bfe_u32 v26, v27, 23, 1
; %bb.2547:                             ;   in Loop: Header=BB6_2479 Depth=3
	s_or_b32 exec_lo, exec_lo, s13
	v_lshrrev_b32_e32 v27, 21, v27
	s_delay_alu instid0(VALU_DEP_2) | instskip(SKIP_2) | instid1(VALU_DEP_4)
	v_cmp_gt_i32_e32 vcc_lo, 32, v26
	v_lshrrev_b32_e32 v13, 24, v13
	v_min_i32_e32 v36, 31, v26
	v_cndmask_b32_e32 v27, 3, v27, vcc_lo
	s_delay_alu instid0(VALU_DEP_3) | instskip(NEXT) | instid1(VALU_DEP_3)
	v_and_b32_e32 v13, 0x80, v13
	v_lshlrev_b32_e32 v36, 2, v36
	s_delay_alu instid0(VALU_DEP_3) | instskip(SKIP_1) | instid1(VALU_DEP_2)
	v_and_b32_e32 v37, 3, v27
	v_or_b32_e32 v26, v26, v27
	v_or3_b32 v13, v36, v13, v37
	s_delay_alu instid0(VALU_DEP_2) | instskip(NEXT) | instid1(VALU_DEP_2)
	v_cmp_ne_u32_e32 vcc_lo, 0, v26
	v_cndmask_b32_e32 v83, 0, v13, vcc_lo
.LBB6_2548:                             ;   in Loop: Header=BB6_2479 Depth=3
	s_or_b32 exec_lo, exec_lo, s35
.LBB6_2549:                             ;   in Loop: Header=BB6_2479 Depth=3
	s_delay_alu instid0(SALU_CYCLE_1)
	s_or_b32 exec_lo, exec_lo, s34
	flat_load_u8 v13, v[16:17] offset:160 slc dlc
	s_mov_b32 s13, 0
	s_mov_b32 s35, exec_lo
                                        ; implicit-def: $sgpr34
	s_waitcnt vmcnt(0) lgkmcnt(0)
	v_cmpx_lt_i16_e32 0x7f, v13
	s_xor_b32 s35, exec_lo, s35
	s_cbranch_execnz .LBB6_2894
; %bb.2550:                             ;   in Loop: Header=BB6_2479 Depth=3
	s_or_saveexec_b32 s35, s35
	v_mov_b32_e32 v26, s34
	s_xor_b32 exec_lo, exec_lo, s35
	s_cbranch_execnz .LBB6_2897
.LBB6_2551:                             ;   in Loop: Header=BB6_2479 Depth=3
	s_or_b32 exec_lo, exec_lo, s35
	s_and_saveexec_b32 s34, s13
	s_cbranch_execz .LBB6_2553
.LBB6_2552:                             ;   in Loop: Header=BB6_2479 Depth=3
	v_and_b32_e32 v26, 0xffff, v13
	v_lshlrev_b32_e32 v13, 24, v13
	s_delay_alu instid0(VALU_DEP_2) | instskip(NEXT) | instid1(VALU_DEP_2)
	v_and_b32_e32 v27, 3, v26
	v_and_b32_e32 v13, 0x80000000, v13
	s_delay_alu instid0(VALU_DEP_2) | instskip(NEXT) | instid1(VALU_DEP_1)
	v_clz_i32_u32_e32 v36, v27
	v_min_u32_e32 v36, 32, v36
	s_delay_alu instid0(VALU_DEP_1) | instskip(SKIP_1) | instid1(VALU_DEP_2)
	v_subrev_nc_u32_e32 v37, 29, v36
	v_sub_nc_u32_e32 v36, 30, v36
	v_lshlrev_b32_e32 v37, v37, v26
	v_bfe_u32 v26, v26, 2, 5
	s_delay_alu instid0(VALU_DEP_2) | instskip(NEXT) | instid1(VALU_DEP_2)
	v_and_b32_e32 v37, 3, v37
	v_cmp_eq_u32_e32 vcc_lo, 0, v26
	s_delay_alu instid0(VALU_DEP_2) | instskip(NEXT) | instid1(VALU_DEP_1)
	v_dual_cndmask_b32 v26, v26, v36 :: v_dual_cndmask_b32 v27, v27, v37
	v_lshl_add_u32 v26, v26, 23, 0x37800000
	s_delay_alu instid0(VALU_DEP_2) | instskip(NEXT) | instid1(VALU_DEP_1)
	v_lshlrev_b32_e32 v27, 21, v27
	v_or3_b32 v26, v13, v26, v27
.LBB6_2553:                             ;   in Loop: Header=BB6_2479 Depth=3
	s_or_b32 exec_lo, exec_lo, s34
	s_delay_alu instid0(VALU_DEP_1) | instskip(SKIP_1) | instid1(VALU_DEP_1)
	v_dual_mul_f32 v13, v70, v26 :: v_dual_mov_b32 v84, 0x80
	s_mov_b32 s34, exec_lo
	v_and_b32_e32 v26, 0x7f800000, v13
	s_delay_alu instid0(VALU_DEP_1)
	v_cmpx_ne_u32_e32 0x7f800000, v26
	s_cbranch_execz .LBB6_2561
; %bb.2554:                             ;   in Loop: Header=BB6_2479 Depth=3
	v_mov_b32_e32 v84, 0
	s_mov_b32 s35, exec_lo
	v_cmpx_ne_u32_e32 0, v13
	s_cbranch_execz .LBB6_2560
; %bb.2555:                             ;   in Loop: Header=BB6_2479 Depth=3
	v_bfe_u32 v26, v13, 23, 8
	s_delay_alu instid0(VALU_DEP_1) | instskip(SKIP_1) | instid1(VALU_DEP_2)
	v_sub_nc_u32_e32 v36, 0x70, v26
	v_cmp_gt_u32_e32 vcc_lo, 0x71, v26
	v_dual_cndmask_b32 v36, 0, v36 :: v_dual_and_b32 v27, 0x7fffff, v13
	s_delay_alu instid0(VALU_DEP_1) | instskip(SKIP_2) | instid1(VALU_DEP_4)
	v_or_b32_e32 v37, 0x800000, v27
	v_cmp_eq_u32_e32 vcc_lo, 0, v26
	v_add_nc_u32_e32 v26, 0xffffff91, v26
	v_cndmask_b32_e64 v36, v36, 0x6f, vcc_lo
	s_delay_alu instid0(VALU_DEP_4) | instskip(NEXT) | instid1(VALU_DEP_3)
	v_cndmask_b32_e32 v27, v37, v27, vcc_lo
	v_cndmask_b32_e64 v26, v26, 0xffffff92, vcc_lo
	s_delay_alu instid0(VALU_DEP_3) | instskip(NEXT) | instid1(VALU_DEP_3)
	v_lshl_add_u32 v37, 0x200000, v36, -1
	v_lshrrev_b32_e32 v38, v36, v27
	v_lshlrev_b32_e64 v48, v36, 0x100000
	s_delay_alu instid0(VALU_DEP_4) | instskip(NEXT) | instid1(VALU_DEP_4)
	v_add_nc_u32_e32 v36, v36, v26
	v_and_b32_e32 v27, v37, v27
	s_delay_alu instid0(VALU_DEP_4) | instskip(NEXT) | instid1(VALU_DEP_2)
	v_bfe_u32 v39, v38, 21, 1
	v_cmp_eq_u32_e64 s13, v27, v48
	s_delay_alu instid0(VALU_DEP_2) | instskip(NEXT) | instid1(VALU_DEP_1)
	v_add_nc_u32_e32 v37, -1, v39
	v_cndmask_b32_e64 v27, 0, v37, s13
	v_lshrrev_b32_e32 v37, 23, v38
	s_mov_b32 s13, exec_lo
	s_delay_alu instid0(VALU_DEP_2) | instskip(NEXT) | instid1(VALU_DEP_2)
	v_add_nc_u32_e32 v27, v27, v38
	v_xor_b32_e32 v37, 1, v37
	s_delay_alu instid0(VALU_DEP_2) | instskip(NEXT) | instid1(VALU_DEP_1)
	v_and_b32_e32 v26, 0x1fffff, v27
	v_add_nc_u32_e32 v27, v26, v38
                                        ; implicit-def: $vgpr26
	s_delay_alu instid0(VALU_DEP_3)
	v_cmpx_ne_u32_e64 v36, v37
	s_xor_b32 s13, exec_lo, s13
; %bb.2556:                             ;   in Loop: Header=BB6_2479 Depth=3
	s_delay_alu instid0(VALU_DEP_2) | instskip(SKIP_2) | instid1(VALU_DEP_2)
	v_cmp_lt_u32_e32 vcc_lo, 0xffffff, v27
	v_sub_nc_u32_e32 v26, v36, v37
	v_cndmask_b32_e64 v36, 0, 1, vcc_lo
	v_add_co_ci_u32_e32 v26, vcc_lo, 0, v26, vcc_lo
	s_delay_alu instid0(VALU_DEP_2)
	v_lshrrev_b32_e32 v27, v36, v27
; %bb.2557:                             ;   in Loop: Header=BB6_2479 Depth=3
	s_and_not1_saveexec_b32 s13, s13
; %bb.2558:                             ;   in Loop: Header=BB6_2479 Depth=3
	s_delay_alu instid0(VALU_DEP_1)
	v_bfe_u32 v26, v27, 23, 1
; %bb.2559:                             ;   in Loop: Header=BB6_2479 Depth=3
	s_or_b32 exec_lo, exec_lo, s13
	v_lshrrev_b32_e32 v27, 21, v27
	s_delay_alu instid0(VALU_DEP_2) | instskip(SKIP_2) | instid1(VALU_DEP_2)
	v_cmp_gt_i32_e32 vcc_lo, 32, v26
	v_min_i32_e32 v36, 31, v26
	v_lshrrev_b32_e32 v13, 24, v13
	v_dual_cndmask_b32 v27, 3, v27 :: v_dual_lshlrev_b32 v36, 2, v36
	s_delay_alu instid0(VALU_DEP_2) | instskip(NEXT) | instid1(VALU_DEP_2)
	v_and_b32_e32 v13, 0x80, v13
	v_or_b32_e32 v26, v26, v27
	s_delay_alu instid0(VALU_DEP_1) | instskip(SKIP_1) | instid1(VALU_DEP_1)
	v_cmp_ne_u32_e32 vcc_lo, 0, v26
	v_and_b32_e32 v37, 3, v27
	v_or3_b32 v13, v36, v13, v37
	s_delay_alu instid0(VALU_DEP_1)
	v_cndmask_b32_e32 v84, 0, v13, vcc_lo
.LBB6_2560:                             ;   in Loop: Header=BB6_2479 Depth=3
	s_or_b32 exec_lo, exec_lo, s35
.LBB6_2561:                             ;   in Loop: Header=BB6_2479 Depth=3
	s_delay_alu instid0(SALU_CYCLE_1)
	s_or_b32 exec_lo, exec_lo, s34
	flat_load_u8 v13, v[16:17] offset:192 slc dlc
	s_mov_b32 s13, 0
	s_mov_b32 s35, exec_lo
                                        ; implicit-def: $sgpr34
	s_waitcnt vmcnt(0) lgkmcnt(0)
	v_cmpx_lt_i16_e32 0x7f, v13
	s_xor_b32 s35, exec_lo, s35
	s_cbranch_execnz .LBB6_2898
; %bb.2562:                             ;   in Loop: Header=BB6_2479 Depth=3
	s_or_saveexec_b32 s35, s35
	v_mov_b32_e32 v26, s34
	s_xor_b32 exec_lo, exec_lo, s35
	s_cbranch_execnz .LBB6_2901
.LBB6_2563:                             ;   in Loop: Header=BB6_2479 Depth=3
	s_or_b32 exec_lo, exec_lo, s35
	s_and_saveexec_b32 s34, s13
	s_cbranch_execz .LBB6_2565
.LBB6_2564:                             ;   in Loop: Header=BB6_2479 Depth=3
	v_and_b32_e32 v26, 0xffff, v13
	v_lshlrev_b32_e32 v13, 24, v13
	s_delay_alu instid0(VALU_DEP_2) | instskip(NEXT) | instid1(VALU_DEP_2)
	v_and_b32_e32 v27, 3, v26
	v_and_b32_e32 v13, 0x80000000, v13
	s_delay_alu instid0(VALU_DEP_2) | instskip(NEXT) | instid1(VALU_DEP_1)
	v_clz_i32_u32_e32 v36, v27
	v_min_u32_e32 v36, 32, v36
	s_delay_alu instid0(VALU_DEP_1) | instskip(SKIP_1) | instid1(VALU_DEP_2)
	v_subrev_nc_u32_e32 v37, 29, v36
	v_sub_nc_u32_e32 v36, 30, v36
	v_lshlrev_b32_e32 v37, v37, v26
	v_bfe_u32 v26, v26, 2, 5
	s_delay_alu instid0(VALU_DEP_2) | instskip(NEXT) | instid1(VALU_DEP_2)
	v_and_b32_e32 v37, 3, v37
	v_cmp_eq_u32_e32 vcc_lo, 0, v26
	s_delay_alu instid0(VALU_DEP_2) | instskip(NEXT) | instid1(VALU_DEP_1)
	v_dual_cndmask_b32 v26, v26, v36 :: v_dual_cndmask_b32 v27, v27, v37
	v_lshl_add_u32 v26, v26, 23, 0x37800000
	s_delay_alu instid0(VALU_DEP_2) | instskip(NEXT) | instid1(VALU_DEP_1)
	v_lshlrev_b32_e32 v27, 21, v27
	v_or3_b32 v26, v13, v26, v27
.LBB6_2565:                             ;   in Loop: Header=BB6_2479 Depth=3
	s_or_b32 exec_lo, exec_lo, s34
	s_delay_alu instid0(VALU_DEP_1) | instskip(SKIP_2) | instid1(VALU_DEP_2)
	v_mul_f32_e32 v13, v70, v26
	v_mov_b32_e32 v85, 0x80
	s_mov_b32 s34, exec_lo
	v_and_b32_e32 v26, 0x7f800000, v13
	s_delay_alu instid0(VALU_DEP_1)
	v_cmpx_ne_u32_e32 0x7f800000, v26
	s_cbranch_execz .LBB6_2573
; %bb.2566:                             ;   in Loop: Header=BB6_2479 Depth=3
	v_mov_b32_e32 v85, 0
	s_mov_b32 s35, exec_lo
	v_cmpx_ne_u32_e32 0, v13
	s_cbranch_execz .LBB6_2572
; %bb.2567:                             ;   in Loop: Header=BB6_2479 Depth=3
	v_bfe_u32 v26, v13, 23, 8
	s_delay_alu instid0(VALU_DEP_1) | instskip(SKIP_1) | instid1(VALU_DEP_2)
	v_sub_nc_u32_e32 v36, 0x70, v26
	v_cmp_gt_u32_e32 vcc_lo, 0x71, v26
	v_dual_cndmask_b32 v36, 0, v36 :: v_dual_and_b32 v27, 0x7fffff, v13
	s_delay_alu instid0(VALU_DEP_1) | instskip(SKIP_2) | instid1(VALU_DEP_4)
	v_or_b32_e32 v37, 0x800000, v27
	v_cmp_eq_u32_e32 vcc_lo, 0, v26
	v_add_nc_u32_e32 v26, 0xffffff91, v26
	v_cndmask_b32_e64 v36, v36, 0x6f, vcc_lo
	s_delay_alu instid0(VALU_DEP_4) | instskip(NEXT) | instid1(VALU_DEP_3)
	v_cndmask_b32_e32 v27, v37, v27, vcc_lo
	v_cndmask_b32_e64 v26, v26, 0xffffff92, vcc_lo
	s_delay_alu instid0(VALU_DEP_3) | instskip(NEXT) | instid1(VALU_DEP_3)
	v_lshl_add_u32 v37, 0x200000, v36, -1
	v_lshrrev_b32_e32 v38, v36, v27
	v_lshlrev_b32_e64 v48, v36, 0x100000
	s_delay_alu instid0(VALU_DEP_4) | instskip(NEXT) | instid1(VALU_DEP_4)
	v_add_nc_u32_e32 v36, v36, v26
	v_and_b32_e32 v27, v37, v27
	s_delay_alu instid0(VALU_DEP_4) | instskip(NEXT) | instid1(VALU_DEP_2)
	v_bfe_u32 v39, v38, 21, 1
	v_cmp_eq_u32_e64 s13, v27, v48
	s_delay_alu instid0(VALU_DEP_2) | instskip(NEXT) | instid1(VALU_DEP_1)
	v_add_nc_u32_e32 v37, -1, v39
	v_cndmask_b32_e64 v27, 0, v37, s13
	v_lshrrev_b32_e32 v37, 23, v38
	s_mov_b32 s13, exec_lo
	s_delay_alu instid0(VALU_DEP_2) | instskip(NEXT) | instid1(VALU_DEP_2)
	v_add_nc_u32_e32 v27, v27, v38
	v_xor_b32_e32 v37, 1, v37
	s_delay_alu instid0(VALU_DEP_2) | instskip(NEXT) | instid1(VALU_DEP_1)
	v_and_b32_e32 v26, 0x1fffff, v27
	v_add_nc_u32_e32 v27, v26, v38
                                        ; implicit-def: $vgpr26
	s_delay_alu instid0(VALU_DEP_3)
	v_cmpx_ne_u32_e64 v36, v37
	s_xor_b32 s13, exec_lo, s13
; %bb.2568:                             ;   in Loop: Header=BB6_2479 Depth=3
	s_delay_alu instid0(VALU_DEP_2) | instskip(SKIP_2) | instid1(VALU_DEP_2)
	v_cmp_lt_u32_e32 vcc_lo, 0xffffff, v27
	v_sub_nc_u32_e32 v26, v36, v37
	v_cndmask_b32_e64 v36, 0, 1, vcc_lo
	v_add_co_ci_u32_e32 v26, vcc_lo, 0, v26, vcc_lo
	s_delay_alu instid0(VALU_DEP_2)
	v_lshrrev_b32_e32 v27, v36, v27
; %bb.2569:                             ;   in Loop: Header=BB6_2479 Depth=3
	s_and_not1_saveexec_b32 s13, s13
; %bb.2570:                             ;   in Loop: Header=BB6_2479 Depth=3
	s_delay_alu instid0(VALU_DEP_1)
	v_bfe_u32 v26, v27, 23, 1
; %bb.2571:                             ;   in Loop: Header=BB6_2479 Depth=3
	s_or_b32 exec_lo, exec_lo, s13
	v_lshrrev_b32_e32 v27, 21, v27
	s_delay_alu instid0(VALU_DEP_2) | instskip(SKIP_2) | instid1(VALU_DEP_4)
	v_cmp_gt_i32_e32 vcc_lo, 32, v26
	v_lshrrev_b32_e32 v13, 24, v13
	v_min_i32_e32 v36, 31, v26
	v_cndmask_b32_e32 v27, 3, v27, vcc_lo
	s_delay_alu instid0(VALU_DEP_3) | instskip(NEXT) | instid1(VALU_DEP_3)
	v_and_b32_e32 v13, 0x80, v13
	v_lshlrev_b32_e32 v36, 2, v36
	s_delay_alu instid0(VALU_DEP_3) | instskip(SKIP_1) | instid1(VALU_DEP_2)
	v_and_b32_e32 v37, 3, v27
	v_or_b32_e32 v26, v26, v27
	v_or3_b32 v13, v36, v13, v37
	s_delay_alu instid0(VALU_DEP_2) | instskip(NEXT) | instid1(VALU_DEP_2)
	v_cmp_ne_u32_e32 vcc_lo, 0, v26
	v_cndmask_b32_e32 v85, 0, v13, vcc_lo
.LBB6_2572:                             ;   in Loop: Header=BB6_2479 Depth=3
	s_or_b32 exec_lo, exec_lo, s35
.LBB6_2573:                             ;   in Loop: Header=BB6_2479 Depth=3
	s_delay_alu instid0(SALU_CYCLE_1)
	s_or_b32 exec_lo, exec_lo, s34
	flat_load_u8 v13, v[16:17] offset:224 slc dlc
	s_mov_b32 s13, 0
	s_mov_b32 s35, exec_lo
                                        ; implicit-def: $sgpr34
	s_waitcnt vmcnt(0) lgkmcnt(0)
	v_cmpx_lt_i16_e32 0x7f, v13
	s_xor_b32 s35, exec_lo, s35
	s_cbranch_execnz .LBB6_2902
; %bb.2574:                             ;   in Loop: Header=BB6_2479 Depth=3
	s_or_saveexec_b32 s35, s35
	v_mov_b32_e32 v26, s34
	s_xor_b32 exec_lo, exec_lo, s35
	s_cbranch_execnz .LBB6_2905
.LBB6_2575:                             ;   in Loop: Header=BB6_2479 Depth=3
	s_or_b32 exec_lo, exec_lo, s35
	s_and_saveexec_b32 s34, s13
	s_cbranch_execz .LBB6_2577
.LBB6_2576:                             ;   in Loop: Header=BB6_2479 Depth=3
	v_and_b32_e32 v26, 0xffff, v13
	v_lshlrev_b32_e32 v13, 24, v13
	s_delay_alu instid0(VALU_DEP_2) | instskip(NEXT) | instid1(VALU_DEP_2)
	v_and_b32_e32 v27, 3, v26
	v_and_b32_e32 v13, 0x80000000, v13
	s_delay_alu instid0(VALU_DEP_2) | instskip(NEXT) | instid1(VALU_DEP_1)
	v_clz_i32_u32_e32 v36, v27
	v_min_u32_e32 v36, 32, v36
	s_delay_alu instid0(VALU_DEP_1) | instskip(SKIP_1) | instid1(VALU_DEP_2)
	v_subrev_nc_u32_e32 v37, 29, v36
	v_sub_nc_u32_e32 v36, 30, v36
	v_lshlrev_b32_e32 v37, v37, v26
	v_bfe_u32 v26, v26, 2, 5
	s_delay_alu instid0(VALU_DEP_2) | instskip(NEXT) | instid1(VALU_DEP_2)
	v_and_b32_e32 v37, 3, v37
	v_cmp_eq_u32_e32 vcc_lo, 0, v26
	s_delay_alu instid0(VALU_DEP_2) | instskip(NEXT) | instid1(VALU_DEP_1)
	v_dual_cndmask_b32 v26, v26, v36 :: v_dual_cndmask_b32 v27, v27, v37
	v_lshl_add_u32 v26, v26, 23, 0x37800000
	s_delay_alu instid0(VALU_DEP_2) | instskip(NEXT) | instid1(VALU_DEP_1)
	v_lshlrev_b32_e32 v27, 21, v27
	v_or3_b32 v26, v13, v26, v27
.LBB6_2577:                             ;   in Loop: Header=BB6_2479 Depth=3
	s_or_b32 exec_lo, exec_lo, s34
	s_delay_alu instid0(VALU_DEP_1) | instskip(SKIP_1) | instid1(VALU_DEP_1)
	v_dual_mul_f32 v13, v70, v26 :: v_dual_mov_b32 v96, 0x80
	s_mov_b32 s34, exec_lo
	v_and_b32_e32 v26, 0x7f800000, v13
	s_delay_alu instid0(VALU_DEP_1)
	v_cmpx_ne_u32_e32 0x7f800000, v26
	s_cbranch_execz .LBB6_2585
; %bb.2578:                             ;   in Loop: Header=BB6_2479 Depth=3
	v_mov_b32_e32 v96, 0
	s_mov_b32 s35, exec_lo
	v_cmpx_ne_u32_e32 0, v13
	s_cbranch_execz .LBB6_2584
; %bb.2579:                             ;   in Loop: Header=BB6_2479 Depth=3
	v_bfe_u32 v26, v13, 23, 8
	s_delay_alu instid0(VALU_DEP_1) | instskip(SKIP_1) | instid1(VALU_DEP_2)
	v_sub_nc_u32_e32 v36, 0x70, v26
	v_cmp_gt_u32_e32 vcc_lo, 0x71, v26
	v_dual_cndmask_b32 v36, 0, v36 :: v_dual_and_b32 v27, 0x7fffff, v13
	s_delay_alu instid0(VALU_DEP_1) | instskip(SKIP_2) | instid1(VALU_DEP_4)
	v_or_b32_e32 v37, 0x800000, v27
	v_cmp_eq_u32_e32 vcc_lo, 0, v26
	v_add_nc_u32_e32 v26, 0xffffff91, v26
	v_cndmask_b32_e64 v36, v36, 0x6f, vcc_lo
	s_delay_alu instid0(VALU_DEP_4) | instskip(NEXT) | instid1(VALU_DEP_3)
	v_cndmask_b32_e32 v27, v37, v27, vcc_lo
	v_cndmask_b32_e64 v26, v26, 0xffffff92, vcc_lo
	s_delay_alu instid0(VALU_DEP_3) | instskip(NEXT) | instid1(VALU_DEP_3)
	v_lshl_add_u32 v37, 0x200000, v36, -1
	v_lshrrev_b32_e32 v38, v36, v27
	v_lshlrev_b32_e64 v48, v36, 0x100000
	s_delay_alu instid0(VALU_DEP_4) | instskip(NEXT) | instid1(VALU_DEP_4)
	v_add_nc_u32_e32 v36, v36, v26
	v_and_b32_e32 v27, v37, v27
	s_delay_alu instid0(VALU_DEP_4) | instskip(NEXT) | instid1(VALU_DEP_2)
	v_bfe_u32 v39, v38, 21, 1
	v_cmp_eq_u32_e64 s13, v27, v48
	s_delay_alu instid0(VALU_DEP_2) | instskip(NEXT) | instid1(VALU_DEP_1)
	v_add_nc_u32_e32 v37, -1, v39
	v_cndmask_b32_e64 v27, 0, v37, s13
	v_lshrrev_b32_e32 v37, 23, v38
	s_mov_b32 s13, exec_lo
	s_delay_alu instid0(VALU_DEP_2) | instskip(NEXT) | instid1(VALU_DEP_2)
	v_add_nc_u32_e32 v27, v27, v38
	v_xor_b32_e32 v37, 1, v37
	s_delay_alu instid0(VALU_DEP_2) | instskip(NEXT) | instid1(VALU_DEP_1)
	v_and_b32_e32 v26, 0x1fffff, v27
	v_add_nc_u32_e32 v27, v26, v38
                                        ; implicit-def: $vgpr26
	s_delay_alu instid0(VALU_DEP_3)
	v_cmpx_ne_u32_e64 v36, v37
	s_xor_b32 s13, exec_lo, s13
; %bb.2580:                             ;   in Loop: Header=BB6_2479 Depth=3
	s_delay_alu instid0(VALU_DEP_2) | instskip(SKIP_2) | instid1(VALU_DEP_2)
	v_cmp_lt_u32_e32 vcc_lo, 0xffffff, v27
	v_sub_nc_u32_e32 v26, v36, v37
	v_cndmask_b32_e64 v36, 0, 1, vcc_lo
	v_add_co_ci_u32_e32 v26, vcc_lo, 0, v26, vcc_lo
	s_delay_alu instid0(VALU_DEP_2)
	v_lshrrev_b32_e32 v27, v36, v27
; %bb.2581:                             ;   in Loop: Header=BB6_2479 Depth=3
	s_and_not1_saveexec_b32 s13, s13
; %bb.2582:                             ;   in Loop: Header=BB6_2479 Depth=3
	s_delay_alu instid0(VALU_DEP_1)
	v_bfe_u32 v26, v27, 23, 1
; %bb.2583:                             ;   in Loop: Header=BB6_2479 Depth=3
	s_or_b32 exec_lo, exec_lo, s13
	v_lshrrev_b32_e32 v27, 21, v27
	s_delay_alu instid0(VALU_DEP_2) | instskip(SKIP_2) | instid1(VALU_DEP_2)
	v_cmp_gt_i32_e32 vcc_lo, 32, v26
	v_min_i32_e32 v36, 31, v26
	v_lshrrev_b32_e32 v13, 24, v13
	v_dual_cndmask_b32 v27, 3, v27 :: v_dual_lshlrev_b32 v36, 2, v36
	s_delay_alu instid0(VALU_DEP_2) | instskip(NEXT) | instid1(VALU_DEP_2)
	v_and_b32_e32 v13, 0x80, v13
	v_or_b32_e32 v26, v26, v27
	s_delay_alu instid0(VALU_DEP_1) | instskip(SKIP_1) | instid1(VALU_DEP_1)
	v_cmp_ne_u32_e32 vcc_lo, 0, v26
	v_and_b32_e32 v37, 3, v27
	v_or3_b32 v13, v36, v13, v37
	s_delay_alu instid0(VALU_DEP_1)
	v_cndmask_b32_e32 v96, 0, v13, vcc_lo
.LBB6_2584:                             ;   in Loop: Header=BB6_2479 Depth=3
	s_or_b32 exec_lo, exec_lo, s35
.LBB6_2585:                             ;   in Loop: Header=BB6_2479 Depth=3
	s_delay_alu instid0(SALU_CYCLE_1)
	s_or_b32 exec_lo, exec_lo, s34
	flat_load_u8 v13, v[16:17] offset:256 slc dlc
	s_mov_b32 s13, 0
	s_mov_b32 s35, exec_lo
                                        ; implicit-def: $sgpr34
	s_waitcnt vmcnt(0) lgkmcnt(0)
	v_cmpx_lt_i16_e32 0x7f, v13
	s_xor_b32 s35, exec_lo, s35
	s_cbranch_execnz .LBB6_2906
; %bb.2586:                             ;   in Loop: Header=BB6_2479 Depth=3
	s_or_saveexec_b32 s35, s35
	v_mov_b32_e32 v26, s34
	s_xor_b32 exec_lo, exec_lo, s35
	s_cbranch_execnz .LBB6_2909
.LBB6_2587:                             ;   in Loop: Header=BB6_2479 Depth=3
	s_or_b32 exec_lo, exec_lo, s35
	s_and_saveexec_b32 s34, s13
	s_cbranch_execz .LBB6_2589
.LBB6_2588:                             ;   in Loop: Header=BB6_2479 Depth=3
	v_and_b32_e32 v26, 0xffff, v13
	v_lshlrev_b32_e32 v13, 24, v13
	s_delay_alu instid0(VALU_DEP_2) | instskip(NEXT) | instid1(VALU_DEP_2)
	v_and_b32_e32 v27, 3, v26
	v_and_b32_e32 v13, 0x80000000, v13
	s_delay_alu instid0(VALU_DEP_2) | instskip(NEXT) | instid1(VALU_DEP_1)
	v_clz_i32_u32_e32 v36, v27
	v_min_u32_e32 v36, 32, v36
	s_delay_alu instid0(VALU_DEP_1) | instskip(SKIP_1) | instid1(VALU_DEP_2)
	v_subrev_nc_u32_e32 v37, 29, v36
	v_sub_nc_u32_e32 v36, 30, v36
	v_lshlrev_b32_e32 v37, v37, v26
	v_bfe_u32 v26, v26, 2, 5
	s_delay_alu instid0(VALU_DEP_2) | instskip(NEXT) | instid1(VALU_DEP_2)
	v_and_b32_e32 v37, 3, v37
	v_cmp_eq_u32_e32 vcc_lo, 0, v26
	s_delay_alu instid0(VALU_DEP_2) | instskip(NEXT) | instid1(VALU_DEP_1)
	v_dual_cndmask_b32 v26, v26, v36 :: v_dual_cndmask_b32 v27, v27, v37
	v_lshl_add_u32 v26, v26, 23, 0x37800000
	s_delay_alu instid0(VALU_DEP_2) | instskip(NEXT) | instid1(VALU_DEP_1)
	v_lshlrev_b32_e32 v27, 21, v27
	v_or3_b32 v26, v13, v26, v27
.LBB6_2589:                             ;   in Loop: Header=BB6_2479 Depth=3
	s_or_b32 exec_lo, exec_lo, s34
	s_delay_alu instid0(VALU_DEP_1) | instskip(SKIP_2) | instid1(VALU_DEP_2)
	v_mul_f32_e32 v13, v70, v26
	v_mov_b32_e32 v103, 0x80
	s_mov_b32 s34, exec_lo
	v_and_b32_e32 v26, 0x7f800000, v13
	s_delay_alu instid0(VALU_DEP_1)
	v_cmpx_ne_u32_e32 0x7f800000, v26
	s_cbranch_execz .LBB6_2597
; %bb.2590:                             ;   in Loop: Header=BB6_2479 Depth=3
	v_mov_b32_e32 v103, 0
	s_mov_b32 s35, exec_lo
	v_cmpx_ne_u32_e32 0, v13
	s_cbranch_execz .LBB6_2596
; %bb.2591:                             ;   in Loop: Header=BB6_2479 Depth=3
	v_bfe_u32 v26, v13, 23, 8
	s_delay_alu instid0(VALU_DEP_1) | instskip(SKIP_1) | instid1(VALU_DEP_2)
	v_sub_nc_u32_e32 v36, 0x70, v26
	v_cmp_gt_u32_e32 vcc_lo, 0x71, v26
	v_dual_cndmask_b32 v36, 0, v36 :: v_dual_and_b32 v27, 0x7fffff, v13
	s_delay_alu instid0(VALU_DEP_1) | instskip(SKIP_2) | instid1(VALU_DEP_4)
	v_or_b32_e32 v37, 0x800000, v27
	v_cmp_eq_u32_e32 vcc_lo, 0, v26
	v_add_nc_u32_e32 v26, 0xffffff91, v26
	v_cndmask_b32_e64 v36, v36, 0x6f, vcc_lo
	s_delay_alu instid0(VALU_DEP_4) | instskip(NEXT) | instid1(VALU_DEP_3)
	v_cndmask_b32_e32 v27, v37, v27, vcc_lo
	v_cndmask_b32_e64 v26, v26, 0xffffff92, vcc_lo
	s_delay_alu instid0(VALU_DEP_3) | instskip(NEXT) | instid1(VALU_DEP_3)
	v_lshl_add_u32 v37, 0x200000, v36, -1
	v_lshrrev_b32_e32 v38, v36, v27
	v_lshlrev_b32_e64 v48, v36, 0x100000
	s_delay_alu instid0(VALU_DEP_4) | instskip(NEXT) | instid1(VALU_DEP_4)
	v_add_nc_u32_e32 v36, v36, v26
	v_and_b32_e32 v27, v37, v27
	s_delay_alu instid0(VALU_DEP_4) | instskip(NEXT) | instid1(VALU_DEP_2)
	v_bfe_u32 v39, v38, 21, 1
	v_cmp_eq_u32_e64 s13, v27, v48
	s_delay_alu instid0(VALU_DEP_2) | instskip(NEXT) | instid1(VALU_DEP_1)
	v_add_nc_u32_e32 v37, -1, v39
	v_cndmask_b32_e64 v27, 0, v37, s13
	v_lshrrev_b32_e32 v37, 23, v38
	s_mov_b32 s13, exec_lo
	s_delay_alu instid0(VALU_DEP_2) | instskip(NEXT) | instid1(VALU_DEP_2)
	v_add_nc_u32_e32 v27, v27, v38
	v_xor_b32_e32 v37, 1, v37
	s_delay_alu instid0(VALU_DEP_2) | instskip(NEXT) | instid1(VALU_DEP_1)
	v_and_b32_e32 v26, 0x1fffff, v27
	v_add_nc_u32_e32 v27, v26, v38
                                        ; implicit-def: $vgpr26
	s_delay_alu instid0(VALU_DEP_3)
	v_cmpx_ne_u32_e64 v36, v37
	s_xor_b32 s13, exec_lo, s13
; %bb.2592:                             ;   in Loop: Header=BB6_2479 Depth=3
	s_delay_alu instid0(VALU_DEP_2) | instskip(SKIP_2) | instid1(VALU_DEP_2)
	v_cmp_lt_u32_e32 vcc_lo, 0xffffff, v27
	v_sub_nc_u32_e32 v26, v36, v37
	v_cndmask_b32_e64 v36, 0, 1, vcc_lo
	v_add_co_ci_u32_e32 v26, vcc_lo, 0, v26, vcc_lo
	s_delay_alu instid0(VALU_DEP_2)
	v_lshrrev_b32_e32 v27, v36, v27
; %bb.2593:                             ;   in Loop: Header=BB6_2479 Depth=3
	s_and_not1_saveexec_b32 s13, s13
; %bb.2594:                             ;   in Loop: Header=BB6_2479 Depth=3
	s_delay_alu instid0(VALU_DEP_1)
	v_bfe_u32 v26, v27, 23, 1
; %bb.2595:                             ;   in Loop: Header=BB6_2479 Depth=3
	s_or_b32 exec_lo, exec_lo, s13
	v_lshrrev_b32_e32 v27, 21, v27
	s_delay_alu instid0(VALU_DEP_2) | instskip(SKIP_2) | instid1(VALU_DEP_4)
	v_cmp_gt_i32_e32 vcc_lo, 32, v26
	v_lshrrev_b32_e32 v13, 24, v13
	v_min_i32_e32 v36, 31, v26
	v_cndmask_b32_e32 v27, 3, v27, vcc_lo
	s_delay_alu instid0(VALU_DEP_3) | instskip(NEXT) | instid1(VALU_DEP_3)
	v_and_b32_e32 v13, 0x80, v13
	v_lshlrev_b32_e32 v36, 2, v36
	s_delay_alu instid0(VALU_DEP_3) | instskip(SKIP_1) | instid1(VALU_DEP_2)
	v_and_b32_e32 v37, 3, v27
	v_or_b32_e32 v26, v26, v27
	v_or3_b32 v13, v36, v13, v37
	s_delay_alu instid0(VALU_DEP_2) | instskip(NEXT) | instid1(VALU_DEP_2)
	v_cmp_ne_u32_e32 vcc_lo, 0, v26
	v_cndmask_b32_e32 v103, 0, v13, vcc_lo
.LBB6_2596:                             ;   in Loop: Header=BB6_2479 Depth=3
	s_or_b32 exec_lo, exec_lo, s35
.LBB6_2597:                             ;   in Loop: Header=BB6_2479 Depth=3
	s_delay_alu instid0(SALU_CYCLE_1)
	s_or_b32 exec_lo, exec_lo, s34
	flat_load_u8 v13, v[16:17] offset:288 slc dlc
	s_mov_b32 s13, 0
	s_mov_b32 s35, exec_lo
                                        ; implicit-def: $sgpr34
	s_waitcnt vmcnt(0) lgkmcnt(0)
	v_cmpx_lt_i16_e32 0x7f, v13
	s_xor_b32 s35, exec_lo, s35
	s_cbranch_execnz .LBB6_2910
; %bb.2598:                             ;   in Loop: Header=BB6_2479 Depth=3
	s_or_saveexec_b32 s35, s35
	v_mov_b32_e32 v26, s34
	s_xor_b32 exec_lo, exec_lo, s35
	s_cbranch_execnz .LBB6_2913
.LBB6_2599:                             ;   in Loop: Header=BB6_2479 Depth=3
	s_or_b32 exec_lo, exec_lo, s35
	s_and_saveexec_b32 s34, s13
	s_cbranch_execz .LBB6_2601
.LBB6_2600:                             ;   in Loop: Header=BB6_2479 Depth=3
	v_and_b32_e32 v26, 0xffff, v13
	v_lshlrev_b32_e32 v13, 24, v13
	s_delay_alu instid0(VALU_DEP_2) | instskip(NEXT) | instid1(VALU_DEP_2)
	v_and_b32_e32 v27, 3, v26
	v_and_b32_e32 v13, 0x80000000, v13
	s_delay_alu instid0(VALU_DEP_2) | instskip(NEXT) | instid1(VALU_DEP_1)
	v_clz_i32_u32_e32 v36, v27
	v_min_u32_e32 v36, 32, v36
	s_delay_alu instid0(VALU_DEP_1) | instskip(SKIP_1) | instid1(VALU_DEP_2)
	v_subrev_nc_u32_e32 v37, 29, v36
	v_sub_nc_u32_e32 v36, 30, v36
	v_lshlrev_b32_e32 v37, v37, v26
	v_bfe_u32 v26, v26, 2, 5
	s_delay_alu instid0(VALU_DEP_2) | instskip(NEXT) | instid1(VALU_DEP_2)
	v_and_b32_e32 v37, 3, v37
	v_cmp_eq_u32_e32 vcc_lo, 0, v26
	s_delay_alu instid0(VALU_DEP_2) | instskip(NEXT) | instid1(VALU_DEP_1)
	v_dual_cndmask_b32 v26, v26, v36 :: v_dual_cndmask_b32 v27, v27, v37
	v_lshl_add_u32 v26, v26, 23, 0x37800000
	s_delay_alu instid0(VALU_DEP_2) | instskip(NEXT) | instid1(VALU_DEP_1)
	v_lshlrev_b32_e32 v27, 21, v27
	v_or3_b32 v26, v13, v26, v27
.LBB6_2601:                             ;   in Loop: Header=BB6_2479 Depth=3
	s_or_b32 exec_lo, exec_lo, s34
	s_delay_alu instid0(VALU_DEP_1) | instskip(SKIP_2) | instid1(VALU_DEP_2)
	v_mul_f32_e32 v13, v70, v26
	v_mov_b32_e32 v133, 0x80
	s_mov_b32 s34, exec_lo
	v_and_b32_e32 v26, 0x7f800000, v13
	s_delay_alu instid0(VALU_DEP_1)
	v_cmpx_ne_u32_e32 0x7f800000, v26
	s_cbranch_execz .LBB6_2609
; %bb.2602:                             ;   in Loop: Header=BB6_2479 Depth=3
	v_mov_b32_e32 v133, 0
	s_mov_b32 s35, exec_lo
	v_cmpx_ne_u32_e32 0, v13
	s_cbranch_execz .LBB6_2608
; %bb.2603:                             ;   in Loop: Header=BB6_2479 Depth=3
	v_bfe_u32 v26, v13, 23, 8
	s_delay_alu instid0(VALU_DEP_1) | instskip(SKIP_1) | instid1(VALU_DEP_2)
	v_sub_nc_u32_e32 v36, 0x70, v26
	v_cmp_gt_u32_e32 vcc_lo, 0x71, v26
	v_dual_cndmask_b32 v36, 0, v36 :: v_dual_and_b32 v27, 0x7fffff, v13
	s_delay_alu instid0(VALU_DEP_1) | instskip(SKIP_2) | instid1(VALU_DEP_4)
	v_or_b32_e32 v37, 0x800000, v27
	v_cmp_eq_u32_e32 vcc_lo, 0, v26
	v_add_nc_u32_e32 v26, 0xffffff91, v26
	v_cndmask_b32_e64 v36, v36, 0x6f, vcc_lo
	s_delay_alu instid0(VALU_DEP_4) | instskip(NEXT) | instid1(VALU_DEP_3)
	v_cndmask_b32_e32 v27, v37, v27, vcc_lo
	v_cndmask_b32_e64 v26, v26, 0xffffff92, vcc_lo
	s_delay_alu instid0(VALU_DEP_3) | instskip(NEXT) | instid1(VALU_DEP_3)
	v_lshl_add_u32 v37, 0x200000, v36, -1
	v_lshrrev_b32_e32 v38, v36, v27
	v_lshlrev_b32_e64 v48, v36, 0x100000
	s_delay_alu instid0(VALU_DEP_4) | instskip(NEXT) | instid1(VALU_DEP_4)
	v_add_nc_u32_e32 v36, v36, v26
	v_and_b32_e32 v27, v37, v27
	s_delay_alu instid0(VALU_DEP_4) | instskip(NEXT) | instid1(VALU_DEP_2)
	v_bfe_u32 v39, v38, 21, 1
	v_cmp_eq_u32_e64 s13, v27, v48
	s_delay_alu instid0(VALU_DEP_2) | instskip(NEXT) | instid1(VALU_DEP_1)
	v_add_nc_u32_e32 v37, -1, v39
	v_cndmask_b32_e64 v27, 0, v37, s13
	v_lshrrev_b32_e32 v37, 23, v38
	s_mov_b32 s13, exec_lo
	s_delay_alu instid0(VALU_DEP_2) | instskip(NEXT) | instid1(VALU_DEP_2)
	v_add_nc_u32_e32 v27, v27, v38
	v_xor_b32_e32 v37, 1, v37
	s_delay_alu instid0(VALU_DEP_2) | instskip(NEXT) | instid1(VALU_DEP_1)
	v_and_b32_e32 v26, 0x1fffff, v27
	v_add_nc_u32_e32 v27, v26, v38
                                        ; implicit-def: $vgpr26
	s_delay_alu instid0(VALU_DEP_3)
	v_cmpx_ne_u32_e64 v36, v37
	s_xor_b32 s13, exec_lo, s13
; %bb.2604:                             ;   in Loop: Header=BB6_2479 Depth=3
	s_delay_alu instid0(VALU_DEP_2) | instskip(SKIP_2) | instid1(VALU_DEP_2)
	v_cmp_lt_u32_e32 vcc_lo, 0xffffff, v27
	v_sub_nc_u32_e32 v26, v36, v37
	v_cndmask_b32_e64 v36, 0, 1, vcc_lo
	v_add_co_ci_u32_e32 v26, vcc_lo, 0, v26, vcc_lo
	s_delay_alu instid0(VALU_DEP_2)
	v_lshrrev_b32_e32 v27, v36, v27
; %bb.2605:                             ;   in Loop: Header=BB6_2479 Depth=3
	s_and_not1_saveexec_b32 s13, s13
; %bb.2606:                             ;   in Loop: Header=BB6_2479 Depth=3
	s_delay_alu instid0(VALU_DEP_1)
	v_bfe_u32 v26, v27, 23, 1
; %bb.2607:                             ;   in Loop: Header=BB6_2479 Depth=3
	s_or_b32 exec_lo, exec_lo, s13
	v_lshrrev_b32_e32 v27, 21, v27
	s_delay_alu instid0(VALU_DEP_2) | instskip(SKIP_2) | instid1(VALU_DEP_4)
	v_cmp_gt_i32_e32 vcc_lo, 32, v26
	v_lshrrev_b32_e32 v13, 24, v13
	v_min_i32_e32 v36, 31, v26
	v_cndmask_b32_e32 v27, 3, v27, vcc_lo
	s_delay_alu instid0(VALU_DEP_3) | instskip(NEXT) | instid1(VALU_DEP_3)
	v_and_b32_e32 v13, 0x80, v13
	v_lshlrev_b32_e32 v36, 2, v36
	s_delay_alu instid0(VALU_DEP_3) | instskip(SKIP_1) | instid1(VALU_DEP_2)
	v_and_b32_e32 v37, 3, v27
	v_or_b32_e32 v26, v26, v27
	v_or3_b32 v13, v36, v13, v37
	s_delay_alu instid0(VALU_DEP_2) | instskip(NEXT) | instid1(VALU_DEP_2)
	v_cmp_ne_u32_e32 vcc_lo, 0, v26
	v_cndmask_b32_e32 v133, 0, v13, vcc_lo
.LBB6_2608:                             ;   in Loop: Header=BB6_2479 Depth=3
	s_or_b32 exec_lo, exec_lo, s35
.LBB6_2609:                             ;   in Loop: Header=BB6_2479 Depth=3
	s_delay_alu instid0(SALU_CYCLE_1)
	s_or_b32 exec_lo, exec_lo, s34
	flat_load_u8 v13, v[16:17] offset:320 slc dlc
	s_mov_b32 s13, 0
	s_mov_b32 s35, exec_lo
                                        ; implicit-def: $sgpr34
	s_waitcnt vmcnt(0) lgkmcnt(0)
	v_cmpx_lt_i16_e32 0x7f, v13
	s_xor_b32 s35, exec_lo, s35
	s_cbranch_execnz .LBB6_2914
; %bb.2610:                             ;   in Loop: Header=BB6_2479 Depth=3
	s_or_saveexec_b32 s35, s35
	v_mov_b32_e32 v26, s34
	s_xor_b32 exec_lo, exec_lo, s35
	s_cbranch_execnz .LBB6_2917
.LBB6_2611:                             ;   in Loop: Header=BB6_2479 Depth=3
	s_or_b32 exec_lo, exec_lo, s35
	s_and_saveexec_b32 s34, s13
	s_cbranch_execz .LBB6_2613
.LBB6_2612:                             ;   in Loop: Header=BB6_2479 Depth=3
	v_and_b32_e32 v26, 0xffff, v13
	v_lshlrev_b32_e32 v13, 24, v13
	s_delay_alu instid0(VALU_DEP_2) | instskip(NEXT) | instid1(VALU_DEP_2)
	v_and_b32_e32 v27, 3, v26
	v_and_b32_e32 v13, 0x80000000, v13
	s_delay_alu instid0(VALU_DEP_2) | instskip(NEXT) | instid1(VALU_DEP_1)
	v_clz_i32_u32_e32 v36, v27
	v_min_u32_e32 v36, 32, v36
	s_delay_alu instid0(VALU_DEP_1) | instskip(SKIP_1) | instid1(VALU_DEP_2)
	v_subrev_nc_u32_e32 v37, 29, v36
	v_sub_nc_u32_e32 v36, 30, v36
	v_lshlrev_b32_e32 v37, v37, v26
	v_bfe_u32 v26, v26, 2, 5
	s_delay_alu instid0(VALU_DEP_2) | instskip(NEXT) | instid1(VALU_DEP_2)
	v_and_b32_e32 v37, 3, v37
	v_cmp_eq_u32_e32 vcc_lo, 0, v26
	s_delay_alu instid0(VALU_DEP_2) | instskip(NEXT) | instid1(VALU_DEP_1)
	v_dual_cndmask_b32 v26, v26, v36 :: v_dual_cndmask_b32 v27, v27, v37
	v_lshl_add_u32 v26, v26, 23, 0x37800000
	s_delay_alu instid0(VALU_DEP_2) | instskip(NEXT) | instid1(VALU_DEP_1)
	v_lshlrev_b32_e32 v27, 21, v27
	v_or3_b32 v26, v13, v26, v27
.LBB6_2613:                             ;   in Loop: Header=BB6_2479 Depth=3
	s_or_b32 exec_lo, exec_lo, s34
	s_delay_alu instid0(VALU_DEP_1) | instskip(SKIP_1) | instid1(VALU_DEP_1)
	v_dual_mul_f32 v13, v70, v26 :: v_dual_mov_b32 v144, 0x80
	s_mov_b32 s34, exec_lo
	v_and_b32_e32 v26, 0x7f800000, v13
	s_delay_alu instid0(VALU_DEP_1)
	v_cmpx_ne_u32_e32 0x7f800000, v26
	s_cbranch_execz .LBB6_2621
; %bb.2614:                             ;   in Loop: Header=BB6_2479 Depth=3
	v_mov_b32_e32 v144, 0
	s_mov_b32 s35, exec_lo
	v_cmpx_ne_u32_e32 0, v13
	s_cbranch_execz .LBB6_2620
; %bb.2615:                             ;   in Loop: Header=BB6_2479 Depth=3
	v_bfe_u32 v26, v13, 23, 8
	s_delay_alu instid0(VALU_DEP_1) | instskip(SKIP_1) | instid1(VALU_DEP_2)
	v_sub_nc_u32_e32 v36, 0x70, v26
	v_cmp_gt_u32_e32 vcc_lo, 0x71, v26
	v_dual_cndmask_b32 v36, 0, v36 :: v_dual_and_b32 v27, 0x7fffff, v13
	s_delay_alu instid0(VALU_DEP_1) | instskip(SKIP_2) | instid1(VALU_DEP_4)
	v_or_b32_e32 v37, 0x800000, v27
	v_cmp_eq_u32_e32 vcc_lo, 0, v26
	v_add_nc_u32_e32 v26, 0xffffff91, v26
	v_cndmask_b32_e64 v36, v36, 0x6f, vcc_lo
	s_delay_alu instid0(VALU_DEP_4) | instskip(NEXT) | instid1(VALU_DEP_3)
	v_cndmask_b32_e32 v27, v37, v27, vcc_lo
	v_cndmask_b32_e64 v26, v26, 0xffffff92, vcc_lo
	s_delay_alu instid0(VALU_DEP_3) | instskip(NEXT) | instid1(VALU_DEP_3)
	v_lshl_add_u32 v37, 0x200000, v36, -1
	v_lshrrev_b32_e32 v38, v36, v27
	v_lshlrev_b32_e64 v48, v36, 0x100000
	s_delay_alu instid0(VALU_DEP_4) | instskip(NEXT) | instid1(VALU_DEP_4)
	v_add_nc_u32_e32 v36, v36, v26
	v_and_b32_e32 v27, v37, v27
	s_delay_alu instid0(VALU_DEP_4) | instskip(NEXT) | instid1(VALU_DEP_2)
	v_bfe_u32 v39, v38, 21, 1
	v_cmp_eq_u32_e64 s13, v27, v48
	s_delay_alu instid0(VALU_DEP_2) | instskip(NEXT) | instid1(VALU_DEP_1)
	v_add_nc_u32_e32 v37, -1, v39
	v_cndmask_b32_e64 v27, 0, v37, s13
	v_lshrrev_b32_e32 v37, 23, v38
	s_mov_b32 s13, exec_lo
	s_delay_alu instid0(VALU_DEP_2) | instskip(NEXT) | instid1(VALU_DEP_2)
	v_add_nc_u32_e32 v27, v27, v38
	v_xor_b32_e32 v37, 1, v37
	s_delay_alu instid0(VALU_DEP_2) | instskip(NEXT) | instid1(VALU_DEP_1)
	v_and_b32_e32 v26, 0x1fffff, v27
	v_add_nc_u32_e32 v27, v26, v38
                                        ; implicit-def: $vgpr26
	s_delay_alu instid0(VALU_DEP_3)
	v_cmpx_ne_u32_e64 v36, v37
	s_xor_b32 s13, exec_lo, s13
; %bb.2616:                             ;   in Loop: Header=BB6_2479 Depth=3
	s_delay_alu instid0(VALU_DEP_2) | instskip(SKIP_2) | instid1(VALU_DEP_2)
	v_cmp_lt_u32_e32 vcc_lo, 0xffffff, v27
	v_sub_nc_u32_e32 v26, v36, v37
	v_cndmask_b32_e64 v36, 0, 1, vcc_lo
	v_add_co_ci_u32_e32 v26, vcc_lo, 0, v26, vcc_lo
	s_delay_alu instid0(VALU_DEP_2)
	v_lshrrev_b32_e32 v27, v36, v27
; %bb.2617:                             ;   in Loop: Header=BB6_2479 Depth=3
	s_and_not1_saveexec_b32 s13, s13
; %bb.2618:                             ;   in Loop: Header=BB6_2479 Depth=3
	s_delay_alu instid0(VALU_DEP_1)
	v_bfe_u32 v26, v27, 23, 1
; %bb.2619:                             ;   in Loop: Header=BB6_2479 Depth=3
	s_or_b32 exec_lo, exec_lo, s13
	v_lshrrev_b32_e32 v27, 21, v27
	s_delay_alu instid0(VALU_DEP_2) | instskip(SKIP_2) | instid1(VALU_DEP_2)
	v_cmp_gt_i32_e32 vcc_lo, 32, v26
	v_min_i32_e32 v36, 31, v26
	v_lshrrev_b32_e32 v13, 24, v13
	v_dual_cndmask_b32 v27, 3, v27 :: v_dual_lshlrev_b32 v36, 2, v36
	s_delay_alu instid0(VALU_DEP_2) | instskip(NEXT) | instid1(VALU_DEP_2)
	v_and_b32_e32 v13, 0x80, v13
	v_or_b32_e32 v26, v26, v27
	s_delay_alu instid0(VALU_DEP_1) | instskip(SKIP_1) | instid1(VALU_DEP_1)
	v_cmp_ne_u32_e32 vcc_lo, 0, v26
	v_and_b32_e32 v37, 3, v27
	v_or3_b32 v13, v36, v13, v37
	s_delay_alu instid0(VALU_DEP_1)
	v_cndmask_b32_e32 v144, 0, v13, vcc_lo
.LBB6_2620:                             ;   in Loop: Header=BB6_2479 Depth=3
	s_or_b32 exec_lo, exec_lo, s35
.LBB6_2621:                             ;   in Loop: Header=BB6_2479 Depth=3
	s_delay_alu instid0(SALU_CYCLE_1)
	s_or_b32 exec_lo, exec_lo, s34
	flat_load_u8 v13, v[16:17] offset:352 slc dlc
	s_mov_b32 s13, 0
	s_mov_b32 s35, exec_lo
                                        ; implicit-def: $sgpr34
	s_waitcnt vmcnt(0) lgkmcnt(0)
	v_cmpx_lt_i16_e32 0x7f, v13
	s_xor_b32 s35, exec_lo, s35
	s_cbranch_execnz .LBB6_2918
; %bb.2622:                             ;   in Loop: Header=BB6_2479 Depth=3
	s_or_saveexec_b32 s35, s35
	v_mov_b32_e32 v26, s34
	s_xor_b32 exec_lo, exec_lo, s35
	s_cbranch_execnz .LBB6_2921
.LBB6_2623:                             ;   in Loop: Header=BB6_2479 Depth=3
	s_or_b32 exec_lo, exec_lo, s35
	s_and_saveexec_b32 s34, s13
	s_cbranch_execz .LBB6_2625
.LBB6_2624:                             ;   in Loop: Header=BB6_2479 Depth=3
	v_and_b32_e32 v26, 0xffff, v13
	v_lshlrev_b32_e32 v13, 24, v13
	s_delay_alu instid0(VALU_DEP_2) | instskip(NEXT) | instid1(VALU_DEP_2)
	v_and_b32_e32 v27, 3, v26
	v_and_b32_e32 v13, 0x80000000, v13
	s_delay_alu instid0(VALU_DEP_2) | instskip(NEXT) | instid1(VALU_DEP_1)
	v_clz_i32_u32_e32 v36, v27
	v_min_u32_e32 v36, 32, v36
	s_delay_alu instid0(VALU_DEP_1) | instskip(SKIP_1) | instid1(VALU_DEP_2)
	v_subrev_nc_u32_e32 v37, 29, v36
	v_sub_nc_u32_e32 v36, 30, v36
	v_lshlrev_b32_e32 v37, v37, v26
	v_bfe_u32 v26, v26, 2, 5
	s_delay_alu instid0(VALU_DEP_2) | instskip(NEXT) | instid1(VALU_DEP_2)
	v_and_b32_e32 v37, 3, v37
	v_cmp_eq_u32_e32 vcc_lo, 0, v26
	s_delay_alu instid0(VALU_DEP_2) | instskip(NEXT) | instid1(VALU_DEP_1)
	v_dual_cndmask_b32 v26, v26, v36 :: v_dual_cndmask_b32 v27, v27, v37
	v_lshl_add_u32 v26, v26, 23, 0x37800000
	s_delay_alu instid0(VALU_DEP_2) | instskip(NEXT) | instid1(VALU_DEP_1)
	v_lshlrev_b32_e32 v27, 21, v27
	v_or3_b32 v26, v13, v26, v27
.LBB6_2625:                             ;   in Loop: Header=BB6_2479 Depth=3
	s_or_b32 exec_lo, exec_lo, s34
	s_delay_alu instid0(VALU_DEP_1) | instskip(SKIP_2) | instid1(VALU_DEP_2)
	v_mul_f32_e32 v13, v70, v26
	v_mov_b32_e32 v147, 0x80
	s_mov_b32 s34, exec_lo
	v_and_b32_e32 v26, 0x7f800000, v13
	s_delay_alu instid0(VALU_DEP_1)
	v_cmpx_ne_u32_e32 0x7f800000, v26
	s_cbranch_execz .LBB6_2633
; %bb.2626:                             ;   in Loop: Header=BB6_2479 Depth=3
	v_mov_b32_e32 v147, 0
	s_mov_b32 s35, exec_lo
	v_cmpx_ne_u32_e32 0, v13
	s_cbranch_execz .LBB6_2632
; %bb.2627:                             ;   in Loop: Header=BB6_2479 Depth=3
	v_bfe_u32 v26, v13, 23, 8
	s_delay_alu instid0(VALU_DEP_1) | instskip(SKIP_1) | instid1(VALU_DEP_2)
	v_sub_nc_u32_e32 v36, 0x70, v26
	v_cmp_gt_u32_e32 vcc_lo, 0x71, v26
	v_dual_cndmask_b32 v36, 0, v36 :: v_dual_and_b32 v27, 0x7fffff, v13
	s_delay_alu instid0(VALU_DEP_1) | instskip(SKIP_2) | instid1(VALU_DEP_4)
	v_or_b32_e32 v37, 0x800000, v27
	v_cmp_eq_u32_e32 vcc_lo, 0, v26
	v_add_nc_u32_e32 v26, 0xffffff91, v26
	v_cndmask_b32_e64 v36, v36, 0x6f, vcc_lo
	s_delay_alu instid0(VALU_DEP_4) | instskip(NEXT) | instid1(VALU_DEP_3)
	v_cndmask_b32_e32 v27, v37, v27, vcc_lo
	v_cndmask_b32_e64 v26, v26, 0xffffff92, vcc_lo
	s_delay_alu instid0(VALU_DEP_3) | instskip(NEXT) | instid1(VALU_DEP_3)
	v_lshl_add_u32 v37, 0x200000, v36, -1
	v_lshrrev_b32_e32 v38, v36, v27
	v_lshlrev_b32_e64 v48, v36, 0x100000
	s_delay_alu instid0(VALU_DEP_4) | instskip(NEXT) | instid1(VALU_DEP_4)
	v_add_nc_u32_e32 v36, v36, v26
	v_and_b32_e32 v27, v37, v27
	s_delay_alu instid0(VALU_DEP_4) | instskip(NEXT) | instid1(VALU_DEP_2)
	v_bfe_u32 v39, v38, 21, 1
	v_cmp_eq_u32_e64 s13, v27, v48
	s_delay_alu instid0(VALU_DEP_2) | instskip(NEXT) | instid1(VALU_DEP_1)
	v_add_nc_u32_e32 v37, -1, v39
	v_cndmask_b32_e64 v27, 0, v37, s13
	v_lshrrev_b32_e32 v37, 23, v38
	s_mov_b32 s13, exec_lo
	s_delay_alu instid0(VALU_DEP_2) | instskip(NEXT) | instid1(VALU_DEP_2)
	v_add_nc_u32_e32 v27, v27, v38
	v_xor_b32_e32 v37, 1, v37
	s_delay_alu instid0(VALU_DEP_2) | instskip(NEXT) | instid1(VALU_DEP_1)
	v_and_b32_e32 v26, 0x1fffff, v27
	v_add_nc_u32_e32 v27, v26, v38
                                        ; implicit-def: $vgpr26
	s_delay_alu instid0(VALU_DEP_3)
	v_cmpx_ne_u32_e64 v36, v37
	s_xor_b32 s13, exec_lo, s13
; %bb.2628:                             ;   in Loop: Header=BB6_2479 Depth=3
	s_delay_alu instid0(VALU_DEP_2) | instskip(SKIP_2) | instid1(VALU_DEP_2)
	v_cmp_lt_u32_e32 vcc_lo, 0xffffff, v27
	v_sub_nc_u32_e32 v26, v36, v37
	v_cndmask_b32_e64 v36, 0, 1, vcc_lo
	v_add_co_ci_u32_e32 v26, vcc_lo, 0, v26, vcc_lo
	s_delay_alu instid0(VALU_DEP_2)
	v_lshrrev_b32_e32 v27, v36, v27
; %bb.2629:                             ;   in Loop: Header=BB6_2479 Depth=3
	s_and_not1_saveexec_b32 s13, s13
; %bb.2630:                             ;   in Loop: Header=BB6_2479 Depth=3
	s_delay_alu instid0(VALU_DEP_1)
	v_bfe_u32 v26, v27, 23, 1
; %bb.2631:                             ;   in Loop: Header=BB6_2479 Depth=3
	s_or_b32 exec_lo, exec_lo, s13
	v_lshrrev_b32_e32 v27, 21, v27
	s_delay_alu instid0(VALU_DEP_2) | instskip(SKIP_2) | instid1(VALU_DEP_4)
	v_cmp_gt_i32_e32 vcc_lo, 32, v26
	v_lshrrev_b32_e32 v13, 24, v13
	v_min_i32_e32 v36, 31, v26
	v_cndmask_b32_e32 v27, 3, v27, vcc_lo
	s_delay_alu instid0(VALU_DEP_3) | instskip(NEXT) | instid1(VALU_DEP_3)
	v_and_b32_e32 v13, 0x80, v13
	v_lshlrev_b32_e32 v36, 2, v36
	s_delay_alu instid0(VALU_DEP_3) | instskip(SKIP_1) | instid1(VALU_DEP_2)
	v_and_b32_e32 v37, 3, v27
	v_or_b32_e32 v26, v26, v27
	v_or3_b32 v13, v36, v13, v37
	s_delay_alu instid0(VALU_DEP_2) | instskip(NEXT) | instid1(VALU_DEP_2)
	v_cmp_ne_u32_e32 vcc_lo, 0, v26
	v_cndmask_b32_e32 v147, 0, v13, vcc_lo
.LBB6_2632:                             ;   in Loop: Header=BB6_2479 Depth=3
	s_or_b32 exec_lo, exec_lo, s35
.LBB6_2633:                             ;   in Loop: Header=BB6_2479 Depth=3
	s_delay_alu instid0(SALU_CYCLE_1)
	s_or_b32 exec_lo, exec_lo, s34
	flat_load_u8 v13, v[16:17] offset:384 slc dlc
	s_mov_b32 s13, 0
	s_mov_b32 s35, exec_lo
                                        ; implicit-def: $sgpr34
	s_waitcnt vmcnt(0) lgkmcnt(0)
	v_cmpx_lt_i16_e32 0x7f, v13
	s_xor_b32 s35, exec_lo, s35
	s_cbranch_execnz .LBB6_2922
; %bb.2634:                             ;   in Loop: Header=BB6_2479 Depth=3
	s_or_saveexec_b32 s35, s35
	v_mov_b32_e32 v26, s34
	s_xor_b32 exec_lo, exec_lo, s35
	s_cbranch_execnz .LBB6_2925
.LBB6_2635:                             ;   in Loop: Header=BB6_2479 Depth=3
	s_or_b32 exec_lo, exec_lo, s35
	s_and_saveexec_b32 s34, s13
	s_cbranch_execz .LBB6_2637
.LBB6_2636:                             ;   in Loop: Header=BB6_2479 Depth=3
	v_and_b32_e32 v26, 0xffff, v13
	v_lshlrev_b32_e32 v13, 24, v13
	s_delay_alu instid0(VALU_DEP_2) | instskip(NEXT) | instid1(VALU_DEP_2)
	v_and_b32_e32 v27, 3, v26
	v_and_b32_e32 v13, 0x80000000, v13
	s_delay_alu instid0(VALU_DEP_2) | instskip(NEXT) | instid1(VALU_DEP_1)
	v_clz_i32_u32_e32 v36, v27
	v_min_u32_e32 v36, 32, v36
	s_delay_alu instid0(VALU_DEP_1) | instskip(SKIP_1) | instid1(VALU_DEP_2)
	v_subrev_nc_u32_e32 v37, 29, v36
	v_sub_nc_u32_e32 v36, 30, v36
	v_lshlrev_b32_e32 v37, v37, v26
	v_bfe_u32 v26, v26, 2, 5
	s_delay_alu instid0(VALU_DEP_2) | instskip(NEXT) | instid1(VALU_DEP_2)
	v_and_b32_e32 v37, 3, v37
	v_cmp_eq_u32_e32 vcc_lo, 0, v26
	s_delay_alu instid0(VALU_DEP_2) | instskip(NEXT) | instid1(VALU_DEP_1)
	v_dual_cndmask_b32 v26, v26, v36 :: v_dual_cndmask_b32 v27, v27, v37
	v_lshl_add_u32 v26, v26, 23, 0x37800000
	s_delay_alu instid0(VALU_DEP_2) | instskip(NEXT) | instid1(VALU_DEP_1)
	v_lshlrev_b32_e32 v27, 21, v27
	v_or3_b32 v26, v13, v26, v27
.LBB6_2637:                             ;   in Loop: Header=BB6_2479 Depth=3
	s_or_b32 exec_lo, exec_lo, s34
	s_delay_alu instid0(VALU_DEP_1) | instskip(SKIP_1) | instid1(VALU_DEP_1)
	v_dual_mul_f32 v13, v70, v26 :: v_dual_mov_b32 v148, 0x80
	s_mov_b32 s34, exec_lo
	v_and_b32_e32 v26, 0x7f800000, v13
	s_delay_alu instid0(VALU_DEP_1)
	v_cmpx_ne_u32_e32 0x7f800000, v26
	s_cbranch_execz .LBB6_2645
; %bb.2638:                             ;   in Loop: Header=BB6_2479 Depth=3
	v_mov_b32_e32 v148, 0
	s_mov_b32 s35, exec_lo
	v_cmpx_ne_u32_e32 0, v13
	s_cbranch_execz .LBB6_2644
; %bb.2639:                             ;   in Loop: Header=BB6_2479 Depth=3
	v_bfe_u32 v26, v13, 23, 8
	s_delay_alu instid0(VALU_DEP_1) | instskip(SKIP_1) | instid1(VALU_DEP_2)
	v_sub_nc_u32_e32 v36, 0x70, v26
	v_cmp_gt_u32_e32 vcc_lo, 0x71, v26
	v_dual_cndmask_b32 v36, 0, v36 :: v_dual_and_b32 v27, 0x7fffff, v13
	s_delay_alu instid0(VALU_DEP_1) | instskip(SKIP_2) | instid1(VALU_DEP_4)
	v_or_b32_e32 v37, 0x800000, v27
	v_cmp_eq_u32_e32 vcc_lo, 0, v26
	v_add_nc_u32_e32 v26, 0xffffff91, v26
	v_cndmask_b32_e64 v36, v36, 0x6f, vcc_lo
	s_delay_alu instid0(VALU_DEP_4) | instskip(NEXT) | instid1(VALU_DEP_3)
	v_cndmask_b32_e32 v27, v37, v27, vcc_lo
	v_cndmask_b32_e64 v26, v26, 0xffffff92, vcc_lo
	s_delay_alu instid0(VALU_DEP_3) | instskip(NEXT) | instid1(VALU_DEP_3)
	v_lshl_add_u32 v37, 0x200000, v36, -1
	v_lshrrev_b32_e32 v38, v36, v27
	v_lshlrev_b32_e64 v48, v36, 0x100000
	s_delay_alu instid0(VALU_DEP_4) | instskip(NEXT) | instid1(VALU_DEP_4)
	v_add_nc_u32_e32 v36, v36, v26
	v_and_b32_e32 v27, v37, v27
	s_delay_alu instid0(VALU_DEP_4) | instskip(NEXT) | instid1(VALU_DEP_2)
	v_bfe_u32 v39, v38, 21, 1
	v_cmp_eq_u32_e64 s13, v27, v48
	s_delay_alu instid0(VALU_DEP_2) | instskip(NEXT) | instid1(VALU_DEP_1)
	v_add_nc_u32_e32 v37, -1, v39
	v_cndmask_b32_e64 v27, 0, v37, s13
	v_lshrrev_b32_e32 v37, 23, v38
	s_mov_b32 s13, exec_lo
	s_delay_alu instid0(VALU_DEP_2) | instskip(NEXT) | instid1(VALU_DEP_2)
	v_add_nc_u32_e32 v27, v27, v38
	v_xor_b32_e32 v37, 1, v37
	s_delay_alu instid0(VALU_DEP_2) | instskip(NEXT) | instid1(VALU_DEP_1)
	v_and_b32_e32 v26, 0x1fffff, v27
	v_add_nc_u32_e32 v27, v26, v38
                                        ; implicit-def: $vgpr26
	s_delay_alu instid0(VALU_DEP_3)
	v_cmpx_ne_u32_e64 v36, v37
	s_xor_b32 s13, exec_lo, s13
; %bb.2640:                             ;   in Loop: Header=BB6_2479 Depth=3
	s_delay_alu instid0(VALU_DEP_2) | instskip(SKIP_2) | instid1(VALU_DEP_2)
	v_cmp_lt_u32_e32 vcc_lo, 0xffffff, v27
	v_sub_nc_u32_e32 v26, v36, v37
	v_cndmask_b32_e64 v36, 0, 1, vcc_lo
	v_add_co_ci_u32_e32 v26, vcc_lo, 0, v26, vcc_lo
	s_delay_alu instid0(VALU_DEP_2)
	v_lshrrev_b32_e32 v27, v36, v27
; %bb.2641:                             ;   in Loop: Header=BB6_2479 Depth=3
	s_and_not1_saveexec_b32 s13, s13
; %bb.2642:                             ;   in Loop: Header=BB6_2479 Depth=3
	s_delay_alu instid0(VALU_DEP_1)
	v_bfe_u32 v26, v27, 23, 1
; %bb.2643:                             ;   in Loop: Header=BB6_2479 Depth=3
	s_or_b32 exec_lo, exec_lo, s13
	v_lshrrev_b32_e32 v27, 21, v27
	s_delay_alu instid0(VALU_DEP_2) | instskip(SKIP_2) | instid1(VALU_DEP_2)
	v_cmp_gt_i32_e32 vcc_lo, 32, v26
	v_min_i32_e32 v36, 31, v26
	v_lshrrev_b32_e32 v13, 24, v13
	v_dual_cndmask_b32 v27, 3, v27 :: v_dual_lshlrev_b32 v36, 2, v36
	s_delay_alu instid0(VALU_DEP_2) | instskip(NEXT) | instid1(VALU_DEP_2)
	v_and_b32_e32 v13, 0x80, v13
	v_or_b32_e32 v26, v26, v27
	s_delay_alu instid0(VALU_DEP_1) | instskip(SKIP_1) | instid1(VALU_DEP_1)
	v_cmp_ne_u32_e32 vcc_lo, 0, v26
	v_and_b32_e32 v37, 3, v27
	v_or3_b32 v13, v36, v13, v37
	s_delay_alu instid0(VALU_DEP_1)
	v_cndmask_b32_e32 v148, 0, v13, vcc_lo
.LBB6_2644:                             ;   in Loop: Header=BB6_2479 Depth=3
	s_or_b32 exec_lo, exec_lo, s35
.LBB6_2645:                             ;   in Loop: Header=BB6_2479 Depth=3
	s_delay_alu instid0(SALU_CYCLE_1)
	s_or_b32 exec_lo, exec_lo, s34
	flat_load_u8 v13, v[16:17] offset:416 slc dlc
	s_mov_b32 s13, 0
	s_mov_b32 s35, exec_lo
                                        ; implicit-def: $sgpr34
	s_waitcnt vmcnt(0) lgkmcnt(0)
	v_cmpx_lt_i16_e32 0x7f, v13
	s_xor_b32 s35, exec_lo, s35
	s_cbranch_execnz .LBB6_2926
; %bb.2646:                             ;   in Loop: Header=BB6_2479 Depth=3
	s_or_saveexec_b32 s35, s35
	v_mov_b32_e32 v26, s34
	s_xor_b32 exec_lo, exec_lo, s35
	s_cbranch_execnz .LBB6_2929
.LBB6_2647:                             ;   in Loop: Header=BB6_2479 Depth=3
	s_or_b32 exec_lo, exec_lo, s35
	s_and_saveexec_b32 s34, s13
	s_cbranch_execz .LBB6_2649
.LBB6_2648:                             ;   in Loop: Header=BB6_2479 Depth=3
	v_and_b32_e32 v26, 0xffff, v13
	v_lshlrev_b32_e32 v13, 24, v13
	s_delay_alu instid0(VALU_DEP_2) | instskip(NEXT) | instid1(VALU_DEP_2)
	v_and_b32_e32 v27, 3, v26
	v_and_b32_e32 v13, 0x80000000, v13
	s_delay_alu instid0(VALU_DEP_2) | instskip(NEXT) | instid1(VALU_DEP_1)
	v_clz_i32_u32_e32 v36, v27
	v_min_u32_e32 v36, 32, v36
	s_delay_alu instid0(VALU_DEP_1) | instskip(SKIP_1) | instid1(VALU_DEP_2)
	v_subrev_nc_u32_e32 v37, 29, v36
	v_sub_nc_u32_e32 v36, 30, v36
	v_lshlrev_b32_e32 v37, v37, v26
	v_bfe_u32 v26, v26, 2, 5
	s_delay_alu instid0(VALU_DEP_2) | instskip(NEXT) | instid1(VALU_DEP_2)
	v_and_b32_e32 v37, 3, v37
	v_cmp_eq_u32_e32 vcc_lo, 0, v26
	s_delay_alu instid0(VALU_DEP_2) | instskip(NEXT) | instid1(VALU_DEP_1)
	v_dual_cndmask_b32 v26, v26, v36 :: v_dual_cndmask_b32 v27, v27, v37
	v_lshl_add_u32 v26, v26, 23, 0x37800000
	s_delay_alu instid0(VALU_DEP_2) | instskip(NEXT) | instid1(VALU_DEP_1)
	v_lshlrev_b32_e32 v27, 21, v27
	v_or3_b32 v26, v13, v26, v27
.LBB6_2649:                             ;   in Loop: Header=BB6_2479 Depth=3
	s_or_b32 exec_lo, exec_lo, s34
	s_delay_alu instid0(VALU_DEP_1) | instskip(SKIP_2) | instid1(VALU_DEP_2)
	v_mul_f32_e32 v13, v70, v26
	v_mov_b32_e32 v129, 0x80
	s_mov_b32 s34, exec_lo
	v_and_b32_e32 v26, 0x7f800000, v13
	s_delay_alu instid0(VALU_DEP_1)
	v_cmpx_ne_u32_e32 0x7f800000, v26
	s_cbranch_execz .LBB6_2657
; %bb.2650:                             ;   in Loop: Header=BB6_2479 Depth=3
	v_mov_b32_e32 v129, 0
	s_mov_b32 s35, exec_lo
	v_cmpx_ne_u32_e32 0, v13
	s_cbranch_execz .LBB6_2656
; %bb.2651:                             ;   in Loop: Header=BB6_2479 Depth=3
	v_bfe_u32 v26, v13, 23, 8
	s_delay_alu instid0(VALU_DEP_1) | instskip(SKIP_1) | instid1(VALU_DEP_2)
	v_sub_nc_u32_e32 v36, 0x70, v26
	v_cmp_gt_u32_e32 vcc_lo, 0x71, v26
	v_dual_cndmask_b32 v36, 0, v36 :: v_dual_and_b32 v27, 0x7fffff, v13
	s_delay_alu instid0(VALU_DEP_1) | instskip(SKIP_2) | instid1(VALU_DEP_4)
	v_or_b32_e32 v37, 0x800000, v27
	v_cmp_eq_u32_e32 vcc_lo, 0, v26
	v_add_nc_u32_e32 v26, 0xffffff91, v26
	v_cndmask_b32_e64 v36, v36, 0x6f, vcc_lo
	s_delay_alu instid0(VALU_DEP_4) | instskip(NEXT) | instid1(VALU_DEP_3)
	v_cndmask_b32_e32 v27, v37, v27, vcc_lo
	v_cndmask_b32_e64 v26, v26, 0xffffff92, vcc_lo
	s_delay_alu instid0(VALU_DEP_3) | instskip(NEXT) | instid1(VALU_DEP_3)
	v_lshl_add_u32 v37, 0x200000, v36, -1
	v_lshrrev_b32_e32 v38, v36, v27
	v_lshlrev_b32_e64 v48, v36, 0x100000
	s_delay_alu instid0(VALU_DEP_4) | instskip(NEXT) | instid1(VALU_DEP_4)
	v_add_nc_u32_e32 v36, v36, v26
	v_and_b32_e32 v27, v37, v27
	s_delay_alu instid0(VALU_DEP_4) | instskip(NEXT) | instid1(VALU_DEP_2)
	v_bfe_u32 v39, v38, 21, 1
	v_cmp_eq_u32_e64 s13, v27, v48
	s_delay_alu instid0(VALU_DEP_2) | instskip(NEXT) | instid1(VALU_DEP_1)
	v_add_nc_u32_e32 v37, -1, v39
	v_cndmask_b32_e64 v27, 0, v37, s13
	v_lshrrev_b32_e32 v37, 23, v38
	s_mov_b32 s13, exec_lo
	s_delay_alu instid0(VALU_DEP_2) | instskip(NEXT) | instid1(VALU_DEP_2)
	v_add_nc_u32_e32 v27, v27, v38
	v_xor_b32_e32 v37, 1, v37
	s_delay_alu instid0(VALU_DEP_2) | instskip(NEXT) | instid1(VALU_DEP_1)
	v_and_b32_e32 v26, 0x1fffff, v27
	v_add_nc_u32_e32 v27, v26, v38
                                        ; implicit-def: $vgpr26
	s_delay_alu instid0(VALU_DEP_3)
	v_cmpx_ne_u32_e64 v36, v37
	s_xor_b32 s13, exec_lo, s13
; %bb.2652:                             ;   in Loop: Header=BB6_2479 Depth=3
	s_delay_alu instid0(VALU_DEP_2) | instskip(SKIP_2) | instid1(VALU_DEP_2)
	v_cmp_lt_u32_e32 vcc_lo, 0xffffff, v27
	v_sub_nc_u32_e32 v26, v36, v37
	v_cndmask_b32_e64 v36, 0, 1, vcc_lo
	v_add_co_ci_u32_e32 v26, vcc_lo, 0, v26, vcc_lo
	s_delay_alu instid0(VALU_DEP_2)
	v_lshrrev_b32_e32 v27, v36, v27
; %bb.2653:                             ;   in Loop: Header=BB6_2479 Depth=3
	s_and_not1_saveexec_b32 s13, s13
; %bb.2654:                             ;   in Loop: Header=BB6_2479 Depth=3
	s_delay_alu instid0(VALU_DEP_1)
	v_bfe_u32 v26, v27, 23, 1
; %bb.2655:                             ;   in Loop: Header=BB6_2479 Depth=3
	s_or_b32 exec_lo, exec_lo, s13
	v_lshrrev_b32_e32 v27, 21, v27
	s_delay_alu instid0(VALU_DEP_2) | instskip(SKIP_2) | instid1(VALU_DEP_4)
	v_cmp_gt_i32_e32 vcc_lo, 32, v26
	v_lshrrev_b32_e32 v13, 24, v13
	v_min_i32_e32 v36, 31, v26
	v_cndmask_b32_e32 v27, 3, v27, vcc_lo
	s_delay_alu instid0(VALU_DEP_3) | instskip(NEXT) | instid1(VALU_DEP_3)
	v_and_b32_e32 v13, 0x80, v13
	v_lshlrev_b32_e32 v36, 2, v36
	s_delay_alu instid0(VALU_DEP_3) | instskip(SKIP_1) | instid1(VALU_DEP_2)
	v_and_b32_e32 v37, 3, v27
	v_or_b32_e32 v26, v26, v27
	v_or3_b32 v13, v36, v13, v37
	s_delay_alu instid0(VALU_DEP_2) | instskip(NEXT) | instid1(VALU_DEP_2)
	v_cmp_ne_u32_e32 vcc_lo, 0, v26
	v_cndmask_b32_e32 v129, 0, v13, vcc_lo
.LBB6_2656:                             ;   in Loop: Header=BB6_2479 Depth=3
	s_or_b32 exec_lo, exec_lo, s35
.LBB6_2657:                             ;   in Loop: Header=BB6_2479 Depth=3
	s_delay_alu instid0(SALU_CYCLE_1)
	s_or_b32 exec_lo, exec_lo, s34
	flat_load_u8 v13, v[16:17] offset:448 slc dlc
	s_mov_b32 s13, 0
	s_mov_b32 s35, exec_lo
                                        ; implicit-def: $sgpr34
	s_waitcnt vmcnt(0) lgkmcnt(0)
	v_cmpx_lt_i16_e32 0x7f, v13
	s_xor_b32 s35, exec_lo, s35
	s_cbranch_execnz .LBB6_2930
; %bb.2658:                             ;   in Loop: Header=BB6_2479 Depth=3
	s_or_saveexec_b32 s35, s35
	v_mov_b32_e32 v26, s34
	s_xor_b32 exec_lo, exec_lo, s35
	s_cbranch_execnz .LBB6_2933
.LBB6_2659:                             ;   in Loop: Header=BB6_2479 Depth=3
	s_or_b32 exec_lo, exec_lo, s35
	s_and_saveexec_b32 s34, s13
	s_cbranch_execz .LBB6_2661
.LBB6_2660:                             ;   in Loop: Header=BB6_2479 Depth=3
	v_and_b32_e32 v26, 0xffff, v13
	v_lshlrev_b32_e32 v13, 24, v13
	s_delay_alu instid0(VALU_DEP_2) | instskip(NEXT) | instid1(VALU_DEP_2)
	v_and_b32_e32 v27, 3, v26
	v_and_b32_e32 v13, 0x80000000, v13
	s_delay_alu instid0(VALU_DEP_2) | instskip(NEXT) | instid1(VALU_DEP_1)
	v_clz_i32_u32_e32 v36, v27
	v_min_u32_e32 v36, 32, v36
	s_delay_alu instid0(VALU_DEP_1) | instskip(SKIP_1) | instid1(VALU_DEP_2)
	v_subrev_nc_u32_e32 v37, 29, v36
	v_sub_nc_u32_e32 v36, 30, v36
	v_lshlrev_b32_e32 v37, v37, v26
	v_bfe_u32 v26, v26, 2, 5
	s_delay_alu instid0(VALU_DEP_2) | instskip(NEXT) | instid1(VALU_DEP_2)
	v_and_b32_e32 v37, 3, v37
	v_cmp_eq_u32_e32 vcc_lo, 0, v26
	s_delay_alu instid0(VALU_DEP_2) | instskip(NEXT) | instid1(VALU_DEP_1)
	v_dual_cndmask_b32 v26, v26, v36 :: v_dual_cndmask_b32 v27, v27, v37
	v_lshl_add_u32 v26, v26, 23, 0x37800000
	s_delay_alu instid0(VALU_DEP_2) | instskip(NEXT) | instid1(VALU_DEP_1)
	v_lshlrev_b32_e32 v27, 21, v27
	v_or3_b32 v26, v13, v26, v27
.LBB6_2661:                             ;   in Loop: Header=BB6_2479 Depth=3
	s_or_b32 exec_lo, exec_lo, s34
	s_delay_alu instid0(VALU_DEP_1) | instskip(SKIP_2) | instid1(VALU_DEP_2)
	v_mul_f32_e32 v13, v70, v26
	v_mov_b32_e32 v149, 0x80
	s_mov_b32 s34, exec_lo
	v_and_b32_e32 v26, 0x7f800000, v13
	s_delay_alu instid0(VALU_DEP_1)
	v_cmpx_ne_u32_e32 0x7f800000, v26
	s_cbranch_execz .LBB6_2669
; %bb.2662:                             ;   in Loop: Header=BB6_2479 Depth=3
	v_mov_b32_e32 v149, 0
	s_mov_b32 s35, exec_lo
	v_cmpx_ne_u32_e32 0, v13
	s_cbranch_execz .LBB6_2668
; %bb.2663:                             ;   in Loop: Header=BB6_2479 Depth=3
	v_bfe_u32 v26, v13, 23, 8
	s_delay_alu instid0(VALU_DEP_1) | instskip(SKIP_1) | instid1(VALU_DEP_2)
	v_sub_nc_u32_e32 v36, 0x70, v26
	v_cmp_gt_u32_e32 vcc_lo, 0x71, v26
	v_dual_cndmask_b32 v36, 0, v36 :: v_dual_and_b32 v27, 0x7fffff, v13
	s_delay_alu instid0(VALU_DEP_1) | instskip(SKIP_2) | instid1(VALU_DEP_4)
	v_or_b32_e32 v37, 0x800000, v27
	v_cmp_eq_u32_e32 vcc_lo, 0, v26
	v_add_nc_u32_e32 v26, 0xffffff91, v26
	v_cndmask_b32_e64 v36, v36, 0x6f, vcc_lo
	s_delay_alu instid0(VALU_DEP_4) | instskip(NEXT) | instid1(VALU_DEP_3)
	v_cndmask_b32_e32 v27, v37, v27, vcc_lo
	v_cndmask_b32_e64 v26, v26, 0xffffff92, vcc_lo
	s_delay_alu instid0(VALU_DEP_3) | instskip(NEXT) | instid1(VALU_DEP_3)
	v_lshl_add_u32 v37, 0x200000, v36, -1
	v_lshrrev_b32_e32 v38, v36, v27
	v_lshlrev_b32_e64 v48, v36, 0x100000
	s_delay_alu instid0(VALU_DEP_4) | instskip(NEXT) | instid1(VALU_DEP_4)
	v_add_nc_u32_e32 v36, v36, v26
	v_and_b32_e32 v27, v37, v27
	s_delay_alu instid0(VALU_DEP_4) | instskip(NEXT) | instid1(VALU_DEP_2)
	v_bfe_u32 v39, v38, 21, 1
	v_cmp_eq_u32_e64 s13, v27, v48
	s_delay_alu instid0(VALU_DEP_2) | instskip(NEXT) | instid1(VALU_DEP_1)
	v_add_nc_u32_e32 v37, -1, v39
	v_cndmask_b32_e64 v27, 0, v37, s13
	v_lshrrev_b32_e32 v37, 23, v38
	s_mov_b32 s13, exec_lo
	s_delay_alu instid0(VALU_DEP_2) | instskip(NEXT) | instid1(VALU_DEP_2)
	v_add_nc_u32_e32 v27, v27, v38
	v_xor_b32_e32 v37, 1, v37
	s_delay_alu instid0(VALU_DEP_2) | instskip(NEXT) | instid1(VALU_DEP_1)
	v_and_b32_e32 v26, 0x1fffff, v27
	v_add_nc_u32_e32 v27, v26, v38
                                        ; implicit-def: $vgpr26
	s_delay_alu instid0(VALU_DEP_3)
	v_cmpx_ne_u32_e64 v36, v37
	s_xor_b32 s13, exec_lo, s13
; %bb.2664:                             ;   in Loop: Header=BB6_2479 Depth=3
	s_delay_alu instid0(VALU_DEP_2) | instskip(SKIP_2) | instid1(VALU_DEP_2)
	v_cmp_lt_u32_e32 vcc_lo, 0xffffff, v27
	v_sub_nc_u32_e32 v26, v36, v37
	v_cndmask_b32_e64 v36, 0, 1, vcc_lo
	v_add_co_ci_u32_e32 v26, vcc_lo, 0, v26, vcc_lo
	s_delay_alu instid0(VALU_DEP_2)
	v_lshrrev_b32_e32 v27, v36, v27
; %bb.2665:                             ;   in Loop: Header=BB6_2479 Depth=3
	s_and_not1_saveexec_b32 s13, s13
; %bb.2666:                             ;   in Loop: Header=BB6_2479 Depth=3
	s_delay_alu instid0(VALU_DEP_1)
	v_bfe_u32 v26, v27, 23, 1
; %bb.2667:                             ;   in Loop: Header=BB6_2479 Depth=3
	s_or_b32 exec_lo, exec_lo, s13
	v_lshrrev_b32_e32 v27, 21, v27
	s_delay_alu instid0(VALU_DEP_2) | instskip(SKIP_2) | instid1(VALU_DEP_4)
	v_cmp_gt_i32_e32 vcc_lo, 32, v26
	v_lshrrev_b32_e32 v13, 24, v13
	v_min_i32_e32 v36, 31, v26
	v_cndmask_b32_e32 v27, 3, v27, vcc_lo
	s_delay_alu instid0(VALU_DEP_3) | instskip(NEXT) | instid1(VALU_DEP_3)
	v_and_b32_e32 v13, 0x80, v13
	v_lshlrev_b32_e32 v36, 2, v36
	s_delay_alu instid0(VALU_DEP_3) | instskip(SKIP_1) | instid1(VALU_DEP_2)
	v_and_b32_e32 v37, 3, v27
	v_or_b32_e32 v26, v26, v27
	v_or3_b32 v13, v36, v13, v37
	s_delay_alu instid0(VALU_DEP_2) | instskip(NEXT) | instid1(VALU_DEP_2)
	v_cmp_ne_u32_e32 vcc_lo, 0, v26
	v_cndmask_b32_e32 v149, 0, v13, vcc_lo
.LBB6_2668:                             ;   in Loop: Header=BB6_2479 Depth=3
	s_or_b32 exec_lo, exec_lo, s35
.LBB6_2669:                             ;   in Loop: Header=BB6_2479 Depth=3
	s_delay_alu instid0(SALU_CYCLE_1)
	s_or_b32 exec_lo, exec_lo, s34
	flat_load_u8 v13, v[16:17] offset:480 slc dlc
	s_mov_b32 s13, 0
	s_mov_b32 s35, exec_lo
                                        ; implicit-def: $sgpr34
	s_waitcnt vmcnt(0) lgkmcnt(0)
	v_cmpx_lt_i16_e32 0x7f, v13
	s_xor_b32 s35, exec_lo, s35
	s_cbranch_execnz .LBB6_2934
; %bb.2670:                             ;   in Loop: Header=BB6_2479 Depth=3
	s_or_saveexec_b32 s35, s35
	v_mov_b32_e32 v26, s34
	s_xor_b32 exec_lo, exec_lo, s35
	s_cbranch_execnz .LBB6_2937
.LBB6_2671:                             ;   in Loop: Header=BB6_2479 Depth=3
	s_or_b32 exec_lo, exec_lo, s35
	s_and_saveexec_b32 s34, s13
	s_cbranch_execz .LBB6_2673
.LBB6_2672:                             ;   in Loop: Header=BB6_2479 Depth=3
	v_and_b32_e32 v26, 0xffff, v13
	v_lshlrev_b32_e32 v13, 24, v13
	s_delay_alu instid0(VALU_DEP_2) | instskip(NEXT) | instid1(VALU_DEP_2)
	v_and_b32_e32 v27, 3, v26
	v_and_b32_e32 v13, 0x80000000, v13
	s_delay_alu instid0(VALU_DEP_2) | instskip(NEXT) | instid1(VALU_DEP_1)
	v_clz_i32_u32_e32 v36, v27
	v_min_u32_e32 v36, 32, v36
	s_delay_alu instid0(VALU_DEP_1) | instskip(SKIP_1) | instid1(VALU_DEP_2)
	v_subrev_nc_u32_e32 v37, 29, v36
	v_sub_nc_u32_e32 v36, 30, v36
	v_lshlrev_b32_e32 v37, v37, v26
	v_bfe_u32 v26, v26, 2, 5
	s_delay_alu instid0(VALU_DEP_2) | instskip(NEXT) | instid1(VALU_DEP_2)
	v_and_b32_e32 v37, 3, v37
	v_cmp_eq_u32_e32 vcc_lo, 0, v26
	s_delay_alu instid0(VALU_DEP_2) | instskip(NEXT) | instid1(VALU_DEP_1)
	v_dual_cndmask_b32 v26, v26, v36 :: v_dual_cndmask_b32 v27, v27, v37
	v_lshl_add_u32 v26, v26, 23, 0x37800000
	s_delay_alu instid0(VALU_DEP_2) | instskip(NEXT) | instid1(VALU_DEP_1)
	v_lshlrev_b32_e32 v27, 21, v27
	v_or3_b32 v26, v13, v26, v27
.LBB6_2673:                             ;   in Loop: Header=BB6_2479 Depth=3
	s_or_b32 exec_lo, exec_lo, s34
	s_delay_alu instid0(VALU_DEP_1) | instskip(SKIP_1) | instid1(VALU_DEP_1)
	v_dual_mul_f32 v13, v70, v26 :: v_dual_mov_b32 v132, 0x80
	s_mov_b32 s34, exec_lo
	v_and_b32_e32 v26, 0x7f800000, v13
	s_delay_alu instid0(VALU_DEP_1)
	v_cmpx_ne_u32_e32 0x7f800000, v26
	s_cbranch_execz .LBB6_2681
; %bb.2674:                             ;   in Loop: Header=BB6_2479 Depth=3
	v_mov_b32_e32 v132, 0
	s_mov_b32 s35, exec_lo
	v_cmpx_ne_u32_e32 0, v13
	s_cbranch_execz .LBB6_2680
; %bb.2675:                             ;   in Loop: Header=BB6_2479 Depth=3
	v_bfe_u32 v26, v13, 23, 8
	s_delay_alu instid0(VALU_DEP_1) | instskip(SKIP_1) | instid1(VALU_DEP_2)
	v_sub_nc_u32_e32 v36, 0x70, v26
	v_cmp_gt_u32_e32 vcc_lo, 0x71, v26
	v_dual_cndmask_b32 v36, 0, v36 :: v_dual_and_b32 v27, 0x7fffff, v13
	s_delay_alu instid0(VALU_DEP_1) | instskip(SKIP_2) | instid1(VALU_DEP_4)
	v_or_b32_e32 v37, 0x800000, v27
	v_cmp_eq_u32_e32 vcc_lo, 0, v26
	v_add_nc_u32_e32 v26, 0xffffff91, v26
	v_cndmask_b32_e64 v36, v36, 0x6f, vcc_lo
	s_delay_alu instid0(VALU_DEP_4) | instskip(NEXT) | instid1(VALU_DEP_3)
	v_cndmask_b32_e32 v27, v37, v27, vcc_lo
	v_cndmask_b32_e64 v26, v26, 0xffffff92, vcc_lo
	s_delay_alu instid0(VALU_DEP_3) | instskip(NEXT) | instid1(VALU_DEP_3)
	v_lshl_add_u32 v37, 0x200000, v36, -1
	v_lshrrev_b32_e32 v38, v36, v27
	v_lshlrev_b32_e64 v48, v36, 0x100000
	s_delay_alu instid0(VALU_DEP_4) | instskip(NEXT) | instid1(VALU_DEP_4)
	v_add_nc_u32_e32 v36, v36, v26
	v_and_b32_e32 v27, v37, v27
	s_delay_alu instid0(VALU_DEP_4) | instskip(NEXT) | instid1(VALU_DEP_2)
	v_bfe_u32 v39, v38, 21, 1
	v_cmp_eq_u32_e64 s13, v27, v48
	s_delay_alu instid0(VALU_DEP_2) | instskip(NEXT) | instid1(VALU_DEP_1)
	v_add_nc_u32_e32 v37, -1, v39
	v_cndmask_b32_e64 v27, 0, v37, s13
	v_lshrrev_b32_e32 v37, 23, v38
	s_mov_b32 s13, exec_lo
	s_delay_alu instid0(VALU_DEP_2) | instskip(NEXT) | instid1(VALU_DEP_2)
	v_add_nc_u32_e32 v27, v27, v38
	v_xor_b32_e32 v37, 1, v37
	s_delay_alu instid0(VALU_DEP_2) | instskip(NEXT) | instid1(VALU_DEP_1)
	v_and_b32_e32 v26, 0x1fffff, v27
	v_add_nc_u32_e32 v27, v26, v38
                                        ; implicit-def: $vgpr26
	s_delay_alu instid0(VALU_DEP_3)
	v_cmpx_ne_u32_e64 v36, v37
	s_xor_b32 s13, exec_lo, s13
; %bb.2676:                             ;   in Loop: Header=BB6_2479 Depth=3
	s_delay_alu instid0(VALU_DEP_2) | instskip(SKIP_2) | instid1(VALU_DEP_2)
	v_cmp_lt_u32_e32 vcc_lo, 0xffffff, v27
	v_sub_nc_u32_e32 v26, v36, v37
	v_cndmask_b32_e64 v36, 0, 1, vcc_lo
	v_add_co_ci_u32_e32 v26, vcc_lo, 0, v26, vcc_lo
	s_delay_alu instid0(VALU_DEP_2)
	v_lshrrev_b32_e32 v27, v36, v27
; %bb.2677:                             ;   in Loop: Header=BB6_2479 Depth=3
	s_and_not1_saveexec_b32 s13, s13
; %bb.2678:                             ;   in Loop: Header=BB6_2479 Depth=3
	s_delay_alu instid0(VALU_DEP_1)
	v_bfe_u32 v26, v27, 23, 1
; %bb.2679:                             ;   in Loop: Header=BB6_2479 Depth=3
	s_or_b32 exec_lo, exec_lo, s13
	v_lshrrev_b32_e32 v27, 21, v27
	s_delay_alu instid0(VALU_DEP_2) | instskip(SKIP_2) | instid1(VALU_DEP_2)
	v_cmp_gt_i32_e32 vcc_lo, 32, v26
	v_min_i32_e32 v36, 31, v26
	v_lshrrev_b32_e32 v13, 24, v13
	v_dual_cndmask_b32 v27, 3, v27 :: v_dual_lshlrev_b32 v36, 2, v36
	s_delay_alu instid0(VALU_DEP_2) | instskip(NEXT) | instid1(VALU_DEP_2)
	v_and_b32_e32 v13, 0x80, v13
	v_or_b32_e32 v26, v26, v27
	s_delay_alu instid0(VALU_DEP_1) | instskip(SKIP_1) | instid1(VALU_DEP_1)
	v_cmp_ne_u32_e32 vcc_lo, 0, v26
	v_and_b32_e32 v37, 3, v27
	v_or3_b32 v13, v36, v13, v37
	s_delay_alu instid0(VALU_DEP_1)
	v_cndmask_b32_e32 v132, 0, v13, vcc_lo
.LBB6_2680:                             ;   in Loop: Header=BB6_2479 Depth=3
	s_or_b32 exec_lo, exec_lo, s35
.LBB6_2681:                             ;   in Loop: Header=BB6_2479 Depth=3
	s_delay_alu instid0(SALU_CYCLE_1)
	s_or_b32 exec_lo, exec_lo, s34
	flat_load_u8 v13, v[16:17] offset:512 slc dlc
	s_mov_b32 s13, 0
	s_mov_b32 s35, exec_lo
                                        ; implicit-def: $sgpr34
	s_waitcnt vmcnt(0) lgkmcnt(0)
	v_cmpx_lt_i16_e32 0x7f, v13
	s_xor_b32 s35, exec_lo, s35
	s_cbranch_execnz .LBB6_2938
; %bb.2682:                             ;   in Loop: Header=BB6_2479 Depth=3
	s_or_saveexec_b32 s35, s35
	v_mov_b32_e32 v26, s34
	s_xor_b32 exec_lo, exec_lo, s35
	s_cbranch_execnz .LBB6_2941
.LBB6_2683:                             ;   in Loop: Header=BB6_2479 Depth=3
	s_or_b32 exec_lo, exec_lo, s35
	s_and_saveexec_b32 s34, s13
	s_cbranch_execz .LBB6_2685
.LBB6_2684:                             ;   in Loop: Header=BB6_2479 Depth=3
	v_and_b32_e32 v26, 0xffff, v13
	v_lshlrev_b32_e32 v13, 24, v13
	s_delay_alu instid0(VALU_DEP_2) | instskip(NEXT) | instid1(VALU_DEP_2)
	v_and_b32_e32 v27, 3, v26
	v_and_b32_e32 v13, 0x80000000, v13
	s_delay_alu instid0(VALU_DEP_2) | instskip(NEXT) | instid1(VALU_DEP_1)
	v_clz_i32_u32_e32 v36, v27
	v_min_u32_e32 v36, 32, v36
	s_delay_alu instid0(VALU_DEP_1) | instskip(SKIP_1) | instid1(VALU_DEP_2)
	v_subrev_nc_u32_e32 v37, 29, v36
	v_sub_nc_u32_e32 v36, 30, v36
	v_lshlrev_b32_e32 v37, v37, v26
	v_bfe_u32 v26, v26, 2, 5
	s_delay_alu instid0(VALU_DEP_2) | instskip(NEXT) | instid1(VALU_DEP_2)
	v_and_b32_e32 v37, 3, v37
	v_cmp_eq_u32_e32 vcc_lo, 0, v26
	s_delay_alu instid0(VALU_DEP_2) | instskip(NEXT) | instid1(VALU_DEP_1)
	v_dual_cndmask_b32 v26, v26, v36 :: v_dual_cndmask_b32 v27, v27, v37
	v_lshl_add_u32 v26, v26, 23, 0x37800000
	s_delay_alu instid0(VALU_DEP_2) | instskip(NEXT) | instid1(VALU_DEP_1)
	v_lshlrev_b32_e32 v27, 21, v27
	v_or3_b32 v26, v13, v26, v27
.LBB6_2685:                             ;   in Loop: Header=BB6_2479 Depth=3
	s_or_b32 exec_lo, exec_lo, s34
	s_delay_alu instid0(VALU_DEP_1) | instskip(SKIP_2) | instid1(VALU_DEP_2)
	v_mul_f32_e32 v13, v70, v26
	v_mov_b32_e32 v115, 0x80
	s_mov_b32 s34, exec_lo
	v_and_b32_e32 v26, 0x7f800000, v13
	s_delay_alu instid0(VALU_DEP_1)
	v_cmpx_ne_u32_e32 0x7f800000, v26
	s_cbranch_execz .LBB6_2693
; %bb.2686:                             ;   in Loop: Header=BB6_2479 Depth=3
	v_mov_b32_e32 v115, 0
	s_mov_b32 s35, exec_lo
	v_cmpx_ne_u32_e32 0, v13
	s_cbranch_execz .LBB6_2692
; %bb.2687:                             ;   in Loop: Header=BB6_2479 Depth=3
	v_bfe_u32 v26, v13, 23, 8
	s_delay_alu instid0(VALU_DEP_1) | instskip(SKIP_1) | instid1(VALU_DEP_2)
	v_sub_nc_u32_e32 v36, 0x70, v26
	v_cmp_gt_u32_e32 vcc_lo, 0x71, v26
	v_dual_cndmask_b32 v36, 0, v36 :: v_dual_and_b32 v27, 0x7fffff, v13
	s_delay_alu instid0(VALU_DEP_1) | instskip(SKIP_2) | instid1(VALU_DEP_4)
	v_or_b32_e32 v37, 0x800000, v27
	v_cmp_eq_u32_e32 vcc_lo, 0, v26
	v_add_nc_u32_e32 v26, 0xffffff91, v26
	v_cndmask_b32_e64 v36, v36, 0x6f, vcc_lo
	s_delay_alu instid0(VALU_DEP_4) | instskip(NEXT) | instid1(VALU_DEP_3)
	v_cndmask_b32_e32 v27, v37, v27, vcc_lo
	v_cndmask_b32_e64 v26, v26, 0xffffff92, vcc_lo
	s_delay_alu instid0(VALU_DEP_3) | instskip(NEXT) | instid1(VALU_DEP_3)
	v_lshl_add_u32 v37, 0x200000, v36, -1
	v_lshrrev_b32_e32 v38, v36, v27
	v_lshlrev_b32_e64 v48, v36, 0x100000
	s_delay_alu instid0(VALU_DEP_4) | instskip(NEXT) | instid1(VALU_DEP_4)
	v_add_nc_u32_e32 v36, v36, v26
	v_and_b32_e32 v27, v37, v27
	s_delay_alu instid0(VALU_DEP_4) | instskip(NEXT) | instid1(VALU_DEP_2)
	v_bfe_u32 v39, v38, 21, 1
	v_cmp_eq_u32_e64 s13, v27, v48
	s_delay_alu instid0(VALU_DEP_2) | instskip(NEXT) | instid1(VALU_DEP_1)
	v_add_nc_u32_e32 v37, -1, v39
	v_cndmask_b32_e64 v27, 0, v37, s13
	v_lshrrev_b32_e32 v37, 23, v38
	s_mov_b32 s13, exec_lo
	s_delay_alu instid0(VALU_DEP_2) | instskip(NEXT) | instid1(VALU_DEP_2)
	v_add_nc_u32_e32 v27, v27, v38
	v_xor_b32_e32 v37, 1, v37
	s_delay_alu instid0(VALU_DEP_2) | instskip(NEXT) | instid1(VALU_DEP_1)
	v_and_b32_e32 v26, 0x1fffff, v27
	v_add_nc_u32_e32 v27, v26, v38
                                        ; implicit-def: $vgpr26
	s_delay_alu instid0(VALU_DEP_3)
	v_cmpx_ne_u32_e64 v36, v37
	s_xor_b32 s13, exec_lo, s13
; %bb.2688:                             ;   in Loop: Header=BB6_2479 Depth=3
	s_delay_alu instid0(VALU_DEP_2) | instskip(SKIP_2) | instid1(VALU_DEP_2)
	v_cmp_lt_u32_e32 vcc_lo, 0xffffff, v27
	v_sub_nc_u32_e32 v26, v36, v37
	v_cndmask_b32_e64 v36, 0, 1, vcc_lo
	v_add_co_ci_u32_e32 v26, vcc_lo, 0, v26, vcc_lo
	s_delay_alu instid0(VALU_DEP_2)
	v_lshrrev_b32_e32 v27, v36, v27
; %bb.2689:                             ;   in Loop: Header=BB6_2479 Depth=3
	s_and_not1_saveexec_b32 s13, s13
; %bb.2690:                             ;   in Loop: Header=BB6_2479 Depth=3
	s_delay_alu instid0(VALU_DEP_1)
	v_bfe_u32 v26, v27, 23, 1
; %bb.2691:                             ;   in Loop: Header=BB6_2479 Depth=3
	s_or_b32 exec_lo, exec_lo, s13
	v_lshrrev_b32_e32 v27, 21, v27
	s_delay_alu instid0(VALU_DEP_2) | instskip(SKIP_2) | instid1(VALU_DEP_4)
	v_cmp_gt_i32_e32 vcc_lo, 32, v26
	v_lshrrev_b32_e32 v13, 24, v13
	v_min_i32_e32 v36, 31, v26
	v_cndmask_b32_e32 v27, 3, v27, vcc_lo
	s_delay_alu instid0(VALU_DEP_3) | instskip(NEXT) | instid1(VALU_DEP_3)
	v_and_b32_e32 v13, 0x80, v13
	v_lshlrev_b32_e32 v36, 2, v36
	s_delay_alu instid0(VALU_DEP_3) | instskip(SKIP_1) | instid1(VALU_DEP_2)
	v_and_b32_e32 v37, 3, v27
	v_or_b32_e32 v26, v26, v27
	v_or3_b32 v13, v36, v13, v37
	s_delay_alu instid0(VALU_DEP_2) | instskip(NEXT) | instid1(VALU_DEP_2)
	v_cmp_ne_u32_e32 vcc_lo, 0, v26
	v_cndmask_b32_e32 v115, 0, v13, vcc_lo
.LBB6_2692:                             ;   in Loop: Header=BB6_2479 Depth=3
	s_or_b32 exec_lo, exec_lo, s35
.LBB6_2693:                             ;   in Loop: Header=BB6_2479 Depth=3
	s_delay_alu instid0(SALU_CYCLE_1)
	s_or_b32 exec_lo, exec_lo, s34
	flat_load_u8 v13, v[16:17] offset:544 slc dlc
	s_mov_b32 s13, 0
	s_mov_b32 s35, exec_lo
                                        ; implicit-def: $sgpr34
	s_waitcnt vmcnt(0) lgkmcnt(0)
	v_cmpx_lt_i16_e32 0x7f, v13
	s_xor_b32 s35, exec_lo, s35
	s_cbranch_execnz .LBB6_2942
; %bb.2694:                             ;   in Loop: Header=BB6_2479 Depth=3
	s_or_saveexec_b32 s35, s35
	v_mov_b32_e32 v26, s34
	s_xor_b32 exec_lo, exec_lo, s35
	s_cbranch_execnz .LBB6_2945
.LBB6_2695:                             ;   in Loop: Header=BB6_2479 Depth=3
	s_or_b32 exec_lo, exec_lo, s35
	s_and_saveexec_b32 s34, s13
	s_cbranch_execz .LBB6_2697
.LBB6_2696:                             ;   in Loop: Header=BB6_2479 Depth=3
	v_and_b32_e32 v26, 0xffff, v13
	v_lshlrev_b32_e32 v13, 24, v13
	s_delay_alu instid0(VALU_DEP_2) | instskip(NEXT) | instid1(VALU_DEP_2)
	v_and_b32_e32 v27, 3, v26
	v_and_b32_e32 v13, 0x80000000, v13
	s_delay_alu instid0(VALU_DEP_2) | instskip(NEXT) | instid1(VALU_DEP_1)
	v_clz_i32_u32_e32 v36, v27
	v_min_u32_e32 v36, 32, v36
	s_delay_alu instid0(VALU_DEP_1) | instskip(SKIP_1) | instid1(VALU_DEP_2)
	v_subrev_nc_u32_e32 v37, 29, v36
	v_sub_nc_u32_e32 v36, 30, v36
	v_lshlrev_b32_e32 v37, v37, v26
	v_bfe_u32 v26, v26, 2, 5
	s_delay_alu instid0(VALU_DEP_2) | instskip(NEXT) | instid1(VALU_DEP_2)
	v_and_b32_e32 v37, 3, v37
	v_cmp_eq_u32_e32 vcc_lo, 0, v26
	s_delay_alu instid0(VALU_DEP_2) | instskip(NEXT) | instid1(VALU_DEP_1)
	v_dual_cndmask_b32 v26, v26, v36 :: v_dual_cndmask_b32 v27, v27, v37
	v_lshl_add_u32 v26, v26, 23, 0x37800000
	s_delay_alu instid0(VALU_DEP_2) | instskip(NEXT) | instid1(VALU_DEP_1)
	v_lshlrev_b32_e32 v27, 21, v27
	v_or3_b32 v26, v13, v26, v27
.LBB6_2697:                             ;   in Loop: Header=BB6_2479 Depth=3
	s_or_b32 exec_lo, exec_lo, s34
	s_delay_alu instid0(VALU_DEP_1) | instskip(SKIP_1) | instid1(VALU_DEP_1)
	v_dual_mul_f32 v13, v70, v26 :: v_dual_mov_b32 v150, 0x80
	s_mov_b32 s34, exec_lo
	v_and_b32_e32 v26, 0x7f800000, v13
	s_delay_alu instid0(VALU_DEP_1)
	v_cmpx_ne_u32_e32 0x7f800000, v26
	s_cbranch_execz .LBB6_2705
; %bb.2698:                             ;   in Loop: Header=BB6_2479 Depth=3
	v_mov_b32_e32 v150, 0
	s_mov_b32 s35, exec_lo
	v_cmpx_ne_u32_e32 0, v13
	s_cbranch_execz .LBB6_2704
; %bb.2699:                             ;   in Loop: Header=BB6_2479 Depth=3
	v_bfe_u32 v26, v13, 23, 8
	s_delay_alu instid0(VALU_DEP_1) | instskip(SKIP_1) | instid1(VALU_DEP_2)
	v_sub_nc_u32_e32 v36, 0x70, v26
	v_cmp_gt_u32_e32 vcc_lo, 0x71, v26
	v_dual_cndmask_b32 v36, 0, v36 :: v_dual_and_b32 v27, 0x7fffff, v13
	s_delay_alu instid0(VALU_DEP_1) | instskip(SKIP_2) | instid1(VALU_DEP_4)
	v_or_b32_e32 v37, 0x800000, v27
	v_cmp_eq_u32_e32 vcc_lo, 0, v26
	v_add_nc_u32_e32 v26, 0xffffff91, v26
	v_cndmask_b32_e64 v36, v36, 0x6f, vcc_lo
	s_delay_alu instid0(VALU_DEP_4) | instskip(NEXT) | instid1(VALU_DEP_3)
	v_cndmask_b32_e32 v27, v37, v27, vcc_lo
	v_cndmask_b32_e64 v26, v26, 0xffffff92, vcc_lo
	s_delay_alu instid0(VALU_DEP_3) | instskip(NEXT) | instid1(VALU_DEP_3)
	v_lshl_add_u32 v37, 0x200000, v36, -1
	v_lshrrev_b32_e32 v38, v36, v27
	v_lshlrev_b32_e64 v48, v36, 0x100000
	s_delay_alu instid0(VALU_DEP_4) | instskip(NEXT) | instid1(VALU_DEP_4)
	v_add_nc_u32_e32 v36, v36, v26
	v_and_b32_e32 v27, v37, v27
	s_delay_alu instid0(VALU_DEP_4) | instskip(NEXT) | instid1(VALU_DEP_2)
	v_bfe_u32 v39, v38, 21, 1
	v_cmp_eq_u32_e64 s13, v27, v48
	s_delay_alu instid0(VALU_DEP_2) | instskip(NEXT) | instid1(VALU_DEP_1)
	v_add_nc_u32_e32 v37, -1, v39
	v_cndmask_b32_e64 v27, 0, v37, s13
	v_lshrrev_b32_e32 v37, 23, v38
	s_mov_b32 s13, exec_lo
	s_delay_alu instid0(VALU_DEP_2) | instskip(NEXT) | instid1(VALU_DEP_2)
	v_add_nc_u32_e32 v27, v27, v38
	v_xor_b32_e32 v37, 1, v37
	s_delay_alu instid0(VALU_DEP_2) | instskip(NEXT) | instid1(VALU_DEP_1)
	v_and_b32_e32 v26, 0x1fffff, v27
	v_add_nc_u32_e32 v27, v26, v38
                                        ; implicit-def: $vgpr26
	s_delay_alu instid0(VALU_DEP_3)
	v_cmpx_ne_u32_e64 v36, v37
	s_xor_b32 s13, exec_lo, s13
; %bb.2700:                             ;   in Loop: Header=BB6_2479 Depth=3
	s_delay_alu instid0(VALU_DEP_2) | instskip(SKIP_2) | instid1(VALU_DEP_2)
	v_cmp_lt_u32_e32 vcc_lo, 0xffffff, v27
	v_sub_nc_u32_e32 v26, v36, v37
	v_cndmask_b32_e64 v36, 0, 1, vcc_lo
	v_add_co_ci_u32_e32 v26, vcc_lo, 0, v26, vcc_lo
	s_delay_alu instid0(VALU_DEP_2)
	v_lshrrev_b32_e32 v27, v36, v27
; %bb.2701:                             ;   in Loop: Header=BB6_2479 Depth=3
	s_and_not1_saveexec_b32 s13, s13
; %bb.2702:                             ;   in Loop: Header=BB6_2479 Depth=3
	s_delay_alu instid0(VALU_DEP_1)
	v_bfe_u32 v26, v27, 23, 1
; %bb.2703:                             ;   in Loop: Header=BB6_2479 Depth=3
	s_or_b32 exec_lo, exec_lo, s13
	v_lshrrev_b32_e32 v27, 21, v27
	s_delay_alu instid0(VALU_DEP_2) | instskip(SKIP_2) | instid1(VALU_DEP_2)
	v_cmp_gt_i32_e32 vcc_lo, 32, v26
	v_min_i32_e32 v36, 31, v26
	v_lshrrev_b32_e32 v13, 24, v13
	v_dual_cndmask_b32 v27, 3, v27 :: v_dual_lshlrev_b32 v36, 2, v36
	s_delay_alu instid0(VALU_DEP_2) | instskip(NEXT) | instid1(VALU_DEP_2)
	v_and_b32_e32 v13, 0x80, v13
	v_or_b32_e32 v26, v26, v27
	s_delay_alu instid0(VALU_DEP_1) | instskip(SKIP_1) | instid1(VALU_DEP_1)
	v_cmp_ne_u32_e32 vcc_lo, 0, v26
	v_and_b32_e32 v37, 3, v27
	v_or3_b32 v13, v36, v13, v37
	s_delay_alu instid0(VALU_DEP_1)
	v_cndmask_b32_e32 v150, 0, v13, vcc_lo
.LBB6_2704:                             ;   in Loop: Header=BB6_2479 Depth=3
	s_or_b32 exec_lo, exec_lo, s35
.LBB6_2705:                             ;   in Loop: Header=BB6_2479 Depth=3
	s_delay_alu instid0(SALU_CYCLE_1)
	s_or_b32 exec_lo, exec_lo, s34
	flat_load_u8 v13, v[16:17] offset:576 slc dlc
	s_mov_b32 s13, 0
	s_mov_b32 s35, exec_lo
                                        ; implicit-def: $sgpr34
	s_waitcnt vmcnt(0) lgkmcnt(0)
	v_cmpx_lt_i16_e32 0x7f, v13
	s_xor_b32 s35, exec_lo, s35
	s_cbranch_execnz .LBB6_2946
; %bb.2706:                             ;   in Loop: Header=BB6_2479 Depth=3
	s_or_saveexec_b32 s35, s35
	v_mov_b32_e32 v26, s34
	s_xor_b32 exec_lo, exec_lo, s35
	s_cbranch_execnz .LBB6_2949
.LBB6_2707:                             ;   in Loop: Header=BB6_2479 Depth=3
	s_or_b32 exec_lo, exec_lo, s35
	s_and_saveexec_b32 s34, s13
	s_cbranch_execz .LBB6_2709
.LBB6_2708:                             ;   in Loop: Header=BB6_2479 Depth=3
	v_and_b32_e32 v26, 0xffff, v13
	v_lshlrev_b32_e32 v13, 24, v13
	s_delay_alu instid0(VALU_DEP_2) | instskip(NEXT) | instid1(VALU_DEP_2)
	v_and_b32_e32 v27, 3, v26
	v_and_b32_e32 v13, 0x80000000, v13
	s_delay_alu instid0(VALU_DEP_2) | instskip(NEXT) | instid1(VALU_DEP_1)
	v_clz_i32_u32_e32 v36, v27
	v_min_u32_e32 v36, 32, v36
	s_delay_alu instid0(VALU_DEP_1) | instskip(SKIP_1) | instid1(VALU_DEP_2)
	v_subrev_nc_u32_e32 v37, 29, v36
	v_sub_nc_u32_e32 v36, 30, v36
	v_lshlrev_b32_e32 v37, v37, v26
	v_bfe_u32 v26, v26, 2, 5
	s_delay_alu instid0(VALU_DEP_2) | instskip(NEXT) | instid1(VALU_DEP_2)
	v_and_b32_e32 v37, 3, v37
	v_cmp_eq_u32_e32 vcc_lo, 0, v26
	s_delay_alu instid0(VALU_DEP_2) | instskip(NEXT) | instid1(VALU_DEP_1)
	v_dual_cndmask_b32 v26, v26, v36 :: v_dual_cndmask_b32 v27, v27, v37
	v_lshl_add_u32 v26, v26, 23, 0x37800000
	s_delay_alu instid0(VALU_DEP_2) | instskip(NEXT) | instid1(VALU_DEP_1)
	v_lshlrev_b32_e32 v27, 21, v27
	v_or3_b32 v26, v13, v26, v27
.LBB6_2709:                             ;   in Loop: Header=BB6_2479 Depth=3
	s_or_b32 exec_lo, exec_lo, s34
	s_delay_alu instid0(VALU_DEP_1) | instskip(SKIP_2) | instid1(VALU_DEP_2)
	v_mul_f32_e32 v13, v70, v26
	v_mov_b32_e32 v151, 0x80
	s_mov_b32 s34, exec_lo
	v_and_b32_e32 v26, 0x7f800000, v13
	s_delay_alu instid0(VALU_DEP_1)
	v_cmpx_ne_u32_e32 0x7f800000, v26
	s_cbranch_execz .LBB6_2717
; %bb.2710:                             ;   in Loop: Header=BB6_2479 Depth=3
	v_mov_b32_e32 v151, 0
	s_mov_b32 s35, exec_lo
	v_cmpx_ne_u32_e32 0, v13
	s_cbranch_execz .LBB6_2716
; %bb.2711:                             ;   in Loop: Header=BB6_2479 Depth=3
	v_bfe_u32 v26, v13, 23, 8
	s_delay_alu instid0(VALU_DEP_1) | instskip(SKIP_1) | instid1(VALU_DEP_2)
	v_sub_nc_u32_e32 v36, 0x70, v26
	v_cmp_gt_u32_e32 vcc_lo, 0x71, v26
	v_dual_cndmask_b32 v36, 0, v36 :: v_dual_and_b32 v27, 0x7fffff, v13
	s_delay_alu instid0(VALU_DEP_1) | instskip(SKIP_2) | instid1(VALU_DEP_4)
	v_or_b32_e32 v37, 0x800000, v27
	v_cmp_eq_u32_e32 vcc_lo, 0, v26
	v_add_nc_u32_e32 v26, 0xffffff91, v26
	v_cndmask_b32_e64 v36, v36, 0x6f, vcc_lo
	s_delay_alu instid0(VALU_DEP_4) | instskip(NEXT) | instid1(VALU_DEP_3)
	v_cndmask_b32_e32 v27, v37, v27, vcc_lo
	v_cndmask_b32_e64 v26, v26, 0xffffff92, vcc_lo
	s_delay_alu instid0(VALU_DEP_3) | instskip(NEXT) | instid1(VALU_DEP_3)
	v_lshl_add_u32 v37, 0x200000, v36, -1
	v_lshrrev_b32_e32 v38, v36, v27
	v_lshlrev_b32_e64 v48, v36, 0x100000
	s_delay_alu instid0(VALU_DEP_4) | instskip(NEXT) | instid1(VALU_DEP_4)
	v_add_nc_u32_e32 v36, v36, v26
	v_and_b32_e32 v27, v37, v27
	s_delay_alu instid0(VALU_DEP_4) | instskip(NEXT) | instid1(VALU_DEP_2)
	v_bfe_u32 v39, v38, 21, 1
	v_cmp_eq_u32_e64 s13, v27, v48
	s_delay_alu instid0(VALU_DEP_2) | instskip(NEXT) | instid1(VALU_DEP_1)
	v_add_nc_u32_e32 v37, -1, v39
	v_cndmask_b32_e64 v27, 0, v37, s13
	v_lshrrev_b32_e32 v37, 23, v38
	s_mov_b32 s13, exec_lo
	s_delay_alu instid0(VALU_DEP_2) | instskip(NEXT) | instid1(VALU_DEP_2)
	v_add_nc_u32_e32 v27, v27, v38
	v_xor_b32_e32 v37, 1, v37
	s_delay_alu instid0(VALU_DEP_2) | instskip(NEXT) | instid1(VALU_DEP_1)
	v_and_b32_e32 v26, 0x1fffff, v27
	v_add_nc_u32_e32 v27, v26, v38
                                        ; implicit-def: $vgpr26
	s_delay_alu instid0(VALU_DEP_3)
	v_cmpx_ne_u32_e64 v36, v37
	s_xor_b32 s13, exec_lo, s13
; %bb.2712:                             ;   in Loop: Header=BB6_2479 Depth=3
	s_delay_alu instid0(VALU_DEP_2) | instskip(SKIP_2) | instid1(VALU_DEP_2)
	v_cmp_lt_u32_e32 vcc_lo, 0xffffff, v27
	v_sub_nc_u32_e32 v26, v36, v37
	v_cndmask_b32_e64 v36, 0, 1, vcc_lo
	v_add_co_ci_u32_e32 v26, vcc_lo, 0, v26, vcc_lo
	s_delay_alu instid0(VALU_DEP_2)
	v_lshrrev_b32_e32 v27, v36, v27
; %bb.2713:                             ;   in Loop: Header=BB6_2479 Depth=3
	s_and_not1_saveexec_b32 s13, s13
; %bb.2714:                             ;   in Loop: Header=BB6_2479 Depth=3
	s_delay_alu instid0(VALU_DEP_1)
	v_bfe_u32 v26, v27, 23, 1
; %bb.2715:                             ;   in Loop: Header=BB6_2479 Depth=3
	s_or_b32 exec_lo, exec_lo, s13
	v_lshrrev_b32_e32 v27, 21, v27
	s_delay_alu instid0(VALU_DEP_2) | instskip(SKIP_2) | instid1(VALU_DEP_4)
	v_cmp_gt_i32_e32 vcc_lo, 32, v26
	v_lshrrev_b32_e32 v13, 24, v13
	v_min_i32_e32 v36, 31, v26
	v_cndmask_b32_e32 v27, 3, v27, vcc_lo
	s_delay_alu instid0(VALU_DEP_3) | instskip(NEXT) | instid1(VALU_DEP_3)
	v_and_b32_e32 v13, 0x80, v13
	v_lshlrev_b32_e32 v36, 2, v36
	s_delay_alu instid0(VALU_DEP_3) | instskip(SKIP_1) | instid1(VALU_DEP_2)
	v_and_b32_e32 v37, 3, v27
	v_or_b32_e32 v26, v26, v27
	v_or3_b32 v13, v36, v13, v37
	s_delay_alu instid0(VALU_DEP_2) | instskip(NEXT) | instid1(VALU_DEP_2)
	v_cmp_ne_u32_e32 vcc_lo, 0, v26
	v_cndmask_b32_e32 v151, 0, v13, vcc_lo
.LBB6_2716:                             ;   in Loop: Header=BB6_2479 Depth=3
	s_or_b32 exec_lo, exec_lo, s35
.LBB6_2717:                             ;   in Loop: Header=BB6_2479 Depth=3
	s_delay_alu instid0(SALU_CYCLE_1)
	s_or_b32 exec_lo, exec_lo, s34
	flat_load_u8 v13, v[16:17] offset:608 slc dlc
	s_mov_b32 s13, 0
	s_mov_b32 s35, exec_lo
                                        ; implicit-def: $sgpr34
	s_waitcnt vmcnt(0) lgkmcnt(0)
	v_cmpx_lt_i16_e32 0x7f, v13
	s_xor_b32 s35, exec_lo, s35
	s_cbranch_execnz .LBB6_2950
; %bb.2718:                             ;   in Loop: Header=BB6_2479 Depth=3
	s_or_saveexec_b32 s35, s35
	v_mov_b32_e32 v26, s34
	s_xor_b32 exec_lo, exec_lo, s35
	s_cbranch_execnz .LBB6_2953
.LBB6_2719:                             ;   in Loop: Header=BB6_2479 Depth=3
	s_or_b32 exec_lo, exec_lo, s35
	s_and_saveexec_b32 s34, s13
	s_cbranch_execz .LBB6_2721
.LBB6_2720:                             ;   in Loop: Header=BB6_2479 Depth=3
	v_and_b32_e32 v26, 0xffff, v13
	v_lshlrev_b32_e32 v13, 24, v13
	s_delay_alu instid0(VALU_DEP_2) | instskip(NEXT) | instid1(VALU_DEP_2)
	v_and_b32_e32 v27, 3, v26
	v_and_b32_e32 v13, 0x80000000, v13
	s_delay_alu instid0(VALU_DEP_2) | instskip(NEXT) | instid1(VALU_DEP_1)
	v_clz_i32_u32_e32 v36, v27
	v_min_u32_e32 v36, 32, v36
	s_delay_alu instid0(VALU_DEP_1) | instskip(SKIP_1) | instid1(VALU_DEP_2)
	v_subrev_nc_u32_e32 v37, 29, v36
	v_sub_nc_u32_e32 v36, 30, v36
	v_lshlrev_b32_e32 v37, v37, v26
	v_bfe_u32 v26, v26, 2, 5
	s_delay_alu instid0(VALU_DEP_2) | instskip(NEXT) | instid1(VALU_DEP_2)
	v_and_b32_e32 v37, 3, v37
	v_cmp_eq_u32_e32 vcc_lo, 0, v26
	s_delay_alu instid0(VALU_DEP_2) | instskip(NEXT) | instid1(VALU_DEP_1)
	v_dual_cndmask_b32 v26, v26, v36 :: v_dual_cndmask_b32 v27, v27, v37
	v_lshl_add_u32 v26, v26, 23, 0x37800000
	s_delay_alu instid0(VALU_DEP_2) | instskip(NEXT) | instid1(VALU_DEP_1)
	v_lshlrev_b32_e32 v27, 21, v27
	v_or3_b32 v26, v13, v26, v27
.LBB6_2721:                             ;   in Loop: Header=BB6_2479 Depth=3
	s_or_b32 exec_lo, exec_lo, s34
	s_delay_alu instid0(VALU_DEP_1) | instskip(SKIP_1) | instid1(VALU_DEP_1)
	v_dual_mul_f32 v13, v70, v26 :: v_dual_mov_b32 v114, 0x80
	s_mov_b32 s34, exec_lo
	v_and_b32_e32 v26, 0x7f800000, v13
	s_delay_alu instid0(VALU_DEP_1)
	v_cmpx_ne_u32_e32 0x7f800000, v26
	s_cbranch_execz .LBB6_2729
; %bb.2722:                             ;   in Loop: Header=BB6_2479 Depth=3
	v_mov_b32_e32 v114, 0
	s_mov_b32 s35, exec_lo
	v_cmpx_ne_u32_e32 0, v13
	s_cbranch_execz .LBB6_2728
; %bb.2723:                             ;   in Loop: Header=BB6_2479 Depth=3
	v_bfe_u32 v26, v13, 23, 8
	s_delay_alu instid0(VALU_DEP_1) | instskip(SKIP_1) | instid1(VALU_DEP_2)
	v_sub_nc_u32_e32 v36, 0x70, v26
	v_cmp_gt_u32_e32 vcc_lo, 0x71, v26
	v_dual_cndmask_b32 v36, 0, v36 :: v_dual_and_b32 v27, 0x7fffff, v13
	s_delay_alu instid0(VALU_DEP_1) | instskip(SKIP_2) | instid1(VALU_DEP_4)
	v_or_b32_e32 v37, 0x800000, v27
	v_cmp_eq_u32_e32 vcc_lo, 0, v26
	v_add_nc_u32_e32 v26, 0xffffff91, v26
	v_cndmask_b32_e64 v36, v36, 0x6f, vcc_lo
	s_delay_alu instid0(VALU_DEP_4) | instskip(NEXT) | instid1(VALU_DEP_3)
	v_cndmask_b32_e32 v27, v37, v27, vcc_lo
	v_cndmask_b32_e64 v26, v26, 0xffffff92, vcc_lo
	s_delay_alu instid0(VALU_DEP_3) | instskip(NEXT) | instid1(VALU_DEP_3)
	v_lshl_add_u32 v37, 0x200000, v36, -1
	v_lshrrev_b32_e32 v38, v36, v27
	v_lshlrev_b32_e64 v48, v36, 0x100000
	s_delay_alu instid0(VALU_DEP_4) | instskip(NEXT) | instid1(VALU_DEP_4)
	v_add_nc_u32_e32 v36, v36, v26
	v_and_b32_e32 v27, v37, v27
	s_delay_alu instid0(VALU_DEP_4) | instskip(NEXT) | instid1(VALU_DEP_2)
	v_bfe_u32 v39, v38, 21, 1
	v_cmp_eq_u32_e64 s13, v27, v48
	s_delay_alu instid0(VALU_DEP_2) | instskip(NEXT) | instid1(VALU_DEP_1)
	v_add_nc_u32_e32 v37, -1, v39
	v_cndmask_b32_e64 v27, 0, v37, s13
	v_lshrrev_b32_e32 v37, 23, v38
	s_mov_b32 s13, exec_lo
	s_delay_alu instid0(VALU_DEP_2) | instskip(NEXT) | instid1(VALU_DEP_2)
	v_add_nc_u32_e32 v27, v27, v38
	v_xor_b32_e32 v37, 1, v37
	s_delay_alu instid0(VALU_DEP_2) | instskip(NEXT) | instid1(VALU_DEP_1)
	v_and_b32_e32 v26, 0x1fffff, v27
	v_add_nc_u32_e32 v27, v26, v38
                                        ; implicit-def: $vgpr26
	s_delay_alu instid0(VALU_DEP_3)
	v_cmpx_ne_u32_e64 v36, v37
	s_xor_b32 s13, exec_lo, s13
; %bb.2724:                             ;   in Loop: Header=BB6_2479 Depth=3
	s_delay_alu instid0(VALU_DEP_2) | instskip(SKIP_2) | instid1(VALU_DEP_2)
	v_cmp_lt_u32_e32 vcc_lo, 0xffffff, v27
	v_sub_nc_u32_e32 v26, v36, v37
	v_cndmask_b32_e64 v36, 0, 1, vcc_lo
	v_add_co_ci_u32_e32 v26, vcc_lo, 0, v26, vcc_lo
	s_delay_alu instid0(VALU_DEP_2)
	v_lshrrev_b32_e32 v27, v36, v27
; %bb.2725:                             ;   in Loop: Header=BB6_2479 Depth=3
	s_and_not1_saveexec_b32 s13, s13
; %bb.2726:                             ;   in Loop: Header=BB6_2479 Depth=3
	s_delay_alu instid0(VALU_DEP_1)
	v_bfe_u32 v26, v27, 23, 1
; %bb.2727:                             ;   in Loop: Header=BB6_2479 Depth=3
	s_or_b32 exec_lo, exec_lo, s13
	v_lshrrev_b32_e32 v27, 21, v27
	s_delay_alu instid0(VALU_DEP_2) | instskip(SKIP_2) | instid1(VALU_DEP_2)
	v_cmp_gt_i32_e32 vcc_lo, 32, v26
	v_min_i32_e32 v36, 31, v26
	v_lshrrev_b32_e32 v13, 24, v13
	v_dual_cndmask_b32 v27, 3, v27 :: v_dual_lshlrev_b32 v36, 2, v36
	s_delay_alu instid0(VALU_DEP_2) | instskip(NEXT) | instid1(VALU_DEP_2)
	v_and_b32_e32 v13, 0x80, v13
	v_or_b32_e32 v26, v26, v27
	s_delay_alu instid0(VALU_DEP_1) | instskip(SKIP_1) | instid1(VALU_DEP_1)
	v_cmp_ne_u32_e32 vcc_lo, 0, v26
	v_and_b32_e32 v37, 3, v27
	v_or3_b32 v13, v36, v13, v37
	s_delay_alu instid0(VALU_DEP_1)
	v_cndmask_b32_e32 v114, 0, v13, vcc_lo
.LBB6_2728:                             ;   in Loop: Header=BB6_2479 Depth=3
	s_or_b32 exec_lo, exec_lo, s35
.LBB6_2729:                             ;   in Loop: Header=BB6_2479 Depth=3
	s_delay_alu instid0(SALU_CYCLE_1)
	s_or_b32 exec_lo, exec_lo, s34
	flat_load_u8 v13, v[16:17] offset:640 slc dlc
	s_mov_b32 s13, 0
	s_mov_b32 s35, exec_lo
                                        ; implicit-def: $sgpr34
	s_waitcnt vmcnt(0) lgkmcnt(0)
	v_cmpx_lt_i16_e32 0x7f, v13
	s_xor_b32 s35, exec_lo, s35
	s_cbranch_execnz .LBB6_2954
; %bb.2730:                             ;   in Loop: Header=BB6_2479 Depth=3
	s_or_saveexec_b32 s35, s35
	v_mov_b32_e32 v26, s34
	s_xor_b32 exec_lo, exec_lo, s35
	s_cbranch_execnz .LBB6_2957
.LBB6_2731:                             ;   in Loop: Header=BB6_2479 Depth=3
	s_or_b32 exec_lo, exec_lo, s35
	s_and_saveexec_b32 s34, s13
	s_cbranch_execz .LBB6_2733
.LBB6_2732:                             ;   in Loop: Header=BB6_2479 Depth=3
	v_and_b32_e32 v26, 0xffff, v13
	v_lshlrev_b32_e32 v13, 24, v13
	s_delay_alu instid0(VALU_DEP_2) | instskip(NEXT) | instid1(VALU_DEP_2)
	v_and_b32_e32 v27, 3, v26
	v_and_b32_e32 v13, 0x80000000, v13
	s_delay_alu instid0(VALU_DEP_2) | instskip(NEXT) | instid1(VALU_DEP_1)
	v_clz_i32_u32_e32 v36, v27
	v_min_u32_e32 v36, 32, v36
	s_delay_alu instid0(VALU_DEP_1) | instskip(SKIP_1) | instid1(VALU_DEP_2)
	v_subrev_nc_u32_e32 v37, 29, v36
	v_sub_nc_u32_e32 v36, 30, v36
	v_lshlrev_b32_e32 v37, v37, v26
	v_bfe_u32 v26, v26, 2, 5
	s_delay_alu instid0(VALU_DEP_2) | instskip(NEXT) | instid1(VALU_DEP_2)
	v_and_b32_e32 v37, 3, v37
	v_cmp_eq_u32_e32 vcc_lo, 0, v26
	s_delay_alu instid0(VALU_DEP_2) | instskip(NEXT) | instid1(VALU_DEP_1)
	v_dual_cndmask_b32 v26, v26, v36 :: v_dual_cndmask_b32 v27, v27, v37
	v_lshl_add_u32 v26, v26, 23, 0x37800000
	s_delay_alu instid0(VALU_DEP_2) | instskip(NEXT) | instid1(VALU_DEP_1)
	v_lshlrev_b32_e32 v27, 21, v27
	v_or3_b32 v26, v13, v26, v27
.LBB6_2733:                             ;   in Loop: Header=BB6_2479 Depth=3
	s_or_b32 exec_lo, exec_lo, s34
	s_delay_alu instid0(VALU_DEP_1) | instskip(NEXT) | instid1(VALU_DEP_1)
	v_mul_f32_e32 v26, v70, v26
	v_and_b32_e32 v13, 0x7f800000, v26
	s_delay_alu instid0(VALU_DEP_1)
	v_cmp_ne_u32_e32 vcc_lo, 0x7f800000, v13
	v_mov_b32_e32 v13, 0x80
	s_and_saveexec_b32 s34, vcc_lo
	s_cbranch_execz .LBB6_2741
; %bb.2734:                             ;   in Loop: Header=BB6_2479 Depth=3
	v_mov_b32_e32 v13, 0
	s_mov_b32 s35, exec_lo
	v_cmpx_ne_u32_e32 0, v26
	s_cbranch_execz .LBB6_2740
; %bb.2735:                             ;   in Loop: Header=BB6_2479 Depth=3
	v_bfe_u32 v13, v26, 23, 8
	s_delay_alu instid0(VALU_DEP_1) | instskip(SKIP_1) | instid1(VALU_DEP_2)
	v_sub_nc_u32_e32 v36, 0x70, v13
	v_cmp_gt_u32_e32 vcc_lo, 0x71, v13
	v_dual_cndmask_b32 v36, 0, v36 :: v_dual_and_b32 v27, 0x7fffff, v26
	s_delay_alu instid0(VALU_DEP_1) | instskip(SKIP_2) | instid1(VALU_DEP_4)
	v_or_b32_e32 v37, 0x800000, v27
	v_cmp_eq_u32_e32 vcc_lo, 0, v13
	v_add_nc_u32_e32 v13, 0xffffff91, v13
	v_cndmask_b32_e64 v36, v36, 0x6f, vcc_lo
	s_delay_alu instid0(VALU_DEP_2) | instskip(SKIP_1) | instid1(VALU_DEP_3)
	v_cndmask_b32_e64 v13, v13, 0xffffff92, vcc_lo
	v_cndmask_b32_e32 v27, v37, v27, vcc_lo
	v_lshl_add_u32 v37, 0x200000, v36, -1
	v_lshlrev_b32_e64 v48, v36, 0x100000
	s_delay_alu instid0(VALU_DEP_3) | instskip(SKIP_1) | instid1(VALU_DEP_4)
	v_lshrrev_b32_e32 v38, v36, v27
	v_add_nc_u32_e32 v36, v36, v13
	v_and_b32_e32 v27, v37, v27
	s_delay_alu instid0(VALU_DEP_3) | instskip(NEXT) | instid1(VALU_DEP_2)
	v_bfe_u32 v39, v38, 21, 1
	v_cmp_eq_u32_e64 s13, v27, v48
	s_delay_alu instid0(VALU_DEP_2) | instskip(NEXT) | instid1(VALU_DEP_1)
	v_add_nc_u32_e32 v37, -1, v39
	v_cndmask_b32_e64 v27, 0, v37, s13
	v_lshrrev_b32_e32 v37, 23, v38
	s_mov_b32 s13, exec_lo
	s_delay_alu instid0(VALU_DEP_2) | instskip(NEXT) | instid1(VALU_DEP_2)
	v_add_nc_u32_e32 v27, v27, v38
	v_xor_b32_e32 v37, 1, v37
	s_delay_alu instid0(VALU_DEP_2) | instskip(NEXT) | instid1(VALU_DEP_1)
	v_and_b32_e32 v13, 0x1fffff, v27
	v_add_nc_u32_e32 v27, v13, v38
                                        ; implicit-def: $vgpr13
	s_delay_alu instid0(VALU_DEP_3)
	v_cmpx_ne_u32_e64 v36, v37
	s_xor_b32 s13, exec_lo, s13
; %bb.2736:                             ;   in Loop: Header=BB6_2479 Depth=3
	s_delay_alu instid0(VALU_DEP_2) | instskip(SKIP_2) | instid1(VALU_DEP_2)
	v_cmp_lt_u32_e32 vcc_lo, 0xffffff, v27
	v_sub_nc_u32_e32 v13, v36, v37
	v_cndmask_b32_e64 v36, 0, 1, vcc_lo
	v_add_co_ci_u32_e32 v13, vcc_lo, 0, v13, vcc_lo
	s_delay_alu instid0(VALU_DEP_2)
	v_lshrrev_b32_e32 v27, v36, v27
; %bb.2737:                             ;   in Loop: Header=BB6_2479 Depth=3
	s_and_not1_saveexec_b32 s13, s13
; %bb.2738:                             ;   in Loop: Header=BB6_2479 Depth=3
	s_delay_alu instid0(VALU_DEP_1)
	v_bfe_u32 v13, v27, 23, 1
; %bb.2739:                             ;   in Loop: Header=BB6_2479 Depth=3
	s_or_b32 exec_lo, exec_lo, s13
	v_lshrrev_b32_e32 v27, 21, v27
	s_delay_alu instid0(VALU_DEP_2) | instskip(SKIP_2) | instid1(VALU_DEP_2)
	v_cmp_gt_i32_e32 vcc_lo, 32, v13
	v_lshrrev_b32_e32 v26, 24, v26
	v_min_i32_e32 v36, 31, v13
	v_dual_cndmask_b32 v27, 3, v27 :: v_dual_and_b32 v26, 0x80, v26
	s_delay_alu instid0(VALU_DEP_1) | instskip(SKIP_1) | instid1(VALU_DEP_2)
	v_or_b32_e32 v13, v13, v27
	v_and_b32_e32 v37, 3, v27
	v_cmp_ne_u32_e32 vcc_lo, 0, v13
	v_lshlrev_b32_e32 v36, 2, v36
	s_delay_alu instid0(VALU_DEP_1) | instskip(NEXT) | instid1(VALU_DEP_1)
	v_or3_b32 v26, v36, v26, v37
	v_cndmask_b32_e32 v13, 0, v26, vcc_lo
.LBB6_2740:                             ;   in Loop: Header=BB6_2479 Depth=3
	s_or_b32 exec_lo, exec_lo, s35
.LBB6_2741:                             ;   in Loop: Header=BB6_2479 Depth=3
	s_delay_alu instid0(SALU_CYCLE_1)
	s_or_b32 exec_lo, exec_lo, s34
	flat_load_u8 v26, v[16:17] offset:672 slc dlc
	s_mov_b32 s13, 0
	s_mov_b32 s35, exec_lo
                                        ; implicit-def: $sgpr34
	s_waitcnt vmcnt(0) lgkmcnt(0)
	v_cmpx_lt_i16_e32 0x7f, v26
	s_xor_b32 s35, exec_lo, s35
	s_cbranch_execnz .LBB6_2958
; %bb.2742:                             ;   in Loop: Header=BB6_2479 Depth=3
	s_or_saveexec_b32 s35, s35
	v_mov_b32_e32 v27, s34
	s_xor_b32 exec_lo, exec_lo, s35
	s_cbranch_execnz .LBB6_2961
.LBB6_2743:                             ;   in Loop: Header=BB6_2479 Depth=3
	s_or_b32 exec_lo, exec_lo, s35
	s_and_saveexec_b32 s34, s13
	s_cbranch_execz .LBB6_2745
.LBB6_2744:                             ;   in Loop: Header=BB6_2479 Depth=3
	v_and_b32_e32 v27, 0xffff, v26
	v_lshlrev_b32_e32 v26, 24, v26
	s_delay_alu instid0(VALU_DEP_2) | instskip(NEXT) | instid1(VALU_DEP_2)
	v_and_b32_e32 v36, 3, v27
	v_and_b32_e32 v26, 0x80000000, v26
	s_delay_alu instid0(VALU_DEP_2) | instskip(NEXT) | instid1(VALU_DEP_1)
	v_clz_i32_u32_e32 v37, v36
	v_min_u32_e32 v37, 32, v37
	s_delay_alu instid0(VALU_DEP_1) | instskip(SKIP_1) | instid1(VALU_DEP_2)
	v_subrev_nc_u32_e32 v38, 29, v37
	v_sub_nc_u32_e32 v37, 30, v37
	v_lshlrev_b32_e32 v38, v38, v27
	v_bfe_u32 v27, v27, 2, 5
	s_delay_alu instid0(VALU_DEP_2) | instskip(NEXT) | instid1(VALU_DEP_2)
	v_and_b32_e32 v38, 3, v38
	v_cmp_eq_u32_e32 vcc_lo, 0, v27
	s_delay_alu instid0(VALU_DEP_2) | instskip(NEXT) | instid1(VALU_DEP_1)
	v_dual_cndmask_b32 v27, v27, v37 :: v_dual_cndmask_b32 v36, v36, v38
	v_lshl_add_u32 v27, v27, 23, 0x37800000
	s_delay_alu instid0(VALU_DEP_2) | instskip(NEXT) | instid1(VALU_DEP_1)
	v_lshlrev_b32_e32 v36, 21, v36
	v_or3_b32 v27, v26, v27, v36
.LBB6_2745:                             ;   in Loop: Header=BB6_2479 Depth=3
	s_or_b32 exec_lo, exec_lo, s34
	s_delay_alu instid0(VALU_DEP_1) | instskip(NEXT) | instid1(VALU_DEP_1)
	v_mul_f32_e32 v27, v70, v27
	v_and_b32_e32 v26, 0x7f800000, v27
	s_delay_alu instid0(VALU_DEP_1)
	v_cmp_ne_u32_e32 vcc_lo, 0x7f800000, v26
	v_mov_b32_e32 v26, 0x80
	s_and_saveexec_b32 s34, vcc_lo
	s_cbranch_execz .LBB6_2753
; %bb.2746:                             ;   in Loop: Header=BB6_2479 Depth=3
	v_mov_b32_e32 v26, 0
	s_mov_b32 s35, exec_lo
	v_cmpx_ne_u32_e32 0, v27
	s_cbranch_execz .LBB6_2752
; %bb.2747:                             ;   in Loop: Header=BB6_2479 Depth=3
	v_bfe_u32 v26, v27, 23, 8
	s_delay_alu instid0(VALU_DEP_1) | instskip(SKIP_1) | instid1(VALU_DEP_2)
	v_sub_nc_u32_e32 v37, 0x70, v26
	v_cmp_gt_u32_e32 vcc_lo, 0x71, v26
	v_dual_cndmask_b32 v37, 0, v37 :: v_dual_and_b32 v36, 0x7fffff, v27
	s_delay_alu instid0(VALU_DEP_1) | instskip(SKIP_2) | instid1(VALU_DEP_4)
	v_or_b32_e32 v38, 0x800000, v36
	v_cmp_eq_u32_e32 vcc_lo, 0, v26
	v_add_nc_u32_e32 v26, 0xffffff91, v26
	v_cndmask_b32_e64 v37, v37, 0x6f, vcc_lo
	s_delay_alu instid0(VALU_DEP_2) | instskip(SKIP_1) | instid1(VALU_DEP_3)
	v_cndmask_b32_e64 v26, v26, 0xffffff92, vcc_lo
	v_cndmask_b32_e32 v36, v38, v36, vcc_lo
	v_lshl_add_u32 v38, 0x200000, v37, -1
	v_lshlrev_b32_e64 v49, v37, 0x100000
	s_delay_alu instid0(VALU_DEP_3) | instskip(SKIP_1) | instid1(VALU_DEP_4)
	v_lshrrev_b32_e32 v39, v37, v36
	v_add_nc_u32_e32 v37, v37, v26
	v_and_b32_e32 v36, v38, v36
	s_delay_alu instid0(VALU_DEP_3) | instskip(NEXT) | instid1(VALU_DEP_2)
	v_bfe_u32 v48, v39, 21, 1
	v_cmp_eq_u32_e64 s13, v36, v49
	s_delay_alu instid0(VALU_DEP_2) | instskip(NEXT) | instid1(VALU_DEP_1)
	v_add_nc_u32_e32 v38, -1, v48
	v_cndmask_b32_e64 v36, 0, v38, s13
	v_lshrrev_b32_e32 v38, 23, v39
	s_mov_b32 s13, exec_lo
	s_delay_alu instid0(VALU_DEP_2) | instskip(NEXT) | instid1(VALU_DEP_2)
	v_add_nc_u32_e32 v36, v36, v39
	v_xor_b32_e32 v38, 1, v38
	s_delay_alu instid0(VALU_DEP_2) | instskip(NEXT) | instid1(VALU_DEP_1)
	v_and_b32_e32 v26, 0x1fffff, v36
	v_add_nc_u32_e32 v36, v26, v39
                                        ; implicit-def: $vgpr26
	s_delay_alu instid0(VALU_DEP_3)
	v_cmpx_ne_u32_e64 v37, v38
	s_xor_b32 s13, exec_lo, s13
; %bb.2748:                             ;   in Loop: Header=BB6_2479 Depth=3
	s_delay_alu instid0(VALU_DEP_2) | instskip(SKIP_2) | instid1(VALU_DEP_2)
	v_cmp_lt_u32_e32 vcc_lo, 0xffffff, v36
	v_sub_nc_u32_e32 v26, v37, v38
	v_cndmask_b32_e64 v37, 0, 1, vcc_lo
	v_add_co_ci_u32_e32 v26, vcc_lo, 0, v26, vcc_lo
	s_delay_alu instid0(VALU_DEP_2)
	v_lshrrev_b32_e32 v36, v37, v36
; %bb.2749:                             ;   in Loop: Header=BB6_2479 Depth=3
	s_and_not1_saveexec_b32 s13, s13
; %bb.2750:                             ;   in Loop: Header=BB6_2479 Depth=3
	s_delay_alu instid0(VALU_DEP_1)
	v_bfe_u32 v26, v36, 23, 1
; %bb.2751:                             ;   in Loop: Header=BB6_2479 Depth=3
	s_or_b32 exec_lo, exec_lo, s13
	v_lshrrev_b32_e32 v36, 21, v36
	s_delay_alu instid0(VALU_DEP_2) | instskip(SKIP_2) | instid1(VALU_DEP_2)
	v_cmp_gt_i32_e32 vcc_lo, 32, v26
	v_lshrrev_b32_e32 v27, 24, v27
	v_min_i32_e32 v37, 31, v26
	v_dual_cndmask_b32 v36, 3, v36 :: v_dual_and_b32 v27, 0x80, v27
	s_delay_alu instid0(VALU_DEP_1) | instskip(SKIP_1) | instid1(VALU_DEP_2)
	v_or_b32_e32 v26, v26, v36
	v_and_b32_e32 v38, 3, v36
	v_cmp_ne_u32_e32 vcc_lo, 0, v26
	v_lshlrev_b32_e32 v37, 2, v37
	s_delay_alu instid0(VALU_DEP_1) | instskip(NEXT) | instid1(VALU_DEP_1)
	v_or3_b32 v27, v37, v27, v38
	v_cndmask_b32_e32 v26, 0, v27, vcc_lo
.LBB6_2752:                             ;   in Loop: Header=BB6_2479 Depth=3
	s_or_b32 exec_lo, exec_lo, s35
.LBB6_2753:                             ;   in Loop: Header=BB6_2479 Depth=3
	s_delay_alu instid0(SALU_CYCLE_1)
	s_or_b32 exec_lo, exec_lo, s34
	flat_load_u8 v27, v[16:17] offset:704 slc dlc
	s_mov_b32 s13, 0
	s_mov_b32 s35, exec_lo
                                        ; implicit-def: $sgpr34
	s_waitcnt vmcnt(0) lgkmcnt(0)
	v_cmpx_lt_i16_e32 0x7f, v27
	s_xor_b32 s35, exec_lo, s35
	s_cbranch_execnz .LBB6_2962
; %bb.2754:                             ;   in Loop: Header=BB6_2479 Depth=3
	s_or_saveexec_b32 s35, s35
	v_mov_b32_e32 v36, s34
	s_xor_b32 exec_lo, exec_lo, s35
	s_cbranch_execnz .LBB6_2965
.LBB6_2755:                             ;   in Loop: Header=BB6_2479 Depth=3
	s_or_b32 exec_lo, exec_lo, s35
	s_and_saveexec_b32 s34, s13
	s_cbranch_execz .LBB6_2757
.LBB6_2756:                             ;   in Loop: Header=BB6_2479 Depth=3
	v_and_b32_e32 v36, 0xffff, v27
	v_lshlrev_b32_e32 v27, 24, v27
	s_delay_alu instid0(VALU_DEP_2) | instskip(NEXT) | instid1(VALU_DEP_2)
	v_and_b32_e32 v37, 3, v36
	v_and_b32_e32 v27, 0x80000000, v27
	s_delay_alu instid0(VALU_DEP_2) | instskip(NEXT) | instid1(VALU_DEP_1)
	v_clz_i32_u32_e32 v38, v37
	v_min_u32_e32 v38, 32, v38
	s_delay_alu instid0(VALU_DEP_1) | instskip(SKIP_1) | instid1(VALU_DEP_2)
	v_subrev_nc_u32_e32 v39, 29, v38
	v_sub_nc_u32_e32 v38, 30, v38
	v_lshlrev_b32_e32 v39, v39, v36
	v_bfe_u32 v36, v36, 2, 5
	s_delay_alu instid0(VALU_DEP_2) | instskip(NEXT) | instid1(VALU_DEP_2)
	v_and_b32_e32 v39, 3, v39
	v_cmp_eq_u32_e32 vcc_lo, 0, v36
	s_delay_alu instid0(VALU_DEP_2) | instskip(NEXT) | instid1(VALU_DEP_1)
	v_dual_cndmask_b32 v36, v36, v38 :: v_dual_cndmask_b32 v37, v37, v39
	v_lshl_add_u32 v36, v36, 23, 0x37800000
	s_delay_alu instid0(VALU_DEP_2) | instskip(NEXT) | instid1(VALU_DEP_1)
	v_lshlrev_b32_e32 v37, 21, v37
	v_or3_b32 v36, v27, v36, v37
.LBB6_2757:                             ;   in Loop: Header=BB6_2479 Depth=3
	s_or_b32 exec_lo, exec_lo, s34
	s_delay_alu instid0(VALU_DEP_1) | instskip(NEXT) | instid1(VALU_DEP_1)
	v_mul_f32_e32 v36, v70, v36
	v_and_b32_e32 v27, 0x7f800000, v36
	s_delay_alu instid0(VALU_DEP_1)
	v_cmp_ne_u32_e32 vcc_lo, 0x7f800000, v27
	v_mov_b32_e32 v27, 0x80
	s_and_saveexec_b32 s34, vcc_lo
	s_cbranch_execz .LBB6_2765
; %bb.2758:                             ;   in Loop: Header=BB6_2479 Depth=3
	v_mov_b32_e32 v27, 0
	s_mov_b32 s35, exec_lo
	v_cmpx_ne_u32_e32 0, v36
	s_cbranch_execz .LBB6_2764
; %bb.2759:                             ;   in Loop: Header=BB6_2479 Depth=3
	v_bfe_u32 v27, v36, 23, 8
	s_delay_alu instid0(VALU_DEP_1) | instskip(SKIP_1) | instid1(VALU_DEP_2)
	v_sub_nc_u32_e32 v38, 0x70, v27
	v_cmp_gt_u32_e32 vcc_lo, 0x71, v27
	v_dual_cndmask_b32 v38, 0, v38 :: v_dual_and_b32 v37, 0x7fffff, v36
	s_delay_alu instid0(VALU_DEP_1) | instskip(SKIP_2) | instid1(VALU_DEP_4)
	v_or_b32_e32 v39, 0x800000, v37
	v_cmp_eq_u32_e32 vcc_lo, 0, v27
	v_add_nc_u32_e32 v27, 0xffffff91, v27
	v_cndmask_b32_e64 v38, v38, 0x6f, vcc_lo
	s_delay_alu instid0(VALU_DEP_2) | instskip(SKIP_1) | instid1(VALU_DEP_3)
	v_cndmask_b32_e64 v27, v27, 0xffffff92, vcc_lo
	v_cndmask_b32_e32 v37, v39, v37, vcc_lo
	v_lshl_add_u32 v39, 0x200000, v38, -1
	v_lshlrev_b32_e64 v50, v38, 0x100000
	s_delay_alu instid0(VALU_DEP_3) | instskip(SKIP_1) | instid1(VALU_DEP_4)
	v_lshrrev_b32_e32 v48, v38, v37
	v_add_nc_u32_e32 v38, v38, v27
	v_and_b32_e32 v37, v39, v37
	s_delay_alu instid0(VALU_DEP_3) | instskip(NEXT) | instid1(VALU_DEP_2)
	v_bfe_u32 v49, v48, 21, 1
	v_cmp_eq_u32_e64 s13, v37, v50
	s_delay_alu instid0(VALU_DEP_2) | instskip(NEXT) | instid1(VALU_DEP_1)
	v_add_nc_u32_e32 v39, -1, v49
	v_cndmask_b32_e64 v37, 0, v39, s13
	v_lshrrev_b32_e32 v39, 23, v48
	s_mov_b32 s13, exec_lo
	s_delay_alu instid0(VALU_DEP_2) | instskip(NEXT) | instid1(VALU_DEP_2)
	v_add_nc_u32_e32 v37, v37, v48
	v_xor_b32_e32 v39, 1, v39
	s_delay_alu instid0(VALU_DEP_2) | instskip(NEXT) | instid1(VALU_DEP_1)
	v_and_b32_e32 v27, 0x1fffff, v37
	v_add_nc_u32_e32 v37, v27, v48
                                        ; implicit-def: $vgpr27
	s_delay_alu instid0(VALU_DEP_3)
	v_cmpx_ne_u32_e64 v38, v39
	s_xor_b32 s13, exec_lo, s13
; %bb.2760:                             ;   in Loop: Header=BB6_2479 Depth=3
	s_delay_alu instid0(VALU_DEP_2) | instskip(SKIP_2) | instid1(VALU_DEP_2)
	v_cmp_lt_u32_e32 vcc_lo, 0xffffff, v37
	v_sub_nc_u32_e32 v27, v38, v39
	v_cndmask_b32_e64 v38, 0, 1, vcc_lo
	v_add_co_ci_u32_e32 v27, vcc_lo, 0, v27, vcc_lo
	s_delay_alu instid0(VALU_DEP_2)
	v_lshrrev_b32_e32 v37, v38, v37
; %bb.2761:                             ;   in Loop: Header=BB6_2479 Depth=3
	s_and_not1_saveexec_b32 s13, s13
; %bb.2762:                             ;   in Loop: Header=BB6_2479 Depth=3
	s_delay_alu instid0(VALU_DEP_1)
	v_bfe_u32 v27, v37, 23, 1
; %bb.2763:                             ;   in Loop: Header=BB6_2479 Depth=3
	s_or_b32 exec_lo, exec_lo, s13
	v_lshrrev_b32_e32 v37, 21, v37
	s_delay_alu instid0(VALU_DEP_2) | instskip(SKIP_2) | instid1(VALU_DEP_2)
	v_cmp_gt_i32_e32 vcc_lo, 32, v27
	v_lshrrev_b32_e32 v36, 24, v36
	v_min_i32_e32 v38, 31, v27
	v_dual_cndmask_b32 v37, 3, v37 :: v_dual_and_b32 v36, 0x80, v36
	s_delay_alu instid0(VALU_DEP_1) | instskip(SKIP_1) | instid1(VALU_DEP_2)
	v_or_b32_e32 v27, v27, v37
	v_and_b32_e32 v39, 3, v37
	v_cmp_ne_u32_e32 vcc_lo, 0, v27
	v_lshlrev_b32_e32 v38, 2, v38
	s_delay_alu instid0(VALU_DEP_1) | instskip(NEXT) | instid1(VALU_DEP_1)
	v_or3_b32 v36, v38, v36, v39
	v_cndmask_b32_e32 v27, 0, v36, vcc_lo
.LBB6_2764:                             ;   in Loop: Header=BB6_2479 Depth=3
	s_or_b32 exec_lo, exec_lo, s35
.LBB6_2765:                             ;   in Loop: Header=BB6_2479 Depth=3
	s_delay_alu instid0(SALU_CYCLE_1)
	s_or_b32 exec_lo, exec_lo, s34
	flat_load_u8 v36, v[16:17] offset:736 slc dlc
	s_mov_b32 s13, 0
	s_mov_b32 s35, exec_lo
                                        ; implicit-def: $sgpr34
	s_waitcnt vmcnt(0) lgkmcnt(0)
	v_cmpx_lt_i16_e32 0x7f, v36
	s_xor_b32 s35, exec_lo, s35
	s_cbranch_execnz .LBB6_2966
; %bb.2766:                             ;   in Loop: Header=BB6_2479 Depth=3
	s_or_saveexec_b32 s35, s35
	v_mov_b32_e32 v37, s34
	s_xor_b32 exec_lo, exec_lo, s35
	s_cbranch_execnz .LBB6_2969
.LBB6_2767:                             ;   in Loop: Header=BB6_2479 Depth=3
	s_or_b32 exec_lo, exec_lo, s35
	s_and_saveexec_b32 s34, s13
	s_cbranch_execz .LBB6_2769
.LBB6_2768:                             ;   in Loop: Header=BB6_2479 Depth=3
	v_and_b32_e32 v37, 0xffff, v36
	v_lshlrev_b32_e32 v36, 24, v36
	s_delay_alu instid0(VALU_DEP_2) | instskip(NEXT) | instid1(VALU_DEP_2)
	v_and_b32_e32 v38, 3, v37
	v_and_b32_e32 v36, 0x80000000, v36
	s_delay_alu instid0(VALU_DEP_2) | instskip(NEXT) | instid1(VALU_DEP_1)
	v_clz_i32_u32_e32 v39, v38
	v_min_u32_e32 v39, 32, v39
	s_delay_alu instid0(VALU_DEP_1) | instskip(SKIP_1) | instid1(VALU_DEP_2)
	v_subrev_nc_u32_e32 v48, 29, v39
	v_sub_nc_u32_e32 v39, 30, v39
	v_lshlrev_b32_e32 v48, v48, v37
	v_bfe_u32 v37, v37, 2, 5
	s_delay_alu instid0(VALU_DEP_2) | instskip(NEXT) | instid1(VALU_DEP_2)
	v_and_b32_e32 v48, 3, v48
	v_cmp_eq_u32_e32 vcc_lo, 0, v37
	s_delay_alu instid0(VALU_DEP_2) | instskip(NEXT) | instid1(VALU_DEP_1)
	v_dual_cndmask_b32 v37, v37, v39 :: v_dual_cndmask_b32 v38, v38, v48
	v_lshl_add_u32 v37, v37, 23, 0x37800000
	s_delay_alu instid0(VALU_DEP_2) | instskip(NEXT) | instid1(VALU_DEP_1)
	v_lshlrev_b32_e32 v38, 21, v38
	v_or3_b32 v37, v36, v37, v38
.LBB6_2769:                             ;   in Loop: Header=BB6_2479 Depth=3
	s_or_b32 exec_lo, exec_lo, s34
	s_delay_alu instid0(VALU_DEP_1) | instskip(NEXT) | instid1(VALU_DEP_1)
	v_mul_f32_e32 v37, v70, v37
	v_and_b32_e32 v36, 0x7f800000, v37
	s_delay_alu instid0(VALU_DEP_1)
	v_cmp_ne_u32_e32 vcc_lo, 0x7f800000, v36
	v_mov_b32_e32 v36, 0x80
	s_and_saveexec_b32 s34, vcc_lo
	s_cbranch_execz .LBB6_2777
; %bb.2770:                             ;   in Loop: Header=BB6_2479 Depth=3
	v_mov_b32_e32 v36, 0
	s_mov_b32 s35, exec_lo
	v_cmpx_ne_u32_e32 0, v37
	s_cbranch_execz .LBB6_2776
; %bb.2771:                             ;   in Loop: Header=BB6_2479 Depth=3
	v_bfe_u32 v36, v37, 23, 8
	s_delay_alu instid0(VALU_DEP_1) | instskip(SKIP_1) | instid1(VALU_DEP_2)
	v_sub_nc_u32_e32 v39, 0x70, v36
	v_cmp_gt_u32_e32 vcc_lo, 0x71, v36
	v_dual_cndmask_b32 v39, 0, v39 :: v_dual_and_b32 v38, 0x7fffff, v37
	s_delay_alu instid0(VALU_DEP_1) | instskip(SKIP_2) | instid1(VALU_DEP_4)
	v_or_b32_e32 v48, 0x800000, v38
	v_cmp_eq_u32_e32 vcc_lo, 0, v36
	v_add_nc_u32_e32 v36, 0xffffff91, v36
	v_cndmask_b32_e64 v39, v39, 0x6f, vcc_lo
	s_delay_alu instid0(VALU_DEP_2) | instskip(SKIP_1) | instid1(VALU_DEP_3)
	v_cndmask_b32_e64 v36, v36, 0xffffff92, vcc_lo
	v_cndmask_b32_e32 v38, v48, v38, vcc_lo
	v_lshl_add_u32 v48, 0x200000, v39, -1
	v_lshlrev_b32_e64 v51, v39, 0x100000
	s_delay_alu instid0(VALU_DEP_3) | instskip(SKIP_1) | instid1(VALU_DEP_4)
	v_lshrrev_b32_e32 v49, v39, v38
	v_add_nc_u32_e32 v39, v39, v36
	v_and_b32_e32 v38, v48, v38
	s_delay_alu instid0(VALU_DEP_3) | instskip(NEXT) | instid1(VALU_DEP_2)
	v_bfe_u32 v50, v49, 21, 1
	v_cmp_eq_u32_e64 s13, v38, v51
	s_delay_alu instid0(VALU_DEP_2) | instskip(NEXT) | instid1(VALU_DEP_1)
	v_add_nc_u32_e32 v48, -1, v50
	v_cndmask_b32_e64 v38, 0, v48, s13
	v_lshrrev_b32_e32 v48, 23, v49
	s_mov_b32 s13, exec_lo
	s_delay_alu instid0(VALU_DEP_2) | instskip(NEXT) | instid1(VALU_DEP_2)
	v_add_nc_u32_e32 v38, v38, v49
	v_xor_b32_e32 v48, 1, v48
	s_delay_alu instid0(VALU_DEP_2) | instskip(NEXT) | instid1(VALU_DEP_1)
	v_and_b32_e32 v36, 0x1fffff, v38
	v_add_nc_u32_e32 v38, v36, v49
                                        ; implicit-def: $vgpr36
	s_delay_alu instid0(VALU_DEP_3)
	v_cmpx_ne_u32_e64 v39, v48
	s_xor_b32 s13, exec_lo, s13
; %bb.2772:                             ;   in Loop: Header=BB6_2479 Depth=3
	s_delay_alu instid0(VALU_DEP_2) | instskip(SKIP_2) | instid1(VALU_DEP_2)
	v_cmp_lt_u32_e32 vcc_lo, 0xffffff, v38
	v_sub_nc_u32_e32 v36, v39, v48
	v_cndmask_b32_e64 v39, 0, 1, vcc_lo
	v_add_co_ci_u32_e32 v36, vcc_lo, 0, v36, vcc_lo
	s_delay_alu instid0(VALU_DEP_2)
	v_lshrrev_b32_e32 v38, v39, v38
; %bb.2773:                             ;   in Loop: Header=BB6_2479 Depth=3
	s_and_not1_saveexec_b32 s13, s13
; %bb.2774:                             ;   in Loop: Header=BB6_2479 Depth=3
	s_delay_alu instid0(VALU_DEP_1)
	v_bfe_u32 v36, v38, 23, 1
; %bb.2775:                             ;   in Loop: Header=BB6_2479 Depth=3
	s_or_b32 exec_lo, exec_lo, s13
	v_lshrrev_b32_e32 v38, 21, v38
	s_delay_alu instid0(VALU_DEP_2) | instskip(SKIP_2) | instid1(VALU_DEP_2)
	v_cmp_gt_i32_e32 vcc_lo, 32, v36
	v_lshrrev_b32_e32 v37, 24, v37
	v_min_i32_e32 v39, 31, v36
	v_dual_cndmask_b32 v38, 3, v38 :: v_dual_and_b32 v37, 0x80, v37
	s_delay_alu instid0(VALU_DEP_1) | instskip(SKIP_1) | instid1(VALU_DEP_2)
	v_or_b32_e32 v36, v36, v38
	v_and_b32_e32 v48, 3, v38
	v_cmp_ne_u32_e32 vcc_lo, 0, v36
	v_lshlrev_b32_e32 v39, 2, v39
	s_delay_alu instid0(VALU_DEP_1) | instskip(NEXT) | instid1(VALU_DEP_1)
	v_or3_b32 v37, v39, v37, v48
	v_cndmask_b32_e32 v36, 0, v37, vcc_lo
.LBB6_2776:                             ;   in Loop: Header=BB6_2479 Depth=3
	s_or_b32 exec_lo, exec_lo, s35
.LBB6_2777:                             ;   in Loop: Header=BB6_2479 Depth=3
	s_delay_alu instid0(SALU_CYCLE_1)
	s_or_b32 exec_lo, exec_lo, s34
	flat_load_u8 v37, v[16:17] offset:768 slc dlc
	s_mov_b32 s13, 0
	s_mov_b32 s35, exec_lo
                                        ; implicit-def: $sgpr34
	s_waitcnt vmcnt(0) lgkmcnt(0)
	v_cmpx_lt_i16_e32 0x7f, v37
	s_xor_b32 s35, exec_lo, s35
	s_cbranch_execnz .LBB6_2970
; %bb.2778:                             ;   in Loop: Header=BB6_2479 Depth=3
	s_or_saveexec_b32 s35, s35
	v_mov_b32_e32 v38, s34
	s_xor_b32 exec_lo, exec_lo, s35
	s_cbranch_execnz .LBB6_2973
.LBB6_2779:                             ;   in Loop: Header=BB6_2479 Depth=3
	s_or_b32 exec_lo, exec_lo, s35
	s_and_saveexec_b32 s34, s13
	s_cbranch_execz .LBB6_2781
.LBB6_2780:                             ;   in Loop: Header=BB6_2479 Depth=3
	v_and_b32_e32 v38, 0xffff, v37
	v_lshlrev_b32_e32 v37, 24, v37
	s_delay_alu instid0(VALU_DEP_2) | instskip(NEXT) | instid1(VALU_DEP_2)
	v_and_b32_e32 v39, 3, v38
	v_and_b32_e32 v37, 0x80000000, v37
	s_delay_alu instid0(VALU_DEP_2) | instskip(NEXT) | instid1(VALU_DEP_1)
	v_clz_i32_u32_e32 v48, v39
	v_min_u32_e32 v48, 32, v48
	s_delay_alu instid0(VALU_DEP_1) | instskip(SKIP_1) | instid1(VALU_DEP_2)
	v_subrev_nc_u32_e32 v49, 29, v48
	v_sub_nc_u32_e32 v48, 30, v48
	v_lshlrev_b32_e32 v49, v49, v38
	v_bfe_u32 v38, v38, 2, 5
	s_delay_alu instid0(VALU_DEP_2) | instskip(NEXT) | instid1(VALU_DEP_2)
	v_and_b32_e32 v49, 3, v49
	v_cmp_eq_u32_e32 vcc_lo, 0, v38
	s_delay_alu instid0(VALU_DEP_2) | instskip(NEXT) | instid1(VALU_DEP_1)
	v_dual_cndmask_b32 v38, v38, v48 :: v_dual_cndmask_b32 v39, v39, v49
	v_lshl_add_u32 v38, v38, 23, 0x37800000
	s_delay_alu instid0(VALU_DEP_2) | instskip(NEXT) | instid1(VALU_DEP_1)
	v_lshlrev_b32_e32 v39, 21, v39
	v_or3_b32 v38, v37, v38, v39
.LBB6_2781:                             ;   in Loop: Header=BB6_2479 Depth=3
	s_or_b32 exec_lo, exec_lo, s34
	s_delay_alu instid0(VALU_DEP_1) | instskip(NEXT) | instid1(VALU_DEP_1)
	v_mul_f32_e32 v38, v70, v38
	v_and_b32_e32 v37, 0x7f800000, v38
	s_delay_alu instid0(VALU_DEP_1)
	v_cmp_ne_u32_e32 vcc_lo, 0x7f800000, v37
	v_mov_b32_e32 v37, 0x80
	s_and_saveexec_b32 s34, vcc_lo
	s_cbranch_execz .LBB6_2789
; %bb.2782:                             ;   in Loop: Header=BB6_2479 Depth=3
	v_mov_b32_e32 v37, 0
	s_mov_b32 s35, exec_lo
	v_cmpx_ne_u32_e32 0, v38
	s_cbranch_execz .LBB6_2788
; %bb.2783:                             ;   in Loop: Header=BB6_2479 Depth=3
	v_bfe_u32 v37, v38, 23, 8
	s_delay_alu instid0(VALU_DEP_1) | instskip(SKIP_1) | instid1(VALU_DEP_2)
	v_sub_nc_u32_e32 v48, 0x70, v37
	v_cmp_gt_u32_e32 vcc_lo, 0x71, v37
	v_dual_cndmask_b32 v48, 0, v48 :: v_dual_and_b32 v39, 0x7fffff, v38
	s_delay_alu instid0(VALU_DEP_1) | instskip(SKIP_2) | instid1(VALU_DEP_4)
	v_or_b32_e32 v49, 0x800000, v39
	v_cmp_eq_u32_e32 vcc_lo, 0, v37
	v_add_nc_u32_e32 v37, 0xffffff91, v37
	v_cndmask_b32_e64 v48, v48, 0x6f, vcc_lo
	s_delay_alu instid0(VALU_DEP_2) | instskip(SKIP_1) | instid1(VALU_DEP_3)
	v_cndmask_b32_e64 v37, v37, 0xffffff92, vcc_lo
	v_cndmask_b32_e32 v39, v49, v39, vcc_lo
	v_lshl_add_u32 v49, 0x200000, v48, -1
	v_lshlrev_b32_e64 v52, v48, 0x100000
	s_delay_alu instid0(VALU_DEP_3) | instskip(SKIP_1) | instid1(VALU_DEP_4)
	v_lshrrev_b32_e32 v50, v48, v39
	v_add_nc_u32_e32 v48, v48, v37
	v_and_b32_e32 v39, v49, v39
	s_delay_alu instid0(VALU_DEP_3) | instskip(NEXT) | instid1(VALU_DEP_2)
	v_bfe_u32 v51, v50, 21, 1
	v_cmp_eq_u32_e64 s13, v39, v52
	s_delay_alu instid0(VALU_DEP_2) | instskip(NEXT) | instid1(VALU_DEP_1)
	v_add_nc_u32_e32 v49, -1, v51
	v_cndmask_b32_e64 v39, 0, v49, s13
	v_lshrrev_b32_e32 v49, 23, v50
	s_mov_b32 s13, exec_lo
	s_delay_alu instid0(VALU_DEP_2) | instskip(NEXT) | instid1(VALU_DEP_2)
	v_add_nc_u32_e32 v39, v39, v50
	v_xor_b32_e32 v49, 1, v49
	s_delay_alu instid0(VALU_DEP_2) | instskip(NEXT) | instid1(VALU_DEP_1)
	v_and_b32_e32 v37, 0x1fffff, v39
	v_add_nc_u32_e32 v39, v37, v50
                                        ; implicit-def: $vgpr37
	s_delay_alu instid0(VALU_DEP_3)
	v_cmpx_ne_u32_e64 v48, v49
	s_xor_b32 s13, exec_lo, s13
; %bb.2784:                             ;   in Loop: Header=BB6_2479 Depth=3
	s_delay_alu instid0(VALU_DEP_2) | instskip(SKIP_2) | instid1(VALU_DEP_2)
	v_cmp_lt_u32_e32 vcc_lo, 0xffffff, v39
	v_sub_nc_u32_e32 v37, v48, v49
	v_cndmask_b32_e64 v48, 0, 1, vcc_lo
	v_add_co_ci_u32_e32 v37, vcc_lo, 0, v37, vcc_lo
	s_delay_alu instid0(VALU_DEP_2)
	v_lshrrev_b32_e32 v39, v48, v39
; %bb.2785:                             ;   in Loop: Header=BB6_2479 Depth=3
	s_and_not1_saveexec_b32 s13, s13
; %bb.2786:                             ;   in Loop: Header=BB6_2479 Depth=3
	s_delay_alu instid0(VALU_DEP_1)
	v_bfe_u32 v37, v39, 23, 1
; %bb.2787:                             ;   in Loop: Header=BB6_2479 Depth=3
	s_or_b32 exec_lo, exec_lo, s13
	v_lshrrev_b32_e32 v39, 21, v39
	s_delay_alu instid0(VALU_DEP_2) | instskip(SKIP_2) | instid1(VALU_DEP_2)
	v_cmp_gt_i32_e32 vcc_lo, 32, v37
	v_lshrrev_b32_e32 v38, 24, v38
	v_min_i32_e32 v48, 31, v37
	v_dual_cndmask_b32 v39, 3, v39 :: v_dual_and_b32 v38, 0x80, v38
	s_delay_alu instid0(VALU_DEP_1) | instskip(SKIP_1) | instid1(VALU_DEP_2)
	v_or_b32_e32 v37, v37, v39
	v_and_b32_e32 v49, 3, v39
	v_cmp_ne_u32_e32 vcc_lo, 0, v37
	v_lshlrev_b32_e32 v48, 2, v48
	s_delay_alu instid0(VALU_DEP_1) | instskip(NEXT) | instid1(VALU_DEP_1)
	v_or3_b32 v38, v48, v38, v49
	v_cndmask_b32_e32 v37, 0, v38, vcc_lo
.LBB6_2788:                             ;   in Loop: Header=BB6_2479 Depth=3
	s_or_b32 exec_lo, exec_lo, s35
.LBB6_2789:                             ;   in Loop: Header=BB6_2479 Depth=3
	s_delay_alu instid0(SALU_CYCLE_1)
	s_or_b32 exec_lo, exec_lo, s34
	flat_load_u8 v38, v[16:17] offset:800 slc dlc
	s_mov_b32 s13, 0
	s_mov_b32 s35, exec_lo
                                        ; implicit-def: $sgpr34
	s_waitcnt vmcnt(0) lgkmcnt(0)
	v_cmpx_lt_i16_e32 0x7f, v38
	s_xor_b32 s35, exec_lo, s35
	s_cbranch_execnz .LBB6_2974
; %bb.2790:                             ;   in Loop: Header=BB6_2479 Depth=3
	s_or_saveexec_b32 s35, s35
	v_mov_b32_e32 v39, s34
	s_xor_b32 exec_lo, exec_lo, s35
	s_cbranch_execnz .LBB6_2977
.LBB6_2791:                             ;   in Loop: Header=BB6_2479 Depth=3
	s_or_b32 exec_lo, exec_lo, s35
	s_and_saveexec_b32 s34, s13
	s_cbranch_execz .LBB6_2793
.LBB6_2792:                             ;   in Loop: Header=BB6_2479 Depth=3
	v_and_b32_e32 v39, 0xffff, v38
	v_lshlrev_b32_e32 v38, 24, v38
	s_delay_alu instid0(VALU_DEP_2) | instskip(NEXT) | instid1(VALU_DEP_2)
	v_and_b32_e32 v48, 3, v39
	v_and_b32_e32 v38, 0x80000000, v38
	s_delay_alu instid0(VALU_DEP_2) | instskip(NEXT) | instid1(VALU_DEP_1)
	v_clz_i32_u32_e32 v49, v48
	v_min_u32_e32 v49, 32, v49
	s_delay_alu instid0(VALU_DEP_1) | instskip(SKIP_1) | instid1(VALU_DEP_2)
	v_subrev_nc_u32_e32 v50, 29, v49
	v_sub_nc_u32_e32 v49, 30, v49
	v_lshlrev_b32_e32 v50, v50, v39
	v_bfe_u32 v39, v39, 2, 5
	s_delay_alu instid0(VALU_DEP_2) | instskip(NEXT) | instid1(VALU_DEP_2)
	v_and_b32_e32 v50, 3, v50
	v_cmp_eq_u32_e32 vcc_lo, 0, v39
	s_delay_alu instid0(VALU_DEP_2) | instskip(NEXT) | instid1(VALU_DEP_1)
	v_dual_cndmask_b32 v39, v39, v49 :: v_dual_cndmask_b32 v48, v48, v50
	v_lshl_add_u32 v39, v39, 23, 0x37800000
	s_delay_alu instid0(VALU_DEP_2) | instskip(NEXT) | instid1(VALU_DEP_1)
	v_lshlrev_b32_e32 v48, 21, v48
	v_or3_b32 v39, v38, v39, v48
.LBB6_2793:                             ;   in Loop: Header=BB6_2479 Depth=3
	s_or_b32 exec_lo, exec_lo, s34
	s_delay_alu instid0(VALU_DEP_1) | instskip(NEXT) | instid1(VALU_DEP_1)
	v_mul_f32_e32 v39, v70, v39
	v_and_b32_e32 v38, 0x7f800000, v39
	s_delay_alu instid0(VALU_DEP_1)
	v_cmp_ne_u32_e32 vcc_lo, 0x7f800000, v38
	v_mov_b32_e32 v38, 0x80
	s_and_saveexec_b32 s34, vcc_lo
	s_cbranch_execz .LBB6_2801
; %bb.2794:                             ;   in Loop: Header=BB6_2479 Depth=3
	v_mov_b32_e32 v38, 0
	s_mov_b32 s35, exec_lo
	v_cmpx_ne_u32_e32 0, v39
	s_cbranch_execz .LBB6_2800
; %bb.2795:                             ;   in Loop: Header=BB6_2479 Depth=3
	v_bfe_u32 v38, v39, 23, 8
	s_delay_alu instid0(VALU_DEP_1) | instskip(SKIP_1) | instid1(VALU_DEP_2)
	v_sub_nc_u32_e32 v49, 0x70, v38
	v_cmp_gt_u32_e32 vcc_lo, 0x71, v38
	v_dual_cndmask_b32 v49, 0, v49 :: v_dual_and_b32 v48, 0x7fffff, v39
	s_delay_alu instid0(VALU_DEP_1) | instskip(SKIP_2) | instid1(VALU_DEP_4)
	v_or_b32_e32 v50, 0x800000, v48
	v_cmp_eq_u32_e32 vcc_lo, 0, v38
	v_add_nc_u32_e32 v38, 0xffffff91, v38
	v_cndmask_b32_e64 v49, v49, 0x6f, vcc_lo
	s_delay_alu instid0(VALU_DEP_2) | instskip(SKIP_1) | instid1(VALU_DEP_3)
	v_cndmask_b32_e64 v38, v38, 0xffffff92, vcc_lo
	v_cndmask_b32_e32 v48, v50, v48, vcc_lo
	v_lshl_add_u32 v51, 0x200000, v49, -1
	v_lshlrev_b32_e64 v53, v49, 0x100000
	s_delay_alu instid0(VALU_DEP_3) | instskip(SKIP_1) | instid1(VALU_DEP_4)
	v_lshrrev_b32_e32 v50, v49, v48
	v_add_nc_u32_e32 v49, v49, v38
	v_and_b32_e32 v48, v51, v48
	s_delay_alu instid0(VALU_DEP_3) | instskip(NEXT) | instid1(VALU_DEP_2)
	v_bfe_u32 v52, v50, 21, 1
	v_cmp_eq_u32_e64 s13, v48, v53
	s_delay_alu instid0(VALU_DEP_2) | instskip(NEXT) | instid1(VALU_DEP_1)
	v_add_nc_u32_e32 v51, -1, v52
	v_cndmask_b32_e64 v48, 0, v51, s13
	v_lshrrev_b32_e32 v51, 23, v50
	s_mov_b32 s13, exec_lo
	s_delay_alu instid0(VALU_DEP_2) | instskip(NEXT) | instid1(VALU_DEP_2)
	v_add_nc_u32_e32 v48, v48, v50
	v_xor_b32_e32 v52, 1, v51
	s_delay_alu instid0(VALU_DEP_2) | instskip(NEXT) | instid1(VALU_DEP_1)
	v_and_b32_e32 v38, 0x1fffff, v48
	v_add_nc_u32_e32 v48, v38, v50
                                        ; implicit-def: $vgpr38
	s_delay_alu instid0(VALU_DEP_3)
	v_cmpx_ne_u32_e64 v49, v52
	s_xor_b32 s13, exec_lo, s13
; %bb.2796:                             ;   in Loop: Header=BB6_2479 Depth=3
	s_delay_alu instid0(VALU_DEP_2) | instskip(SKIP_2) | instid1(VALU_DEP_2)
	v_cmp_lt_u32_e32 vcc_lo, 0xffffff, v48
	v_sub_nc_u32_e32 v38, v49, v52
	v_cndmask_b32_e64 v49, 0, 1, vcc_lo
	v_add_co_ci_u32_e32 v38, vcc_lo, 0, v38, vcc_lo
	s_delay_alu instid0(VALU_DEP_2)
	v_lshrrev_b32_e32 v48, v49, v48
; %bb.2797:                             ;   in Loop: Header=BB6_2479 Depth=3
	s_and_not1_saveexec_b32 s13, s13
; %bb.2798:                             ;   in Loop: Header=BB6_2479 Depth=3
	s_delay_alu instid0(VALU_DEP_1)
	v_bfe_u32 v38, v48, 23, 1
; %bb.2799:                             ;   in Loop: Header=BB6_2479 Depth=3
	s_or_b32 exec_lo, exec_lo, s13
	v_lshrrev_b32_e32 v48, 21, v48
	s_delay_alu instid0(VALU_DEP_2) | instskip(SKIP_2) | instid1(VALU_DEP_2)
	v_cmp_gt_i32_e32 vcc_lo, 32, v38
	v_lshrrev_b32_e32 v39, 24, v39
	v_min_i32_e32 v49, 31, v38
	v_dual_cndmask_b32 v48, 3, v48 :: v_dual_and_b32 v39, 0x80, v39
	s_delay_alu instid0(VALU_DEP_1) | instskip(SKIP_1) | instid1(VALU_DEP_2)
	v_or_b32_e32 v38, v38, v48
	v_and_b32_e32 v50, 3, v48
	v_cmp_ne_u32_e32 vcc_lo, 0, v38
	v_lshlrev_b32_e32 v49, 2, v49
	s_delay_alu instid0(VALU_DEP_1) | instskip(NEXT) | instid1(VALU_DEP_1)
	v_or3_b32 v39, v49, v39, v50
	v_cndmask_b32_e32 v38, 0, v39, vcc_lo
.LBB6_2800:                             ;   in Loop: Header=BB6_2479 Depth=3
	s_or_b32 exec_lo, exec_lo, s35
.LBB6_2801:                             ;   in Loop: Header=BB6_2479 Depth=3
	s_delay_alu instid0(SALU_CYCLE_1)
	s_or_b32 exec_lo, exec_lo, s34
	flat_load_u8 v39, v[16:17] offset:832 slc dlc
	s_mov_b32 s13, 0
	s_mov_b32 s35, exec_lo
                                        ; implicit-def: $sgpr34
	s_waitcnt vmcnt(0) lgkmcnt(0)
	v_cmpx_lt_i16_e32 0x7f, v39
	s_xor_b32 s35, exec_lo, s35
	s_cbranch_execnz .LBB6_2978
; %bb.2802:                             ;   in Loop: Header=BB6_2479 Depth=3
	s_or_saveexec_b32 s35, s35
	v_mov_b32_e32 v48, s34
	s_xor_b32 exec_lo, exec_lo, s35
	s_cbranch_execnz .LBB6_2981
.LBB6_2803:                             ;   in Loop: Header=BB6_2479 Depth=3
	s_or_b32 exec_lo, exec_lo, s35
	s_and_saveexec_b32 s34, s13
	s_cbranch_execz .LBB6_2805
.LBB6_2804:                             ;   in Loop: Header=BB6_2479 Depth=3
	v_and_b32_e32 v48, 0xffff, v39
	v_lshlrev_b32_e32 v39, 24, v39
	s_delay_alu instid0(VALU_DEP_2) | instskip(NEXT) | instid1(VALU_DEP_2)
	v_and_b32_e32 v49, 3, v48
	v_and_b32_e32 v39, 0x80000000, v39
	s_delay_alu instid0(VALU_DEP_2) | instskip(NEXT) | instid1(VALU_DEP_1)
	v_clz_i32_u32_e32 v50, v49
	v_min_u32_e32 v50, 32, v50
	s_delay_alu instid0(VALU_DEP_1) | instskip(SKIP_1) | instid1(VALU_DEP_2)
	v_subrev_nc_u32_e32 v51, 29, v50
	v_sub_nc_u32_e32 v50, 30, v50
	v_lshlrev_b32_e32 v51, v51, v48
	v_bfe_u32 v48, v48, 2, 5
	s_delay_alu instid0(VALU_DEP_2) | instskip(NEXT) | instid1(VALU_DEP_2)
	v_and_b32_e32 v51, 3, v51
	v_cmp_eq_u32_e32 vcc_lo, 0, v48
	s_delay_alu instid0(VALU_DEP_2) | instskip(NEXT) | instid1(VALU_DEP_1)
	v_dual_cndmask_b32 v48, v48, v50 :: v_dual_cndmask_b32 v49, v49, v51
	v_lshl_add_u32 v48, v48, 23, 0x37800000
	s_delay_alu instid0(VALU_DEP_2) | instskip(NEXT) | instid1(VALU_DEP_1)
	v_lshlrev_b32_e32 v49, 21, v49
	v_or3_b32 v48, v39, v48, v49
.LBB6_2805:                             ;   in Loop: Header=BB6_2479 Depth=3
	s_or_b32 exec_lo, exec_lo, s34
	s_delay_alu instid0(VALU_DEP_1) | instskip(NEXT) | instid1(VALU_DEP_1)
	v_mul_f32_e32 v48, v70, v48
	v_and_b32_e32 v39, 0x7f800000, v48
	s_delay_alu instid0(VALU_DEP_1)
	v_cmp_ne_u32_e32 vcc_lo, 0x7f800000, v39
	v_mov_b32_e32 v39, 0x80
	s_and_saveexec_b32 s34, vcc_lo
	s_cbranch_execz .LBB6_2813
; %bb.2806:                             ;   in Loop: Header=BB6_2479 Depth=3
	v_mov_b32_e32 v39, 0
	s_mov_b32 s35, exec_lo
	v_cmpx_ne_u32_e32 0, v48
	s_cbranch_execz .LBB6_2812
; %bb.2807:                             ;   in Loop: Header=BB6_2479 Depth=3
	v_bfe_u32 v39, v48, 23, 8
	s_delay_alu instid0(VALU_DEP_1) | instskip(SKIP_1) | instid1(VALU_DEP_2)
	v_sub_nc_u32_e32 v50, 0x70, v39
	v_cmp_gt_u32_e32 vcc_lo, 0x71, v39
	v_dual_cndmask_b32 v50, 0, v50 :: v_dual_and_b32 v49, 0x7fffff, v48
	s_delay_alu instid0(VALU_DEP_1) | instskip(SKIP_2) | instid1(VALU_DEP_4)
	v_or_b32_e32 v51, 0x800000, v49
	v_cmp_eq_u32_e32 vcc_lo, 0, v39
	v_add_nc_u32_e32 v39, 0xffffff91, v39
	v_cndmask_b32_e64 v50, v50, 0x6f, vcc_lo
	s_delay_alu instid0(VALU_DEP_2) | instskip(SKIP_1) | instid1(VALU_DEP_3)
	v_cndmask_b32_e64 v39, v39, 0xffffff92, vcc_lo
	v_cndmask_b32_e32 v49, v51, v49, vcc_lo
	v_lshl_add_u32 v52, 0x200000, v50, -1
	v_lshlrev_b32_e64 v54, v50, 0x100000
	s_delay_alu instid0(VALU_DEP_3) | instskip(NEXT) | instid1(VALU_DEP_3)
	v_lshrrev_b32_e32 v51, v50, v49
	v_and_b32_e32 v49, v52, v49
	s_delay_alu instid0(VALU_DEP_2) | instskip(NEXT) | instid1(VALU_DEP_2)
	v_bfe_u32 v53, v51, 21, 1
	v_cmp_eq_u32_e64 s13, v49, v54
	s_delay_alu instid0(VALU_DEP_2) | instskip(SKIP_1) | instid1(VALU_DEP_2)
	v_add_nc_u32_e32 v52, -1, v53
	v_lshrrev_b32_e32 v53, 23, v51
	v_cndmask_b32_e64 v49, 0, v52, s13
	v_add_nc_u32_e32 v52, v50, v39
	s_delay_alu instid0(VALU_DEP_3) | instskip(SKIP_1) | instid1(VALU_DEP_3)
	v_xor_b32_e32 v53, 1, v53
	s_mov_b32 s13, exec_lo
	v_add_nc_u32_e32 v49, v49, v51
	s_delay_alu instid0(VALU_DEP_1) | instskip(NEXT) | instid1(VALU_DEP_1)
	v_and_b32_e32 v39, 0x1fffff, v49
	v_add_nc_u32_e32 v49, v39, v51
                                        ; implicit-def: $vgpr39
	v_cmpx_ne_u32_e64 v52, v53
	s_xor_b32 s13, exec_lo, s13
; %bb.2808:                             ;   in Loop: Header=BB6_2479 Depth=3
	s_delay_alu instid0(VALU_DEP_2) | instskip(SKIP_2) | instid1(VALU_DEP_2)
	v_cmp_lt_u32_e32 vcc_lo, 0xffffff, v49
	v_sub_nc_u32_e32 v39, v52, v53
	v_cndmask_b32_e64 v50, 0, 1, vcc_lo
	v_add_co_ci_u32_e32 v39, vcc_lo, 0, v39, vcc_lo
	s_delay_alu instid0(VALU_DEP_2)
	v_lshrrev_b32_e32 v49, v50, v49
; %bb.2809:                             ;   in Loop: Header=BB6_2479 Depth=3
	s_and_not1_saveexec_b32 s13, s13
; %bb.2810:                             ;   in Loop: Header=BB6_2479 Depth=3
	s_delay_alu instid0(VALU_DEP_1)
	v_bfe_u32 v39, v49, 23, 1
; %bb.2811:                             ;   in Loop: Header=BB6_2479 Depth=3
	s_or_b32 exec_lo, exec_lo, s13
	v_lshrrev_b32_e32 v49, 21, v49
	s_delay_alu instid0(VALU_DEP_2) | instskip(SKIP_2) | instid1(VALU_DEP_2)
	v_cmp_gt_i32_e32 vcc_lo, 32, v39
	v_lshrrev_b32_e32 v48, 24, v48
	v_min_i32_e32 v50, 31, v39
	v_dual_cndmask_b32 v49, 3, v49 :: v_dual_and_b32 v48, 0x80, v48
	s_delay_alu instid0(VALU_DEP_1) | instskip(SKIP_1) | instid1(VALU_DEP_2)
	v_or_b32_e32 v39, v39, v49
	v_and_b32_e32 v51, 3, v49
	v_cmp_ne_u32_e32 vcc_lo, 0, v39
	v_lshlrev_b32_e32 v50, 2, v50
	s_delay_alu instid0(VALU_DEP_1) | instskip(NEXT) | instid1(VALU_DEP_1)
	v_or3_b32 v48, v50, v48, v51
	v_cndmask_b32_e32 v39, 0, v48, vcc_lo
.LBB6_2812:                             ;   in Loop: Header=BB6_2479 Depth=3
	s_or_b32 exec_lo, exec_lo, s35
.LBB6_2813:                             ;   in Loop: Header=BB6_2479 Depth=3
	s_delay_alu instid0(SALU_CYCLE_1)
	s_or_b32 exec_lo, exec_lo, s34
	flat_load_u8 v48, v[16:17] offset:864 slc dlc
	s_mov_b32 s13, 0
	s_mov_b32 s35, exec_lo
                                        ; implicit-def: $sgpr34
	s_waitcnt vmcnt(0) lgkmcnt(0)
	v_cmpx_lt_i16_e32 0x7f, v48
	s_xor_b32 s35, exec_lo, s35
	s_cbranch_execnz .LBB6_2982
; %bb.2814:                             ;   in Loop: Header=BB6_2479 Depth=3
	s_or_saveexec_b32 s35, s35
	v_mov_b32_e32 v49, s34
	s_xor_b32 exec_lo, exec_lo, s35
	s_cbranch_execnz .LBB6_2985
.LBB6_2815:                             ;   in Loop: Header=BB6_2479 Depth=3
	s_or_b32 exec_lo, exec_lo, s35
	s_and_saveexec_b32 s34, s13
	s_cbranch_execz .LBB6_2817
.LBB6_2816:                             ;   in Loop: Header=BB6_2479 Depth=3
	v_and_b32_e32 v49, 0xffff, v48
	v_lshlrev_b32_e32 v48, 24, v48
	s_delay_alu instid0(VALU_DEP_2) | instskip(NEXT) | instid1(VALU_DEP_2)
	v_and_b32_e32 v50, 3, v49
	v_and_b32_e32 v48, 0x80000000, v48
	s_delay_alu instid0(VALU_DEP_2) | instskip(NEXT) | instid1(VALU_DEP_1)
	v_clz_i32_u32_e32 v51, v50
	v_min_u32_e32 v51, 32, v51
	s_delay_alu instid0(VALU_DEP_1) | instskip(SKIP_1) | instid1(VALU_DEP_2)
	v_subrev_nc_u32_e32 v52, 29, v51
	v_sub_nc_u32_e32 v51, 30, v51
	v_lshlrev_b32_e32 v52, v52, v49
	v_bfe_u32 v49, v49, 2, 5
	s_delay_alu instid0(VALU_DEP_2) | instskip(NEXT) | instid1(VALU_DEP_2)
	v_and_b32_e32 v52, 3, v52
	v_cmp_eq_u32_e32 vcc_lo, 0, v49
	s_delay_alu instid0(VALU_DEP_2) | instskip(NEXT) | instid1(VALU_DEP_1)
	v_dual_cndmask_b32 v49, v49, v51 :: v_dual_cndmask_b32 v50, v50, v52
	v_lshl_add_u32 v49, v49, 23, 0x37800000
	s_delay_alu instid0(VALU_DEP_2) | instskip(NEXT) | instid1(VALU_DEP_1)
	v_lshlrev_b32_e32 v50, 21, v50
	v_or3_b32 v49, v48, v49, v50
.LBB6_2817:                             ;   in Loop: Header=BB6_2479 Depth=3
	s_or_b32 exec_lo, exec_lo, s34
	s_delay_alu instid0(VALU_DEP_1) | instskip(NEXT) | instid1(VALU_DEP_1)
	v_mul_f32_e32 v49, v70, v49
	v_and_b32_e32 v48, 0x7f800000, v49
	s_delay_alu instid0(VALU_DEP_1)
	v_cmp_ne_u32_e32 vcc_lo, 0x7f800000, v48
	v_mov_b32_e32 v48, 0x80
	s_and_saveexec_b32 s34, vcc_lo
	s_cbranch_execz .LBB6_2825
; %bb.2818:                             ;   in Loop: Header=BB6_2479 Depth=3
	v_mov_b32_e32 v48, 0
	s_mov_b32 s35, exec_lo
	v_cmpx_ne_u32_e32 0, v49
	s_cbranch_execz .LBB6_2824
; %bb.2819:                             ;   in Loop: Header=BB6_2479 Depth=3
	v_bfe_u32 v48, v49, 23, 8
	s_delay_alu instid0(VALU_DEP_1) | instskip(SKIP_1) | instid1(VALU_DEP_2)
	v_sub_nc_u32_e32 v51, 0x70, v48
	v_cmp_gt_u32_e32 vcc_lo, 0x71, v48
	v_dual_cndmask_b32 v51, 0, v51 :: v_dual_and_b32 v50, 0x7fffff, v49
	s_delay_alu instid0(VALU_DEP_1) | instskip(SKIP_2) | instid1(VALU_DEP_4)
	v_or_b32_e32 v52, 0x800000, v50
	v_cmp_eq_u32_e32 vcc_lo, 0, v48
	v_add_nc_u32_e32 v48, 0xffffff91, v48
	v_cndmask_b32_e64 v51, v51, 0x6f, vcc_lo
	s_delay_alu instid0(VALU_DEP_2) | instskip(SKIP_1) | instid1(VALU_DEP_3)
	v_cndmask_b32_e64 v48, v48, 0xffffff92, vcc_lo
	v_cndmask_b32_e32 v50, v52, v50, vcc_lo
	v_lshl_add_u32 v53, 0x200000, v51, -1
	v_lshlrev_b32_e64 v55, v51, 0x100000
	s_delay_alu instid0(VALU_DEP_3) | instskip(NEXT) | instid1(VALU_DEP_3)
	v_lshrrev_b32_e32 v52, v51, v50
	v_and_b32_e32 v50, v53, v50
	s_delay_alu instid0(VALU_DEP_2) | instskip(NEXT) | instid1(VALU_DEP_2)
	v_bfe_u32 v54, v52, 21, 1
	v_cmp_eq_u32_e64 s13, v50, v55
	s_delay_alu instid0(VALU_DEP_2) | instskip(SKIP_1) | instid1(VALU_DEP_2)
	v_add_nc_u32_e32 v53, -1, v54
	v_lshrrev_b32_e32 v54, 23, v52
	v_cndmask_b32_e64 v50, 0, v53, s13
	v_add_nc_u32_e32 v53, v51, v48
	s_delay_alu instid0(VALU_DEP_3) | instskip(SKIP_1) | instid1(VALU_DEP_3)
	v_xor_b32_e32 v54, 1, v54
	s_mov_b32 s13, exec_lo
	v_add_nc_u32_e32 v50, v50, v52
	s_delay_alu instid0(VALU_DEP_1) | instskip(NEXT) | instid1(VALU_DEP_1)
	v_and_b32_e32 v48, 0x1fffff, v50
	v_add_nc_u32_e32 v52, v48, v52
                                        ; implicit-def: $vgpr48
	v_cmpx_ne_u32_e64 v53, v54
	s_xor_b32 s13, exec_lo, s13
; %bb.2820:                             ;   in Loop: Header=BB6_2479 Depth=3
	s_delay_alu instid0(VALU_DEP_2) | instskip(SKIP_2) | instid1(VALU_DEP_2)
	v_cmp_lt_u32_e32 vcc_lo, 0xffffff, v52
	v_sub_nc_u32_e32 v48, v53, v54
	v_cndmask_b32_e64 v50, 0, 1, vcc_lo
	v_add_co_ci_u32_e32 v48, vcc_lo, 0, v48, vcc_lo
	s_delay_alu instid0(VALU_DEP_2)
	v_lshrrev_b32_e32 v52, v50, v52
; %bb.2821:                             ;   in Loop: Header=BB6_2479 Depth=3
	s_and_not1_saveexec_b32 s13, s13
; %bb.2822:                             ;   in Loop: Header=BB6_2479 Depth=3
	s_delay_alu instid0(VALU_DEP_1)
	v_bfe_u32 v48, v52, 23, 1
; %bb.2823:                             ;   in Loop: Header=BB6_2479 Depth=3
	s_or_b32 exec_lo, exec_lo, s13
	v_lshrrev_b32_e32 v50, 21, v52
	s_delay_alu instid0(VALU_DEP_2) | instskip(SKIP_2) | instid1(VALU_DEP_2)
	v_cmp_gt_i32_e32 vcc_lo, 32, v48
	v_lshrrev_b32_e32 v49, 24, v49
	v_min_i32_e32 v51, 31, v48
	v_dual_cndmask_b32 v50, 3, v50 :: v_dual_and_b32 v49, 0x80, v49
	s_delay_alu instid0(VALU_DEP_1) | instskip(SKIP_1) | instid1(VALU_DEP_2)
	v_or_b32_e32 v48, v48, v50
	v_and_b32_e32 v52, 3, v50
	v_cmp_ne_u32_e32 vcc_lo, 0, v48
	v_lshlrev_b32_e32 v51, 2, v51
	s_delay_alu instid0(VALU_DEP_1) | instskip(NEXT) | instid1(VALU_DEP_1)
	v_or3_b32 v49, v51, v49, v52
	v_cndmask_b32_e32 v48, 0, v49, vcc_lo
.LBB6_2824:                             ;   in Loop: Header=BB6_2479 Depth=3
	s_or_b32 exec_lo, exec_lo, s35
.LBB6_2825:                             ;   in Loop: Header=BB6_2479 Depth=3
	s_delay_alu instid0(SALU_CYCLE_1)
	s_or_b32 exec_lo, exec_lo, s34
	flat_load_u8 v49, v[16:17] offset:896 slc dlc
	s_mov_b32 s13, 0
	s_mov_b32 s35, exec_lo
                                        ; implicit-def: $sgpr34
	s_waitcnt vmcnt(0) lgkmcnt(0)
	v_cmpx_lt_i16_e32 0x7f, v49
	s_xor_b32 s35, exec_lo, s35
	s_cbranch_execnz .LBB6_2986
; %bb.2826:                             ;   in Loop: Header=BB6_2479 Depth=3
	s_or_saveexec_b32 s35, s35
	v_mov_b32_e32 v52, s34
	s_xor_b32 exec_lo, exec_lo, s35
	s_cbranch_execnz .LBB6_2989
.LBB6_2827:                             ;   in Loop: Header=BB6_2479 Depth=3
	s_or_b32 exec_lo, exec_lo, s35
	s_and_saveexec_b32 s34, s13
	s_cbranch_execz .LBB6_2829
.LBB6_2828:                             ;   in Loop: Header=BB6_2479 Depth=3
	v_and_b32_e32 v50, 0xffff, v49
	v_lshlrev_b32_e32 v49, 24, v49
	s_delay_alu instid0(VALU_DEP_2) | instskip(NEXT) | instid1(VALU_DEP_2)
	v_and_b32_e32 v51, 3, v50
	v_and_b32_e32 v49, 0x80000000, v49
	s_delay_alu instid0(VALU_DEP_2) | instskip(NEXT) | instid1(VALU_DEP_1)
	v_clz_i32_u32_e32 v52, v51
	v_min_u32_e32 v52, 32, v52
	s_delay_alu instid0(VALU_DEP_1) | instskip(SKIP_1) | instid1(VALU_DEP_2)
	v_subrev_nc_u32_e32 v53, 29, v52
	v_sub_nc_u32_e32 v52, 30, v52
	v_lshlrev_b32_e32 v53, v53, v50
	v_bfe_u32 v50, v50, 2, 5
	s_delay_alu instid0(VALU_DEP_2) | instskip(NEXT) | instid1(VALU_DEP_2)
	v_and_b32_e32 v53, 3, v53
	v_cmp_eq_u32_e32 vcc_lo, 0, v50
	s_delay_alu instid0(VALU_DEP_2) | instskip(NEXT) | instid1(VALU_DEP_1)
	v_dual_cndmask_b32 v50, v50, v52 :: v_dual_cndmask_b32 v51, v51, v53
	v_lshl_add_u32 v50, v50, 23, 0x37800000
	s_delay_alu instid0(VALU_DEP_2) | instskip(NEXT) | instid1(VALU_DEP_1)
	v_lshlrev_b32_e32 v51, 21, v51
	v_or3_b32 v52, v49, v50, v51
.LBB6_2829:                             ;   in Loop: Header=BB6_2479 Depth=3
	s_or_b32 exec_lo, exec_lo, s34
	s_delay_alu instid0(VALU_DEP_1) | instskip(NEXT) | instid1(VALU_DEP_1)
	v_mul_f32_e32 v52, v70, v52
	v_and_b32_e32 v49, 0x7f800000, v52
	s_delay_alu instid0(VALU_DEP_1)
	v_cmp_ne_u32_e32 vcc_lo, 0x7f800000, v49
	v_mov_b32_e32 v49, 0x80
	s_and_saveexec_b32 s34, vcc_lo
	s_cbranch_execz .LBB6_2837
; %bb.2830:                             ;   in Loop: Header=BB6_2479 Depth=3
	v_mov_b32_e32 v49, 0
	s_mov_b32 s35, exec_lo
	v_cmpx_ne_u32_e32 0, v52
	s_cbranch_execz .LBB6_2836
; %bb.2831:                             ;   in Loop: Header=BB6_2479 Depth=3
	v_bfe_u32 v49, v52, 23, 8
	s_delay_alu instid0(VALU_DEP_1) | instskip(SKIP_1) | instid1(VALU_DEP_2)
	v_sub_nc_u32_e32 v51, 0x70, v49
	v_cmp_gt_u32_e32 vcc_lo, 0x71, v49
	v_dual_cndmask_b32 v51, 0, v51 :: v_dual_and_b32 v50, 0x7fffff, v52
	s_delay_alu instid0(VALU_DEP_1) | instskip(SKIP_2) | instid1(VALU_DEP_4)
	v_or_b32_e32 v53, 0x800000, v50
	v_cmp_eq_u32_e32 vcc_lo, 0, v49
	v_add_nc_u32_e32 v49, 0xffffff91, v49
	v_cndmask_b32_e64 v51, v51, 0x6f, vcc_lo
	s_delay_alu instid0(VALU_DEP_4) | instskip(NEXT) | instid1(VALU_DEP_3)
	v_cndmask_b32_e32 v50, v53, v50, vcc_lo
	v_cndmask_b32_e64 v49, v49, 0xffffff92, vcc_lo
	s_delay_alu instid0(VALU_DEP_3) | instskip(NEXT) | instid1(VALU_DEP_3)
	v_lshl_add_u32 v54, 0x200000, v51, -1
	v_lshrrev_b32_e32 v53, v51, v50
	v_lshlrev_b32_e64 v86, v51, 0x100000
	s_delay_alu instid0(VALU_DEP_3) | instskip(NEXT) | instid1(VALU_DEP_3)
	v_and_b32_e32 v50, v54, v50
	v_bfe_u32 v55, v53, 21, 1
	s_delay_alu instid0(VALU_DEP_2) | instskip(NEXT) | instid1(VALU_DEP_2)
	v_cmp_eq_u32_e64 s13, v50, v86
	v_add_nc_u32_e32 v54, -1, v55
	v_lshrrev_b32_e32 v55, 23, v53
	s_delay_alu instid0(VALU_DEP_2) | instskip(SKIP_1) | instid1(VALU_DEP_3)
	v_cndmask_b32_e64 v50, 0, v54, s13
	v_add_nc_u32_e32 v54, v51, v49
	v_xor_b32_e32 v55, 1, v55
	s_mov_b32 s13, exec_lo
	s_delay_alu instid0(VALU_DEP_3) | instskip(NEXT) | instid1(VALU_DEP_1)
	v_add_nc_u32_e32 v50, v50, v53
	v_and_b32_e32 v49, 0x1fffff, v50
	s_delay_alu instid0(VALU_DEP_1)
	v_add_nc_u32_e32 v53, v49, v53
                                        ; implicit-def: $vgpr49
	v_cmpx_ne_u32_e64 v54, v55
	s_xor_b32 s13, exec_lo, s13
; %bb.2832:                             ;   in Loop: Header=BB6_2479 Depth=3
	s_delay_alu instid0(VALU_DEP_2) | instskip(SKIP_2) | instid1(VALU_DEP_2)
	v_cmp_lt_u32_e32 vcc_lo, 0xffffff, v53
	v_sub_nc_u32_e32 v49, v54, v55
	v_cndmask_b32_e64 v50, 0, 1, vcc_lo
	v_add_co_ci_u32_e32 v49, vcc_lo, 0, v49, vcc_lo
	s_delay_alu instid0(VALU_DEP_2)
	v_lshrrev_b32_e32 v53, v50, v53
; %bb.2833:                             ;   in Loop: Header=BB6_2479 Depth=3
	s_and_not1_saveexec_b32 s13, s13
; %bb.2834:                             ;   in Loop: Header=BB6_2479 Depth=3
	s_delay_alu instid0(VALU_DEP_1)
	v_bfe_u32 v49, v53, 23, 1
; %bb.2835:                             ;   in Loop: Header=BB6_2479 Depth=3
	s_or_b32 exec_lo, exec_lo, s13
	v_lshrrev_b32_e32 v50, 21, v53
	s_delay_alu instid0(VALU_DEP_2) | instskip(SKIP_2) | instid1(VALU_DEP_2)
	v_cmp_gt_i32_e32 vcc_lo, 32, v49
	v_lshrrev_b32_e32 v51, 24, v52
	v_min_i32_e32 v52, 31, v49
	v_dual_cndmask_b32 v50, 3, v50 :: v_dual_and_b32 v51, 0x80, v51
	s_delay_alu instid0(VALU_DEP_1) | instskip(SKIP_1) | instid1(VALU_DEP_2)
	v_or_b32_e32 v49, v49, v50
	v_and_b32_e32 v53, 3, v50
	v_cmp_ne_u32_e32 vcc_lo, 0, v49
	v_lshlrev_b32_e32 v52, 2, v52
	s_delay_alu instid0(VALU_DEP_1) | instskip(NEXT) | instid1(VALU_DEP_1)
	v_or3_b32 v50, v52, v51, v53
	v_cndmask_b32_e32 v49, 0, v50, vcc_lo
.LBB6_2836:                             ;   in Loop: Header=BB6_2479 Depth=3
	s_or_b32 exec_lo, exec_lo, s35
.LBB6_2837:                             ;   in Loop: Header=BB6_2479 Depth=3
	s_delay_alu instid0(SALU_CYCLE_1)
	s_or_b32 exec_lo, exec_lo, s34
	flat_load_u8 v52, v[16:17] offset:928 slc dlc
	s_mov_b32 s13, 0
	s_mov_b32 s35, exec_lo
                                        ; implicit-def: $sgpr34
	s_waitcnt vmcnt(0) lgkmcnt(0)
	v_cmpx_lt_i16_e32 0x7f, v52
	s_xor_b32 s35, exec_lo, s35
	s_cbranch_execnz .LBB6_2990
; %bb.2838:                             ;   in Loop: Header=BB6_2479 Depth=3
	s_or_saveexec_b32 s35, s35
	v_mov_b32_e32 v53, s34
	s_xor_b32 exec_lo, exec_lo, s35
	s_cbranch_execnz .LBB6_2993
.LBB6_2839:                             ;   in Loop: Header=BB6_2479 Depth=3
	s_or_b32 exec_lo, exec_lo, s35
	s_and_saveexec_b32 s34, s13
	s_cbranch_execz .LBB6_2841
.LBB6_2840:                             ;   in Loop: Header=BB6_2479 Depth=3
	v_and_b32_e32 v50, 0xffff, v52
	v_lshlrev_b32_e32 v52, 24, v52
	s_delay_alu instid0(VALU_DEP_2) | instskip(NEXT) | instid1(VALU_DEP_2)
	v_and_b32_e32 v51, 3, v50
	v_and_b32_e32 v52, 0x80000000, v52
	s_delay_alu instid0(VALU_DEP_2) | instskip(NEXT) | instid1(VALU_DEP_1)
	v_clz_i32_u32_e32 v53, v51
	v_min_u32_e32 v53, 32, v53
	s_delay_alu instid0(VALU_DEP_1) | instskip(SKIP_1) | instid1(VALU_DEP_2)
	v_subrev_nc_u32_e32 v54, 29, v53
	v_sub_nc_u32_e32 v53, 30, v53
	v_lshlrev_b32_e32 v54, v54, v50
	v_bfe_u32 v50, v50, 2, 5
	s_delay_alu instid0(VALU_DEP_2) | instskip(NEXT) | instid1(VALU_DEP_2)
	v_and_b32_e32 v54, 3, v54
	v_cmp_eq_u32_e32 vcc_lo, 0, v50
	s_delay_alu instid0(VALU_DEP_2) | instskip(NEXT) | instid1(VALU_DEP_1)
	v_dual_cndmask_b32 v50, v50, v53 :: v_dual_cndmask_b32 v51, v51, v54
	v_lshl_add_u32 v50, v50, 23, 0x37800000
	s_delay_alu instid0(VALU_DEP_2) | instskip(NEXT) | instid1(VALU_DEP_1)
	v_lshlrev_b32_e32 v51, 21, v51
	v_or3_b32 v53, v52, v50, v51
.LBB6_2841:                             ;   in Loop: Header=BB6_2479 Depth=3
	s_or_b32 exec_lo, exec_lo, s34
	s_delay_alu instid0(VALU_DEP_1) | instskip(SKIP_1) | instid1(VALU_DEP_1)
	v_dual_mul_f32 v53, v70, v53 :: v_dual_mov_b32 v52, 0x80
	s_mov_b32 s34, exec_lo
	v_and_b32_e32 v50, 0x7f800000, v53
	s_delay_alu instid0(VALU_DEP_1)
	v_cmpx_ne_u32_e32 0x7f800000, v50
	s_cbranch_execz .LBB6_2849
; %bb.2842:                             ;   in Loop: Header=BB6_2479 Depth=3
	v_mov_b32_e32 v52, 0
	s_mov_b32 s35, exec_lo
	v_cmpx_ne_u32_e32 0, v53
	s_cbranch_execz .LBB6_2848
; %bb.2843:                             ;   in Loop: Header=BB6_2479 Depth=3
	v_bfe_u32 v50, v53, 23, 8
	s_delay_alu instid0(VALU_DEP_1) | instskip(SKIP_1) | instid1(VALU_DEP_2)
	v_sub_nc_u32_e32 v52, 0x70, v50
	v_cmp_gt_u32_e32 vcc_lo, 0x71, v50
	v_dual_cndmask_b32 v52, 0, v52 :: v_dual_and_b32 v51, 0x7fffff, v53
	s_delay_alu instid0(VALU_DEP_1) | instskip(SKIP_2) | instid1(VALU_DEP_4)
	v_or_b32_e32 v54, 0x800000, v51
	v_cmp_eq_u32_e32 vcc_lo, 0, v50
	v_add_nc_u32_e32 v50, 0xffffff91, v50
	v_cndmask_b32_e64 v52, v52, 0x6f, vcc_lo
	s_delay_alu instid0(VALU_DEP_4) | instskip(NEXT) | instid1(VALU_DEP_3)
	v_cndmask_b32_e32 v51, v54, v51, vcc_lo
	v_cndmask_b32_e64 v50, v50, 0xffffff92, vcc_lo
	s_delay_alu instid0(VALU_DEP_3) | instskip(NEXT) | instid1(VALU_DEP_3)
	v_lshl_add_u32 v55, 0x200000, v52, -1
	v_lshrrev_b32_e32 v54, v52, v51
	v_lshlrev_b32_e64 v87, v52, 0x100000
	s_delay_alu instid0(VALU_DEP_3) | instskip(NEXT) | instid1(VALU_DEP_3)
	v_and_b32_e32 v51, v55, v51
	v_bfe_u32 v86, v54, 21, 1
	s_delay_alu instid0(VALU_DEP_2) | instskip(NEXT) | instid1(VALU_DEP_2)
	v_cmp_eq_u32_e64 s13, v51, v87
	v_add_nc_u32_e32 v55, -1, v86
	v_lshrrev_b32_e32 v86, 23, v54
	s_delay_alu instid0(VALU_DEP_2) | instskip(SKIP_1) | instid1(VALU_DEP_3)
	v_cndmask_b32_e64 v51, 0, v55, s13
	v_add_nc_u32_e32 v55, v52, v50
	v_xor_b32_e32 v86, 1, v86
	s_mov_b32 s13, exec_lo
                                        ; implicit-def: $vgpr52
	s_delay_alu instid0(VALU_DEP_3) | instskip(NEXT) | instid1(VALU_DEP_1)
	v_add_nc_u32_e32 v51, v51, v54
	v_and_b32_e32 v50, 0x1fffff, v51
	s_delay_alu instid0(VALU_DEP_1)
	v_add_nc_u32_e32 v54, v50, v54
	v_cmpx_ne_u32_e64 v55, v86
	s_xor_b32 s13, exec_lo, s13
; %bb.2844:                             ;   in Loop: Header=BB6_2479 Depth=3
	s_delay_alu instid0(VALU_DEP_2) | instskip(SKIP_2) | instid1(VALU_DEP_2)
	v_cmp_lt_u32_e32 vcc_lo, 0xffffff, v54
	v_sub_nc_u32_e32 v50, v55, v86
	v_cndmask_b32_e64 v51, 0, 1, vcc_lo
	v_add_co_ci_u32_e32 v52, vcc_lo, 0, v50, vcc_lo
	s_delay_alu instid0(VALU_DEP_2)
	v_lshrrev_b32_e32 v54, v51, v54
; %bb.2845:                             ;   in Loop: Header=BB6_2479 Depth=3
	s_and_not1_saveexec_b32 s13, s13
; %bb.2846:                             ;   in Loop: Header=BB6_2479 Depth=3
	s_delay_alu instid0(VALU_DEP_1)
	v_bfe_u32 v52, v54, 23, 1
; %bb.2847:                             ;   in Loop: Header=BB6_2479 Depth=3
	s_or_b32 exec_lo, exec_lo, s13
	v_lshrrev_b32_e32 v50, 21, v54
	s_delay_alu instid0(VALU_DEP_2) | instskip(SKIP_2) | instid1(VALU_DEP_2)
	v_cmp_gt_i32_e32 vcc_lo, 32, v52
	v_lshrrev_b32_e32 v51, 24, v53
	v_min_i32_e32 v53, 31, v52
	v_dual_cndmask_b32 v50, 3, v50 :: v_dual_and_b32 v51, 0x80, v51
	s_delay_alu instid0(VALU_DEP_1) | instskip(SKIP_1) | instid1(VALU_DEP_1)
	v_and_b32_e32 v54, 3, v50
	v_or_b32_e32 v50, v52, v50
	v_cmp_ne_u32_e32 vcc_lo, 0, v50
	v_lshlrev_b32_e32 v53, 2, v53
	s_delay_alu instid0(VALU_DEP_1) | instskip(NEXT) | instid1(VALU_DEP_1)
	v_or3_b32 v51, v53, v51, v54
	v_cndmask_b32_e32 v52, 0, v51, vcc_lo
.LBB6_2848:                             ;   in Loop: Header=BB6_2479 Depth=3
	s_or_b32 exec_lo, exec_lo, s35
.LBB6_2849:                             ;   in Loop: Header=BB6_2479 Depth=3
	s_delay_alu instid0(SALU_CYCLE_1)
	s_or_b32 exec_lo, exec_lo, s34
	flat_load_u8 v53, v[16:17] offset:960 slc dlc
	s_mov_b32 s13, 0
	s_mov_b32 s35, exec_lo
                                        ; implicit-def: $sgpr34
	s_waitcnt vmcnt(0) lgkmcnt(0)
	v_cmpx_lt_i16_e32 0x7f, v53
	s_xor_b32 s35, exec_lo, s35
	s_cbranch_execnz .LBB6_2994
; %bb.2850:                             ;   in Loop: Header=BB6_2479 Depth=3
	s_or_saveexec_b32 s35, s35
	v_mov_b32_e32 v54, s34
	s_xor_b32 exec_lo, exec_lo, s35
	s_cbranch_execnz .LBB6_2997
.LBB6_2851:                             ;   in Loop: Header=BB6_2479 Depth=3
	s_or_b32 exec_lo, exec_lo, s35
	s_and_saveexec_b32 s34, s13
	s_cbranch_execz .LBB6_2853
.LBB6_2852:                             ;   in Loop: Header=BB6_2479 Depth=3
	v_and_b32_e32 v50, 0xffff, v53
	v_lshlrev_b32_e32 v53, 24, v53
	s_delay_alu instid0(VALU_DEP_2) | instskip(NEXT) | instid1(VALU_DEP_2)
	v_and_b32_e32 v51, 3, v50
	v_and_b32_e32 v53, 0x80000000, v53
	s_delay_alu instid0(VALU_DEP_2) | instskip(NEXT) | instid1(VALU_DEP_1)
	v_clz_i32_u32_e32 v54, v51
	v_min_u32_e32 v54, 32, v54
	s_delay_alu instid0(VALU_DEP_1) | instskip(SKIP_1) | instid1(VALU_DEP_2)
	v_subrev_nc_u32_e32 v55, 29, v54
	v_sub_nc_u32_e32 v54, 30, v54
	v_lshlrev_b32_e32 v55, v55, v50
	v_bfe_u32 v50, v50, 2, 5
	s_delay_alu instid0(VALU_DEP_1) | instskip(NEXT) | instid1(VALU_DEP_3)
	v_cmp_eq_u32_e32 vcc_lo, 0, v50
	v_dual_cndmask_b32 v50, v50, v54 :: v_dual_and_b32 v55, 3, v55
	s_delay_alu instid0(VALU_DEP_1) | instskip(NEXT) | instid1(VALU_DEP_2)
	v_cndmask_b32_e32 v51, v51, v55, vcc_lo
	v_lshl_add_u32 v50, v50, 23, 0x37800000
	s_delay_alu instid0(VALU_DEP_2) | instskip(NEXT) | instid1(VALU_DEP_1)
	v_lshlrev_b32_e32 v51, 21, v51
	v_or3_b32 v54, v53, v50, v51
.LBB6_2853:                             ;   in Loop: Header=BB6_2479 Depth=3
	s_or_b32 exec_lo, exec_lo, s34
	s_delay_alu instid0(VALU_DEP_1) | instskip(SKIP_1) | instid1(VALU_DEP_1)
	v_dual_mul_f32 v54, v70, v54 :: v_dual_mov_b32 v53, 0x80
	s_mov_b32 s34, exec_lo
	v_and_b32_e32 v50, 0x7f800000, v54
	s_delay_alu instid0(VALU_DEP_1)
	v_cmpx_ne_u32_e32 0x7f800000, v50
	s_cbranch_execz .LBB6_2861
; %bb.2854:                             ;   in Loop: Header=BB6_2479 Depth=3
	v_mov_b32_e32 v53, 0
	s_mov_b32 s35, exec_lo
	v_cmpx_ne_u32_e32 0, v54
	s_cbranch_execz .LBB6_2860
; %bb.2855:                             ;   in Loop: Header=BB6_2479 Depth=3
	v_bfe_u32 v50, v54, 23, 8
	v_and_b32_e32 v51, 0x7fffff, v54
	s_delay_alu instid0(VALU_DEP_2) | instskip(SKIP_1) | instid1(VALU_DEP_3)
	v_sub_nc_u32_e32 v53, 0x70, v50
	v_cmp_gt_u32_e32 vcc_lo, 0x71, v50
	v_or_b32_e32 v55, 0x800000, v51
	s_delay_alu instid0(VALU_DEP_3) | instskip(SKIP_2) | instid1(VALU_DEP_3)
	v_cndmask_b32_e32 v53, 0, v53, vcc_lo
	v_cmp_eq_u32_e32 vcc_lo, 0, v50
	v_add_nc_u32_e32 v50, 0xffffff91, v50
	v_cndmask_b32_e64 v53, v53, 0x6f, vcc_lo
	v_cndmask_b32_e32 v51, v55, v51, vcc_lo
	s_delay_alu instid0(VALU_DEP_3) | instskip(NEXT) | instid1(VALU_DEP_3)
	v_cndmask_b32_e64 v50, v50, 0xffffff92, vcc_lo
	v_lshl_add_u32 v86, 0x200000, v53, -1
	s_delay_alu instid0(VALU_DEP_3) | instskip(SKIP_1) | instid1(VALU_DEP_3)
	v_lshrrev_b32_e32 v55, v53, v51
	v_lshlrev_b32_e64 v97, v53, 0x100000
	v_and_b32_e32 v51, v86, v51
	s_delay_alu instid0(VALU_DEP_3) | instskip(NEXT) | instid1(VALU_DEP_2)
	v_bfe_u32 v87, v55, 21, 1
	v_cmp_eq_u32_e64 s13, v51, v97
	s_delay_alu instid0(VALU_DEP_2) | instskip(SKIP_1) | instid1(VALU_DEP_2)
	v_add_nc_u32_e32 v86, -1, v87
	v_lshrrev_b32_e32 v87, 23, v55
	v_cndmask_b32_e64 v51, 0, v86, s13
	v_add_nc_u32_e32 v86, v53, v50
	s_delay_alu instid0(VALU_DEP_3) | instskip(SKIP_1) | instid1(VALU_DEP_3)
	v_xor_b32_e32 v87, 1, v87
	s_mov_b32 s13, exec_lo
                                        ; implicit-def: $vgpr53
	v_add_nc_u32_e32 v51, v51, v55
	s_delay_alu instid0(VALU_DEP_1) | instskip(NEXT) | instid1(VALU_DEP_1)
	v_and_b32_e32 v50, 0x1fffff, v51
	v_add_nc_u32_e32 v55, v50, v55
	v_cmpx_ne_u32_e64 v86, v87
	s_xor_b32 s13, exec_lo, s13
; %bb.2856:                             ;   in Loop: Header=BB6_2479 Depth=3
	s_delay_alu instid0(VALU_DEP_2) | instskip(SKIP_2) | instid1(VALU_DEP_2)
	v_cmp_lt_u32_e32 vcc_lo, 0xffffff, v55
	v_sub_nc_u32_e32 v50, v86, v87
	v_cndmask_b32_e64 v51, 0, 1, vcc_lo
	v_add_co_ci_u32_e32 v53, vcc_lo, 0, v50, vcc_lo
	s_delay_alu instid0(VALU_DEP_2)
	v_lshrrev_b32_e32 v55, v51, v55
; %bb.2857:                             ;   in Loop: Header=BB6_2479 Depth=3
	s_and_not1_saveexec_b32 s13, s13
; %bb.2858:                             ;   in Loop: Header=BB6_2479 Depth=3
	s_delay_alu instid0(VALU_DEP_1)
	v_bfe_u32 v53, v55, 23, 1
; %bb.2859:                             ;   in Loop: Header=BB6_2479 Depth=3
	s_or_b32 exec_lo, exec_lo, s13
	v_lshrrev_b32_e32 v50, 21, v55
	s_delay_alu instid0(VALU_DEP_2) | instskip(SKIP_2) | instid1(VALU_DEP_2)
	v_cmp_gt_i32_e32 vcc_lo, 32, v53
	v_lshrrev_b32_e32 v51, 24, v54
	v_min_i32_e32 v54, 31, v53
	v_dual_cndmask_b32 v50, 3, v50 :: v_dual_and_b32 v51, 0x80, v51
	s_delay_alu instid0(VALU_DEP_1) | instskip(SKIP_1) | instid1(VALU_DEP_1)
	v_and_b32_e32 v55, 3, v50
	v_or_b32_e32 v50, v53, v50
	v_cmp_ne_u32_e32 vcc_lo, 0, v50
	v_lshlrev_b32_e32 v54, 2, v54
	s_delay_alu instid0(VALU_DEP_1) | instskip(NEXT) | instid1(VALU_DEP_1)
	v_or3_b32 v51, v54, v51, v55
	v_cndmask_b32_e32 v53, 0, v51, vcc_lo
.LBB6_2860:                             ;   in Loop: Header=BB6_2479 Depth=3
	s_or_b32 exec_lo, exec_lo, s35
.LBB6_2861:                             ;   in Loop: Header=BB6_2479 Depth=3
	s_delay_alu instid0(SALU_CYCLE_1)
	s_or_b32 exec_lo, exec_lo, s34
	flat_load_u8 v16, v[16:17] offset:992 slc dlc
	s_mov_b32 s13, 0
	s_mov_b32 s35, exec_lo
                                        ; implicit-def: $sgpr34
	s_waitcnt vmcnt(0) lgkmcnt(0)
	v_cmpx_lt_i16_e32 0x7f, v16
	s_xor_b32 s35, exec_lo, s35
	s_cbranch_execnz .LBB6_2998
; %bb.2862:                             ;   in Loop: Header=BB6_2479 Depth=3
	s_or_saveexec_b32 s35, s35
	v_mov_b32_e32 v17, s34
	s_xor_b32 exec_lo, exec_lo, s35
	s_cbranch_execnz .LBB6_3001
.LBB6_2863:                             ;   in Loop: Header=BB6_2479 Depth=3
	s_or_b32 exec_lo, exec_lo, s35
	s_and_saveexec_b32 s34, s13
	s_cbranch_execz .LBB6_2865
.LBB6_2864:                             ;   in Loop: Header=BB6_2479 Depth=3
	v_and_b32_e32 v17, 0xffff, v16
	v_lshlrev_b32_e32 v16, 24, v16
	s_delay_alu instid0(VALU_DEP_2) | instskip(NEXT) | instid1(VALU_DEP_2)
	v_and_b32_e32 v50, 3, v17
	v_and_b32_e32 v16, 0x80000000, v16
	s_delay_alu instid0(VALU_DEP_2) | instskip(NEXT) | instid1(VALU_DEP_1)
	v_clz_i32_u32_e32 v51, v50
	v_min_u32_e32 v51, 32, v51
	s_delay_alu instid0(VALU_DEP_1) | instskip(SKIP_1) | instid1(VALU_DEP_2)
	v_subrev_nc_u32_e32 v54, 29, v51
	v_sub_nc_u32_e32 v51, 30, v51
	v_lshlrev_b32_e32 v54, v54, v17
	v_bfe_u32 v17, v17, 2, 5
	s_delay_alu instid0(VALU_DEP_2) | instskip(NEXT) | instid1(VALU_DEP_2)
	v_and_b32_e32 v54, 3, v54
	v_cmp_eq_u32_e32 vcc_lo, 0, v17
	s_delay_alu instid0(VALU_DEP_2) | instskip(NEXT) | instid1(VALU_DEP_1)
	v_dual_cndmask_b32 v17, v17, v51 :: v_dual_cndmask_b32 v50, v50, v54
	v_lshl_add_u32 v17, v17, 23, 0x37800000
	s_delay_alu instid0(VALU_DEP_2) | instskip(NEXT) | instid1(VALU_DEP_1)
	v_lshlrev_b32_e32 v50, 21, v50
	v_or3_b32 v17, v16, v17, v50
.LBB6_2865:                             ;   in Loop: Header=BB6_2479 Depth=3
	s_or_b32 exec_lo, exec_lo, s34
	s_delay_alu instid0(VALU_DEP_1) | instskip(NEXT) | instid1(VALU_DEP_1)
	v_mul_f32_e32 v16, v70, v17
	v_and_b32_e32 v17, 0x7f800000, v16
	s_delay_alu instid0(VALU_DEP_1)
	v_cmp_ne_u32_e32 vcc_lo, 0x7f800000, v17
	v_mov_b32_e32 v17, 0x80
	s_and_saveexec_b32 s34, vcc_lo
	s_cbranch_execz .LBB6_2873
; %bb.2866:                             ;   in Loop: Header=BB6_2479 Depth=3
	v_mov_b32_e32 v17, 0
	s_mov_b32 s35, exec_lo
	v_cmpx_ne_u32_e32 0, v16
	s_cbranch_execz .LBB6_2872
; %bb.2867:                             ;   in Loop: Header=BB6_2479 Depth=3
	v_bfe_u32 v17, v16, 23, 8
	s_delay_alu instid0(VALU_DEP_1) | instskip(SKIP_1) | instid1(VALU_DEP_2)
	v_sub_nc_u32_e32 v51, 0x70, v17
	v_cmp_gt_u32_e32 vcc_lo, 0x71, v17
	v_dual_cndmask_b32 v51, 0, v51 :: v_dual_and_b32 v50, 0x7fffff, v16
	s_delay_alu instid0(VALU_DEP_1) | instskip(SKIP_2) | instid1(VALU_DEP_4)
	v_or_b32_e32 v54, 0x800000, v50
	v_cmp_eq_u32_e32 vcc_lo, 0, v17
	v_add_nc_u32_e32 v17, 0xffffff91, v17
	v_cndmask_b32_e64 v51, v51, 0x6f, vcc_lo
	s_delay_alu instid0(VALU_DEP_4) | instskip(NEXT) | instid1(VALU_DEP_3)
	v_cndmask_b32_e32 v50, v54, v50, vcc_lo
	v_cndmask_b32_e64 v17, v17, 0xffffff92, vcc_lo
	s_delay_alu instid0(VALU_DEP_3) | instskip(NEXT) | instid1(VALU_DEP_3)
	v_lshl_add_u32 v55, 0x200000, v51, -1
	v_lshrrev_b32_e32 v54, v51, v50
	v_lshlrev_b32_e64 v86, v51, 0x100000
	s_delay_alu instid0(VALU_DEP_3) | instskip(NEXT) | instid1(VALU_DEP_3)
	v_and_b32_e32 v50, v55, v50
	v_bfe_u32 v70, v54, 21, 1
	s_delay_alu instid0(VALU_DEP_2) | instskip(NEXT) | instid1(VALU_DEP_2)
	v_cmp_eq_u32_e64 s13, v50, v86
	v_add_nc_u32_e32 v55, -1, v70
	v_lshrrev_b32_e32 v70, 23, v54
	s_delay_alu instid0(VALU_DEP_2) | instskip(SKIP_1) | instid1(VALU_DEP_3)
	v_cndmask_b32_e64 v50, 0, v55, s13
	v_add_nc_u32_e32 v55, v51, v17
	v_xor_b32_e32 v70, 1, v70
	s_mov_b32 s13, exec_lo
	s_delay_alu instid0(VALU_DEP_3) | instskip(NEXT) | instid1(VALU_DEP_1)
	v_add_nc_u32_e32 v50, v50, v54
	v_and_b32_e32 v17, 0x1fffff, v50
	s_delay_alu instid0(VALU_DEP_1)
	v_add_nc_u32_e32 v54, v17, v54
                                        ; implicit-def: $vgpr17
	v_cmpx_ne_u32_e64 v55, v70
	s_xor_b32 s13, exec_lo, s13
; %bb.2868:                             ;   in Loop: Header=BB6_2479 Depth=3
	s_delay_alu instid0(VALU_DEP_2) | instskip(SKIP_2) | instid1(VALU_DEP_2)
	v_cmp_lt_u32_e32 vcc_lo, 0xffffff, v54
	v_sub_nc_u32_e32 v17, v55, v70
	v_cndmask_b32_e64 v50, 0, 1, vcc_lo
	v_add_co_ci_u32_e32 v17, vcc_lo, 0, v17, vcc_lo
	s_delay_alu instid0(VALU_DEP_2)
	v_lshrrev_b32_e32 v54, v50, v54
; %bb.2869:                             ;   in Loop: Header=BB6_2479 Depth=3
	s_and_not1_saveexec_b32 s13, s13
; %bb.2870:                             ;   in Loop: Header=BB6_2479 Depth=3
	s_delay_alu instid0(VALU_DEP_1)
	v_bfe_u32 v17, v54, 23, 1
; %bb.2871:                             ;   in Loop: Header=BB6_2479 Depth=3
	s_or_b32 exec_lo, exec_lo, s13
	v_lshrrev_b32_e32 v50, 21, v54
	s_delay_alu instid0(VALU_DEP_2) | instskip(SKIP_2) | instid1(VALU_DEP_2)
	v_cmp_gt_i32_e32 vcc_lo, 32, v17
	v_min_i32_e32 v51, 31, v17
	v_lshrrev_b32_e32 v16, 24, v16
	v_dual_cndmask_b32 v50, 3, v50 :: v_dual_lshlrev_b32 v51, 2, v51
	s_delay_alu instid0(VALU_DEP_2) | instskip(NEXT) | instid1(VALU_DEP_2)
	v_and_b32_e32 v16, 0x80, v16
	v_or_b32_e32 v17, v17, v50
	s_delay_alu instid0(VALU_DEP_1) | instskip(SKIP_1) | instid1(VALU_DEP_1)
	v_cmp_ne_u32_e32 vcc_lo, 0, v17
	v_and_b32_e32 v54, 3, v50
	v_or3_b32 v16, v51, v16, v54
	s_delay_alu instid0(VALU_DEP_1)
	v_cndmask_b32_e32 v17, 0, v16, vcc_lo
.LBB6_2872:                             ;   in Loop: Header=BB6_2479 Depth=3
	s_or_b32 exec_lo, exec_lo, s35
.LBB6_2873:                             ;   in Loop: Header=BB6_2479 Depth=3
	s_delay_alu instid0(SALU_CYCLE_1)
	s_or_b32 exec_lo, exec_lo, s34
	v_add_co_u32 v54, vcc_lo, v68, v8
	v_add_co_ci_u32_e32 v55, vcc_lo, v69, v9, vcc_lo
	s_clause 0x17
	flat_store_b8 v[54:55], v71 glc slc dlc
	flat_store_b8 v[54:55], v80 offset:32 glc slc dlc
	flat_store_b8 v[54:55], v81 offset:64 glc slc dlc
	;; [unrolled: 1-line block ×23, first 2 shown]
	v_lshrrev_b32_e32 v13, 5, v1
	scratch_load_b32 v16, off, s33 offset:524 ; 4-byte Folded Reload
	v_sub_nc_u32_e32 v2, v2, v13
	scratch_load_b32 v13, off, s33 offset:520 ; 4-byte Folded Reload
	s_clause 0x7
	flat_store_b8 v[54:55], v37 offset:768 glc slc dlc
	flat_store_b8 v[54:55], v38 offset:800 glc slc dlc
	flat_store_b8 v[54:55], v39 offset:832 glc slc dlc
	flat_store_b8 v[54:55], v48 offset:864 glc slc dlc
	flat_store_b8 v[54:55], v49 offset:896 glc slc dlc
	flat_store_b8 v[54:55], v52 offset:928 glc slc dlc
	flat_store_b8 v[54:55], v53 offset:960 glc slc dlc
	flat_store_b8 v[54:55], v17 offset:992 glc slc dlc
	s_waitcnt vmcnt(0)
	v_add_co_u32 v10, vcc_lo, v10, v13
	v_add_co_ci_u32_e32 v11, vcc_lo, v11, v16, vcc_lo
	v_cmp_gt_i32_e32 vcc_lo, 1, v2
	v_add_co_u32 v8, s13, v8, v13
	s_delay_alu instid0(VALU_DEP_1) | instskip(SKIP_1) | instid1(SALU_CYCLE_1)
	v_add_co_ci_u32_e64 v9, s13, v9, v16, s13
	s_or_b32 s31, vcc_lo, s31
	s_and_not1_b32 exec_lo, exec_lo, s31
	s_cbranch_execnz .LBB6_2479
	s_branch .LBB6_3002
.LBB6_2874:                             ;   in Loop: Header=BB6_2479 Depth=3
	s_mov_b32 s13, -1
	s_mov_b32 s36, exec_lo
                                        ; implicit-def: $sgpr34
	v_cmpx_eq_u16_e32 0x80, v13
; %bb.2875:                             ;   in Loop: Header=BB6_2479 Depth=3
	s_mov_b32 s34, 0x7f800001
	s_xor_b32 s13, exec_lo, -1
; %bb.2876:                             ;   in Loop: Header=BB6_2479 Depth=3
	s_or_b32 exec_lo, exec_lo, s36
	s_delay_alu instid0(SALU_CYCLE_1)
	s_and_b32 s13, s13, exec_lo
	s_or_saveexec_b32 s35, s35
	v_mov_b32_e32 v26, s34
	s_xor_b32 exec_lo, exec_lo, s35
	s_cbranch_execz .LBB6_2491
.LBB6_2877:                             ;   in Loop: Header=BB6_2479 Depth=3
	v_cmp_ne_u16_e32 vcc_lo, 0, v13
	v_mov_b32_e32 v26, 0
	s_and_not1_b32 s13, s13, exec_lo
	s_and_b32 vcc_lo, vcc_lo, exec_lo
	s_delay_alu instid0(SALU_CYCLE_1)
	s_or_b32 s13, s13, vcc_lo
	s_or_b32 exec_lo, exec_lo, s35
	s_and_saveexec_b32 s34, s13
	s_cbranch_execnz .LBB6_2492
	s_branch .LBB6_2493
.LBB6_2878:                             ;   in Loop: Header=BB6_2479 Depth=3
	s_mov_b32 s13, -1
	s_mov_b32 s36, exec_lo
                                        ; implicit-def: $sgpr34
	v_cmpx_eq_u16_e32 0x80, v13
; %bb.2879:                             ;   in Loop: Header=BB6_2479 Depth=3
	s_mov_b32 s34, 0x7f800001
	s_xor_b32 s13, exec_lo, -1
; %bb.2880:                             ;   in Loop: Header=BB6_2479 Depth=3
	s_or_b32 exec_lo, exec_lo, s36
	s_delay_alu instid0(SALU_CYCLE_1)
	s_and_b32 s13, s13, exec_lo
	s_or_saveexec_b32 s35, s35
	v_mov_b32_e32 v26, s34
	s_xor_b32 exec_lo, exec_lo, s35
	s_cbranch_execz .LBB6_2503
.LBB6_2881:                             ;   in Loop: Header=BB6_2479 Depth=3
	v_cmp_ne_u16_e32 vcc_lo, 0, v13
	v_mov_b32_e32 v26, 0
	s_and_not1_b32 s13, s13, exec_lo
	s_and_b32 vcc_lo, vcc_lo, exec_lo
	s_delay_alu instid0(SALU_CYCLE_1)
	s_or_b32 s13, s13, vcc_lo
	s_or_b32 exec_lo, exec_lo, s35
	s_and_saveexec_b32 s34, s13
	s_cbranch_execnz .LBB6_2504
	s_branch .LBB6_2505
.LBB6_2882:                             ;   in Loop: Header=BB6_2479 Depth=3
	s_mov_b32 s13, -1
	s_mov_b32 s36, exec_lo
                                        ; implicit-def: $sgpr34
	v_cmpx_eq_u16_e32 0x80, v13
; %bb.2883:                             ;   in Loop: Header=BB6_2479 Depth=3
	s_mov_b32 s34, 0x7f800001
	s_xor_b32 s13, exec_lo, -1
; %bb.2884:                             ;   in Loop: Header=BB6_2479 Depth=3
	s_or_b32 exec_lo, exec_lo, s36
	s_delay_alu instid0(SALU_CYCLE_1)
	s_and_b32 s13, s13, exec_lo
	s_or_saveexec_b32 s35, s35
	v_mov_b32_e32 v26, s34
	s_xor_b32 exec_lo, exec_lo, s35
	s_cbranch_execz .LBB6_2515
.LBB6_2885:                             ;   in Loop: Header=BB6_2479 Depth=3
	v_cmp_ne_u16_e32 vcc_lo, 0, v13
	v_mov_b32_e32 v26, 0
	s_and_not1_b32 s13, s13, exec_lo
	s_and_b32 vcc_lo, vcc_lo, exec_lo
	s_delay_alu instid0(SALU_CYCLE_1)
	s_or_b32 s13, s13, vcc_lo
	s_or_b32 exec_lo, exec_lo, s35
	s_and_saveexec_b32 s34, s13
	s_cbranch_execnz .LBB6_2516
	s_branch .LBB6_2517
.LBB6_2886:                             ;   in Loop: Header=BB6_2479 Depth=3
	s_mov_b32 s13, -1
	s_mov_b32 s36, exec_lo
                                        ; implicit-def: $sgpr34
	v_cmpx_eq_u16_e32 0x80, v13
; %bb.2887:                             ;   in Loop: Header=BB6_2479 Depth=3
	s_mov_b32 s34, 0x7f800001
	s_xor_b32 s13, exec_lo, -1
; %bb.2888:                             ;   in Loop: Header=BB6_2479 Depth=3
	s_or_b32 exec_lo, exec_lo, s36
	s_delay_alu instid0(SALU_CYCLE_1)
	s_and_b32 s13, s13, exec_lo
	s_or_saveexec_b32 s35, s35
	v_mov_b32_e32 v26, s34
	s_xor_b32 exec_lo, exec_lo, s35
	s_cbranch_execz .LBB6_2527
.LBB6_2889:                             ;   in Loop: Header=BB6_2479 Depth=3
	v_cmp_ne_u16_e32 vcc_lo, 0, v13
	v_mov_b32_e32 v26, 0
	s_and_not1_b32 s13, s13, exec_lo
	s_and_b32 vcc_lo, vcc_lo, exec_lo
	s_delay_alu instid0(SALU_CYCLE_1)
	s_or_b32 s13, s13, vcc_lo
	s_or_b32 exec_lo, exec_lo, s35
	s_and_saveexec_b32 s34, s13
	s_cbranch_execnz .LBB6_2528
	s_branch .LBB6_2529
.LBB6_2890:                             ;   in Loop: Header=BB6_2479 Depth=3
	s_mov_b32 s13, -1
	s_mov_b32 s36, exec_lo
                                        ; implicit-def: $sgpr34
	v_cmpx_eq_u16_e32 0x80, v13
; %bb.2891:                             ;   in Loop: Header=BB6_2479 Depth=3
	s_mov_b32 s34, 0x7f800001
	s_xor_b32 s13, exec_lo, -1
; %bb.2892:                             ;   in Loop: Header=BB6_2479 Depth=3
	s_or_b32 exec_lo, exec_lo, s36
	s_delay_alu instid0(SALU_CYCLE_1)
	s_and_b32 s13, s13, exec_lo
	s_or_saveexec_b32 s35, s35
	v_mov_b32_e32 v26, s34
	s_xor_b32 exec_lo, exec_lo, s35
	s_cbranch_execz .LBB6_2539
.LBB6_2893:                             ;   in Loop: Header=BB6_2479 Depth=3
	v_cmp_ne_u16_e32 vcc_lo, 0, v13
	v_mov_b32_e32 v26, 0
	s_and_not1_b32 s13, s13, exec_lo
	s_and_b32 vcc_lo, vcc_lo, exec_lo
	s_delay_alu instid0(SALU_CYCLE_1)
	s_or_b32 s13, s13, vcc_lo
	s_or_b32 exec_lo, exec_lo, s35
	s_and_saveexec_b32 s34, s13
	s_cbranch_execnz .LBB6_2540
	s_branch .LBB6_2541
.LBB6_2894:                             ;   in Loop: Header=BB6_2479 Depth=3
	s_mov_b32 s13, -1
	s_mov_b32 s36, exec_lo
                                        ; implicit-def: $sgpr34
	v_cmpx_eq_u16_e32 0x80, v13
; %bb.2895:                             ;   in Loop: Header=BB6_2479 Depth=3
	s_mov_b32 s34, 0x7f800001
	s_xor_b32 s13, exec_lo, -1
; %bb.2896:                             ;   in Loop: Header=BB6_2479 Depth=3
	s_or_b32 exec_lo, exec_lo, s36
	s_delay_alu instid0(SALU_CYCLE_1)
	s_and_b32 s13, s13, exec_lo
	s_or_saveexec_b32 s35, s35
	v_mov_b32_e32 v26, s34
	s_xor_b32 exec_lo, exec_lo, s35
	s_cbranch_execz .LBB6_2551
.LBB6_2897:                             ;   in Loop: Header=BB6_2479 Depth=3
	v_cmp_ne_u16_e32 vcc_lo, 0, v13
	v_mov_b32_e32 v26, 0
	s_and_not1_b32 s13, s13, exec_lo
	s_and_b32 vcc_lo, vcc_lo, exec_lo
	s_delay_alu instid0(SALU_CYCLE_1)
	s_or_b32 s13, s13, vcc_lo
	s_or_b32 exec_lo, exec_lo, s35
	s_and_saveexec_b32 s34, s13
	s_cbranch_execnz .LBB6_2552
	s_branch .LBB6_2553
.LBB6_2898:                             ;   in Loop: Header=BB6_2479 Depth=3
	s_mov_b32 s13, -1
	s_mov_b32 s36, exec_lo
                                        ; implicit-def: $sgpr34
	v_cmpx_eq_u16_e32 0x80, v13
; %bb.2899:                             ;   in Loop: Header=BB6_2479 Depth=3
	s_mov_b32 s34, 0x7f800001
	s_xor_b32 s13, exec_lo, -1
; %bb.2900:                             ;   in Loop: Header=BB6_2479 Depth=3
	s_or_b32 exec_lo, exec_lo, s36
	s_delay_alu instid0(SALU_CYCLE_1)
	s_and_b32 s13, s13, exec_lo
	s_or_saveexec_b32 s35, s35
	v_mov_b32_e32 v26, s34
	s_xor_b32 exec_lo, exec_lo, s35
	s_cbranch_execz .LBB6_2563
.LBB6_2901:                             ;   in Loop: Header=BB6_2479 Depth=3
	v_cmp_ne_u16_e32 vcc_lo, 0, v13
	v_mov_b32_e32 v26, 0
	s_and_not1_b32 s13, s13, exec_lo
	s_and_b32 vcc_lo, vcc_lo, exec_lo
	s_delay_alu instid0(SALU_CYCLE_1)
	s_or_b32 s13, s13, vcc_lo
	s_or_b32 exec_lo, exec_lo, s35
	s_and_saveexec_b32 s34, s13
	s_cbranch_execnz .LBB6_2564
	s_branch .LBB6_2565
.LBB6_2902:                             ;   in Loop: Header=BB6_2479 Depth=3
	s_mov_b32 s13, -1
	s_mov_b32 s36, exec_lo
                                        ; implicit-def: $sgpr34
	v_cmpx_eq_u16_e32 0x80, v13
; %bb.2903:                             ;   in Loop: Header=BB6_2479 Depth=3
	s_mov_b32 s34, 0x7f800001
	s_xor_b32 s13, exec_lo, -1
; %bb.2904:                             ;   in Loop: Header=BB6_2479 Depth=3
	s_or_b32 exec_lo, exec_lo, s36
	s_delay_alu instid0(SALU_CYCLE_1)
	s_and_b32 s13, s13, exec_lo
	s_or_saveexec_b32 s35, s35
	v_mov_b32_e32 v26, s34
	s_xor_b32 exec_lo, exec_lo, s35
	s_cbranch_execz .LBB6_2575
.LBB6_2905:                             ;   in Loop: Header=BB6_2479 Depth=3
	v_cmp_ne_u16_e32 vcc_lo, 0, v13
	v_mov_b32_e32 v26, 0
	s_and_not1_b32 s13, s13, exec_lo
	s_and_b32 vcc_lo, vcc_lo, exec_lo
	s_delay_alu instid0(SALU_CYCLE_1)
	s_or_b32 s13, s13, vcc_lo
	s_or_b32 exec_lo, exec_lo, s35
	s_and_saveexec_b32 s34, s13
	s_cbranch_execnz .LBB6_2576
	s_branch .LBB6_2577
.LBB6_2906:                             ;   in Loop: Header=BB6_2479 Depth=3
	s_mov_b32 s13, -1
	s_mov_b32 s36, exec_lo
                                        ; implicit-def: $sgpr34
	v_cmpx_eq_u16_e32 0x80, v13
; %bb.2907:                             ;   in Loop: Header=BB6_2479 Depth=3
	s_mov_b32 s34, 0x7f800001
	s_xor_b32 s13, exec_lo, -1
; %bb.2908:                             ;   in Loop: Header=BB6_2479 Depth=3
	s_or_b32 exec_lo, exec_lo, s36
	s_delay_alu instid0(SALU_CYCLE_1)
	s_and_b32 s13, s13, exec_lo
	s_or_saveexec_b32 s35, s35
	v_mov_b32_e32 v26, s34
	s_xor_b32 exec_lo, exec_lo, s35
	s_cbranch_execz .LBB6_2587
.LBB6_2909:                             ;   in Loop: Header=BB6_2479 Depth=3
	v_cmp_ne_u16_e32 vcc_lo, 0, v13
	v_mov_b32_e32 v26, 0
	s_and_not1_b32 s13, s13, exec_lo
	s_and_b32 vcc_lo, vcc_lo, exec_lo
	s_delay_alu instid0(SALU_CYCLE_1)
	s_or_b32 s13, s13, vcc_lo
	s_or_b32 exec_lo, exec_lo, s35
	s_and_saveexec_b32 s34, s13
	s_cbranch_execnz .LBB6_2588
	s_branch .LBB6_2589
.LBB6_2910:                             ;   in Loop: Header=BB6_2479 Depth=3
	s_mov_b32 s13, -1
	s_mov_b32 s36, exec_lo
                                        ; implicit-def: $sgpr34
	v_cmpx_eq_u16_e32 0x80, v13
; %bb.2911:                             ;   in Loop: Header=BB6_2479 Depth=3
	s_mov_b32 s34, 0x7f800001
	s_xor_b32 s13, exec_lo, -1
; %bb.2912:                             ;   in Loop: Header=BB6_2479 Depth=3
	s_or_b32 exec_lo, exec_lo, s36
	s_delay_alu instid0(SALU_CYCLE_1)
	s_and_b32 s13, s13, exec_lo
	s_or_saveexec_b32 s35, s35
	v_mov_b32_e32 v26, s34
	s_xor_b32 exec_lo, exec_lo, s35
	s_cbranch_execz .LBB6_2599
.LBB6_2913:                             ;   in Loop: Header=BB6_2479 Depth=3
	v_cmp_ne_u16_e32 vcc_lo, 0, v13
	v_mov_b32_e32 v26, 0
	s_and_not1_b32 s13, s13, exec_lo
	s_and_b32 vcc_lo, vcc_lo, exec_lo
	s_delay_alu instid0(SALU_CYCLE_1)
	s_or_b32 s13, s13, vcc_lo
	s_or_b32 exec_lo, exec_lo, s35
	s_and_saveexec_b32 s34, s13
	s_cbranch_execnz .LBB6_2600
	s_branch .LBB6_2601
.LBB6_2914:                             ;   in Loop: Header=BB6_2479 Depth=3
	s_mov_b32 s13, -1
	s_mov_b32 s36, exec_lo
                                        ; implicit-def: $sgpr34
	v_cmpx_eq_u16_e32 0x80, v13
; %bb.2915:                             ;   in Loop: Header=BB6_2479 Depth=3
	s_mov_b32 s34, 0x7f800001
	s_xor_b32 s13, exec_lo, -1
; %bb.2916:                             ;   in Loop: Header=BB6_2479 Depth=3
	s_or_b32 exec_lo, exec_lo, s36
	s_delay_alu instid0(SALU_CYCLE_1)
	s_and_b32 s13, s13, exec_lo
	s_or_saveexec_b32 s35, s35
	v_mov_b32_e32 v26, s34
	s_xor_b32 exec_lo, exec_lo, s35
	s_cbranch_execz .LBB6_2611
.LBB6_2917:                             ;   in Loop: Header=BB6_2479 Depth=3
	v_cmp_ne_u16_e32 vcc_lo, 0, v13
	v_mov_b32_e32 v26, 0
	s_and_not1_b32 s13, s13, exec_lo
	s_and_b32 vcc_lo, vcc_lo, exec_lo
	s_delay_alu instid0(SALU_CYCLE_1)
	s_or_b32 s13, s13, vcc_lo
	s_or_b32 exec_lo, exec_lo, s35
	s_and_saveexec_b32 s34, s13
	s_cbranch_execnz .LBB6_2612
	s_branch .LBB6_2613
.LBB6_2918:                             ;   in Loop: Header=BB6_2479 Depth=3
	s_mov_b32 s13, -1
	s_mov_b32 s36, exec_lo
                                        ; implicit-def: $sgpr34
	v_cmpx_eq_u16_e32 0x80, v13
; %bb.2919:                             ;   in Loop: Header=BB6_2479 Depth=3
	s_mov_b32 s34, 0x7f800001
	s_xor_b32 s13, exec_lo, -1
; %bb.2920:                             ;   in Loop: Header=BB6_2479 Depth=3
	s_or_b32 exec_lo, exec_lo, s36
	s_delay_alu instid0(SALU_CYCLE_1)
	s_and_b32 s13, s13, exec_lo
	s_or_saveexec_b32 s35, s35
	v_mov_b32_e32 v26, s34
	s_xor_b32 exec_lo, exec_lo, s35
	s_cbranch_execz .LBB6_2623
.LBB6_2921:                             ;   in Loop: Header=BB6_2479 Depth=3
	v_cmp_ne_u16_e32 vcc_lo, 0, v13
	v_mov_b32_e32 v26, 0
	s_and_not1_b32 s13, s13, exec_lo
	s_and_b32 vcc_lo, vcc_lo, exec_lo
	s_delay_alu instid0(SALU_CYCLE_1)
	s_or_b32 s13, s13, vcc_lo
	s_or_b32 exec_lo, exec_lo, s35
	s_and_saveexec_b32 s34, s13
	s_cbranch_execnz .LBB6_2624
	s_branch .LBB6_2625
.LBB6_2922:                             ;   in Loop: Header=BB6_2479 Depth=3
	s_mov_b32 s13, -1
	s_mov_b32 s36, exec_lo
                                        ; implicit-def: $sgpr34
	v_cmpx_eq_u16_e32 0x80, v13
; %bb.2923:                             ;   in Loop: Header=BB6_2479 Depth=3
	s_mov_b32 s34, 0x7f800001
	s_xor_b32 s13, exec_lo, -1
; %bb.2924:                             ;   in Loop: Header=BB6_2479 Depth=3
	s_or_b32 exec_lo, exec_lo, s36
	s_delay_alu instid0(SALU_CYCLE_1)
	s_and_b32 s13, s13, exec_lo
	s_or_saveexec_b32 s35, s35
	v_mov_b32_e32 v26, s34
	s_xor_b32 exec_lo, exec_lo, s35
	s_cbranch_execz .LBB6_2635
.LBB6_2925:                             ;   in Loop: Header=BB6_2479 Depth=3
	v_cmp_ne_u16_e32 vcc_lo, 0, v13
	v_mov_b32_e32 v26, 0
	s_and_not1_b32 s13, s13, exec_lo
	s_and_b32 vcc_lo, vcc_lo, exec_lo
	s_delay_alu instid0(SALU_CYCLE_1)
	s_or_b32 s13, s13, vcc_lo
	s_or_b32 exec_lo, exec_lo, s35
	s_and_saveexec_b32 s34, s13
	s_cbranch_execnz .LBB6_2636
	s_branch .LBB6_2637
.LBB6_2926:                             ;   in Loop: Header=BB6_2479 Depth=3
	s_mov_b32 s13, -1
	s_mov_b32 s36, exec_lo
                                        ; implicit-def: $sgpr34
	v_cmpx_eq_u16_e32 0x80, v13
; %bb.2927:                             ;   in Loop: Header=BB6_2479 Depth=3
	s_mov_b32 s34, 0x7f800001
	s_xor_b32 s13, exec_lo, -1
; %bb.2928:                             ;   in Loop: Header=BB6_2479 Depth=3
	s_or_b32 exec_lo, exec_lo, s36
	s_delay_alu instid0(SALU_CYCLE_1)
	s_and_b32 s13, s13, exec_lo
	s_or_saveexec_b32 s35, s35
	v_mov_b32_e32 v26, s34
	s_xor_b32 exec_lo, exec_lo, s35
	s_cbranch_execz .LBB6_2647
.LBB6_2929:                             ;   in Loop: Header=BB6_2479 Depth=3
	v_cmp_ne_u16_e32 vcc_lo, 0, v13
	v_mov_b32_e32 v26, 0
	s_and_not1_b32 s13, s13, exec_lo
	s_and_b32 vcc_lo, vcc_lo, exec_lo
	s_delay_alu instid0(SALU_CYCLE_1)
	s_or_b32 s13, s13, vcc_lo
	s_or_b32 exec_lo, exec_lo, s35
	s_and_saveexec_b32 s34, s13
	s_cbranch_execnz .LBB6_2648
	s_branch .LBB6_2649
.LBB6_2930:                             ;   in Loop: Header=BB6_2479 Depth=3
	s_mov_b32 s13, -1
	s_mov_b32 s36, exec_lo
                                        ; implicit-def: $sgpr34
	v_cmpx_eq_u16_e32 0x80, v13
; %bb.2931:                             ;   in Loop: Header=BB6_2479 Depth=3
	s_mov_b32 s34, 0x7f800001
	s_xor_b32 s13, exec_lo, -1
; %bb.2932:                             ;   in Loop: Header=BB6_2479 Depth=3
	s_or_b32 exec_lo, exec_lo, s36
	s_delay_alu instid0(SALU_CYCLE_1)
	s_and_b32 s13, s13, exec_lo
	s_or_saveexec_b32 s35, s35
	v_mov_b32_e32 v26, s34
	s_xor_b32 exec_lo, exec_lo, s35
	s_cbranch_execz .LBB6_2659
.LBB6_2933:                             ;   in Loop: Header=BB6_2479 Depth=3
	v_cmp_ne_u16_e32 vcc_lo, 0, v13
	v_mov_b32_e32 v26, 0
	s_and_not1_b32 s13, s13, exec_lo
	s_and_b32 vcc_lo, vcc_lo, exec_lo
	s_delay_alu instid0(SALU_CYCLE_1)
	s_or_b32 s13, s13, vcc_lo
	s_or_b32 exec_lo, exec_lo, s35
	s_and_saveexec_b32 s34, s13
	s_cbranch_execnz .LBB6_2660
	s_branch .LBB6_2661
.LBB6_2934:                             ;   in Loop: Header=BB6_2479 Depth=3
	s_mov_b32 s13, -1
	s_mov_b32 s36, exec_lo
                                        ; implicit-def: $sgpr34
	v_cmpx_eq_u16_e32 0x80, v13
; %bb.2935:                             ;   in Loop: Header=BB6_2479 Depth=3
	s_mov_b32 s34, 0x7f800001
	s_xor_b32 s13, exec_lo, -1
; %bb.2936:                             ;   in Loop: Header=BB6_2479 Depth=3
	s_or_b32 exec_lo, exec_lo, s36
	s_delay_alu instid0(SALU_CYCLE_1)
	s_and_b32 s13, s13, exec_lo
	s_or_saveexec_b32 s35, s35
	v_mov_b32_e32 v26, s34
	s_xor_b32 exec_lo, exec_lo, s35
	s_cbranch_execz .LBB6_2671
.LBB6_2937:                             ;   in Loop: Header=BB6_2479 Depth=3
	v_cmp_ne_u16_e32 vcc_lo, 0, v13
	v_mov_b32_e32 v26, 0
	s_and_not1_b32 s13, s13, exec_lo
	s_and_b32 vcc_lo, vcc_lo, exec_lo
	s_delay_alu instid0(SALU_CYCLE_1)
	s_or_b32 s13, s13, vcc_lo
	s_or_b32 exec_lo, exec_lo, s35
	s_and_saveexec_b32 s34, s13
	s_cbranch_execnz .LBB6_2672
	s_branch .LBB6_2673
.LBB6_2938:                             ;   in Loop: Header=BB6_2479 Depth=3
	s_mov_b32 s13, -1
	s_mov_b32 s36, exec_lo
                                        ; implicit-def: $sgpr34
	v_cmpx_eq_u16_e32 0x80, v13
; %bb.2939:                             ;   in Loop: Header=BB6_2479 Depth=3
	s_mov_b32 s34, 0x7f800001
	s_xor_b32 s13, exec_lo, -1
; %bb.2940:                             ;   in Loop: Header=BB6_2479 Depth=3
	s_or_b32 exec_lo, exec_lo, s36
	s_delay_alu instid0(SALU_CYCLE_1)
	s_and_b32 s13, s13, exec_lo
	s_or_saveexec_b32 s35, s35
	v_mov_b32_e32 v26, s34
	s_xor_b32 exec_lo, exec_lo, s35
	s_cbranch_execz .LBB6_2683
.LBB6_2941:                             ;   in Loop: Header=BB6_2479 Depth=3
	v_cmp_ne_u16_e32 vcc_lo, 0, v13
	v_mov_b32_e32 v26, 0
	s_and_not1_b32 s13, s13, exec_lo
	s_and_b32 vcc_lo, vcc_lo, exec_lo
	s_delay_alu instid0(SALU_CYCLE_1)
	s_or_b32 s13, s13, vcc_lo
	s_or_b32 exec_lo, exec_lo, s35
	s_and_saveexec_b32 s34, s13
	s_cbranch_execnz .LBB6_2684
	s_branch .LBB6_2685
.LBB6_2942:                             ;   in Loop: Header=BB6_2479 Depth=3
	s_mov_b32 s13, -1
	s_mov_b32 s36, exec_lo
                                        ; implicit-def: $sgpr34
	v_cmpx_eq_u16_e32 0x80, v13
; %bb.2943:                             ;   in Loop: Header=BB6_2479 Depth=3
	s_mov_b32 s34, 0x7f800001
	s_xor_b32 s13, exec_lo, -1
; %bb.2944:                             ;   in Loop: Header=BB6_2479 Depth=3
	s_or_b32 exec_lo, exec_lo, s36
	s_delay_alu instid0(SALU_CYCLE_1)
	s_and_b32 s13, s13, exec_lo
	s_or_saveexec_b32 s35, s35
	v_mov_b32_e32 v26, s34
	s_xor_b32 exec_lo, exec_lo, s35
	s_cbranch_execz .LBB6_2695
.LBB6_2945:                             ;   in Loop: Header=BB6_2479 Depth=3
	v_cmp_ne_u16_e32 vcc_lo, 0, v13
	v_mov_b32_e32 v26, 0
	s_and_not1_b32 s13, s13, exec_lo
	s_and_b32 vcc_lo, vcc_lo, exec_lo
	s_delay_alu instid0(SALU_CYCLE_1)
	s_or_b32 s13, s13, vcc_lo
	s_or_b32 exec_lo, exec_lo, s35
	s_and_saveexec_b32 s34, s13
	s_cbranch_execnz .LBB6_2696
	s_branch .LBB6_2697
.LBB6_2946:                             ;   in Loop: Header=BB6_2479 Depth=3
	s_mov_b32 s13, -1
	s_mov_b32 s36, exec_lo
                                        ; implicit-def: $sgpr34
	v_cmpx_eq_u16_e32 0x80, v13
; %bb.2947:                             ;   in Loop: Header=BB6_2479 Depth=3
	s_mov_b32 s34, 0x7f800001
	s_xor_b32 s13, exec_lo, -1
; %bb.2948:                             ;   in Loop: Header=BB6_2479 Depth=3
	s_or_b32 exec_lo, exec_lo, s36
	s_delay_alu instid0(SALU_CYCLE_1)
	s_and_b32 s13, s13, exec_lo
	s_or_saveexec_b32 s35, s35
	v_mov_b32_e32 v26, s34
	s_xor_b32 exec_lo, exec_lo, s35
	s_cbranch_execz .LBB6_2707
.LBB6_2949:                             ;   in Loop: Header=BB6_2479 Depth=3
	v_cmp_ne_u16_e32 vcc_lo, 0, v13
	v_mov_b32_e32 v26, 0
	s_and_not1_b32 s13, s13, exec_lo
	s_and_b32 vcc_lo, vcc_lo, exec_lo
	s_delay_alu instid0(SALU_CYCLE_1)
	s_or_b32 s13, s13, vcc_lo
	s_or_b32 exec_lo, exec_lo, s35
	s_and_saveexec_b32 s34, s13
	s_cbranch_execnz .LBB6_2708
	s_branch .LBB6_2709
.LBB6_2950:                             ;   in Loop: Header=BB6_2479 Depth=3
	s_mov_b32 s13, -1
	s_mov_b32 s36, exec_lo
                                        ; implicit-def: $sgpr34
	v_cmpx_eq_u16_e32 0x80, v13
; %bb.2951:                             ;   in Loop: Header=BB6_2479 Depth=3
	s_mov_b32 s34, 0x7f800001
	s_xor_b32 s13, exec_lo, -1
; %bb.2952:                             ;   in Loop: Header=BB6_2479 Depth=3
	s_or_b32 exec_lo, exec_lo, s36
	s_delay_alu instid0(SALU_CYCLE_1)
	s_and_b32 s13, s13, exec_lo
	s_or_saveexec_b32 s35, s35
	v_mov_b32_e32 v26, s34
	s_xor_b32 exec_lo, exec_lo, s35
	s_cbranch_execz .LBB6_2719
.LBB6_2953:                             ;   in Loop: Header=BB6_2479 Depth=3
	v_cmp_ne_u16_e32 vcc_lo, 0, v13
	v_mov_b32_e32 v26, 0
	s_and_not1_b32 s13, s13, exec_lo
	s_and_b32 vcc_lo, vcc_lo, exec_lo
	s_delay_alu instid0(SALU_CYCLE_1)
	s_or_b32 s13, s13, vcc_lo
	s_or_b32 exec_lo, exec_lo, s35
	s_and_saveexec_b32 s34, s13
	s_cbranch_execnz .LBB6_2720
	s_branch .LBB6_2721
.LBB6_2954:                             ;   in Loop: Header=BB6_2479 Depth=3
	s_mov_b32 s13, -1
	s_mov_b32 s36, exec_lo
                                        ; implicit-def: $sgpr34
	v_cmpx_eq_u16_e32 0x80, v13
; %bb.2955:                             ;   in Loop: Header=BB6_2479 Depth=3
	s_mov_b32 s34, 0x7f800001
	s_xor_b32 s13, exec_lo, -1
; %bb.2956:                             ;   in Loop: Header=BB6_2479 Depth=3
	s_or_b32 exec_lo, exec_lo, s36
	s_delay_alu instid0(SALU_CYCLE_1)
	s_and_b32 s13, s13, exec_lo
	s_or_saveexec_b32 s35, s35
	v_mov_b32_e32 v26, s34
	s_xor_b32 exec_lo, exec_lo, s35
	s_cbranch_execz .LBB6_2731
.LBB6_2957:                             ;   in Loop: Header=BB6_2479 Depth=3
	v_cmp_ne_u16_e32 vcc_lo, 0, v13
	v_mov_b32_e32 v26, 0
	s_and_not1_b32 s13, s13, exec_lo
	s_and_b32 vcc_lo, vcc_lo, exec_lo
	s_delay_alu instid0(SALU_CYCLE_1)
	s_or_b32 s13, s13, vcc_lo
	s_or_b32 exec_lo, exec_lo, s35
	s_and_saveexec_b32 s34, s13
	s_cbranch_execnz .LBB6_2732
	s_branch .LBB6_2733
.LBB6_2958:                             ;   in Loop: Header=BB6_2479 Depth=3
	s_mov_b32 s13, -1
	s_mov_b32 s36, exec_lo
                                        ; implicit-def: $sgpr34
	v_cmpx_eq_u16_e32 0x80, v26
; %bb.2959:                             ;   in Loop: Header=BB6_2479 Depth=3
	s_mov_b32 s34, 0x7f800001
	s_xor_b32 s13, exec_lo, -1
; %bb.2960:                             ;   in Loop: Header=BB6_2479 Depth=3
	s_or_b32 exec_lo, exec_lo, s36
	s_delay_alu instid0(SALU_CYCLE_1)
	s_and_b32 s13, s13, exec_lo
	s_or_saveexec_b32 s35, s35
	v_mov_b32_e32 v27, s34
	s_xor_b32 exec_lo, exec_lo, s35
	s_cbranch_execz .LBB6_2743
.LBB6_2961:                             ;   in Loop: Header=BB6_2479 Depth=3
	v_cmp_ne_u16_e32 vcc_lo, 0, v26
	v_mov_b32_e32 v27, 0
	s_and_not1_b32 s13, s13, exec_lo
	s_and_b32 vcc_lo, vcc_lo, exec_lo
	s_delay_alu instid0(SALU_CYCLE_1)
	s_or_b32 s13, s13, vcc_lo
	s_or_b32 exec_lo, exec_lo, s35
	s_and_saveexec_b32 s34, s13
	s_cbranch_execnz .LBB6_2744
	s_branch .LBB6_2745
.LBB6_2962:                             ;   in Loop: Header=BB6_2479 Depth=3
	s_mov_b32 s13, -1
	s_mov_b32 s36, exec_lo
                                        ; implicit-def: $sgpr34
	v_cmpx_eq_u16_e32 0x80, v27
; %bb.2963:                             ;   in Loop: Header=BB6_2479 Depth=3
	s_mov_b32 s34, 0x7f800001
	s_xor_b32 s13, exec_lo, -1
; %bb.2964:                             ;   in Loop: Header=BB6_2479 Depth=3
	s_or_b32 exec_lo, exec_lo, s36
	s_delay_alu instid0(SALU_CYCLE_1)
	s_and_b32 s13, s13, exec_lo
	s_or_saveexec_b32 s35, s35
	v_mov_b32_e32 v36, s34
	s_xor_b32 exec_lo, exec_lo, s35
	s_cbranch_execz .LBB6_2755
.LBB6_2965:                             ;   in Loop: Header=BB6_2479 Depth=3
	v_cmp_ne_u16_e32 vcc_lo, 0, v27
	v_mov_b32_e32 v36, 0
	s_and_not1_b32 s13, s13, exec_lo
	s_and_b32 vcc_lo, vcc_lo, exec_lo
	s_delay_alu instid0(SALU_CYCLE_1)
	s_or_b32 s13, s13, vcc_lo
	s_or_b32 exec_lo, exec_lo, s35
	s_and_saveexec_b32 s34, s13
	s_cbranch_execnz .LBB6_2756
	s_branch .LBB6_2757
.LBB6_2966:                             ;   in Loop: Header=BB6_2479 Depth=3
	s_mov_b32 s13, -1
	s_mov_b32 s36, exec_lo
                                        ; implicit-def: $sgpr34
	v_cmpx_eq_u16_e32 0x80, v36
; %bb.2967:                             ;   in Loop: Header=BB6_2479 Depth=3
	s_mov_b32 s34, 0x7f800001
	s_xor_b32 s13, exec_lo, -1
; %bb.2968:                             ;   in Loop: Header=BB6_2479 Depth=3
	s_or_b32 exec_lo, exec_lo, s36
	s_delay_alu instid0(SALU_CYCLE_1)
	s_and_b32 s13, s13, exec_lo
	s_or_saveexec_b32 s35, s35
	v_mov_b32_e32 v37, s34
	s_xor_b32 exec_lo, exec_lo, s35
	s_cbranch_execz .LBB6_2767
.LBB6_2969:                             ;   in Loop: Header=BB6_2479 Depth=3
	v_cmp_ne_u16_e32 vcc_lo, 0, v36
	v_mov_b32_e32 v37, 0
	s_and_not1_b32 s13, s13, exec_lo
	s_and_b32 vcc_lo, vcc_lo, exec_lo
	s_delay_alu instid0(SALU_CYCLE_1)
	s_or_b32 s13, s13, vcc_lo
	s_or_b32 exec_lo, exec_lo, s35
	s_and_saveexec_b32 s34, s13
	s_cbranch_execnz .LBB6_2768
	s_branch .LBB6_2769
.LBB6_2970:                             ;   in Loop: Header=BB6_2479 Depth=3
	s_mov_b32 s13, -1
	s_mov_b32 s36, exec_lo
                                        ; implicit-def: $sgpr34
	v_cmpx_eq_u16_e32 0x80, v37
; %bb.2971:                             ;   in Loop: Header=BB6_2479 Depth=3
	s_mov_b32 s34, 0x7f800001
	s_xor_b32 s13, exec_lo, -1
; %bb.2972:                             ;   in Loop: Header=BB6_2479 Depth=3
	s_or_b32 exec_lo, exec_lo, s36
	s_delay_alu instid0(SALU_CYCLE_1)
	s_and_b32 s13, s13, exec_lo
	s_or_saveexec_b32 s35, s35
	v_mov_b32_e32 v38, s34
	s_xor_b32 exec_lo, exec_lo, s35
	s_cbranch_execz .LBB6_2779
.LBB6_2973:                             ;   in Loop: Header=BB6_2479 Depth=3
	v_cmp_ne_u16_e32 vcc_lo, 0, v37
	v_mov_b32_e32 v38, 0
	s_and_not1_b32 s13, s13, exec_lo
	s_and_b32 vcc_lo, vcc_lo, exec_lo
	s_delay_alu instid0(SALU_CYCLE_1)
	s_or_b32 s13, s13, vcc_lo
	s_or_b32 exec_lo, exec_lo, s35
	s_and_saveexec_b32 s34, s13
	s_cbranch_execnz .LBB6_2780
	s_branch .LBB6_2781
.LBB6_2974:                             ;   in Loop: Header=BB6_2479 Depth=3
	s_mov_b32 s13, -1
	s_mov_b32 s36, exec_lo
                                        ; implicit-def: $sgpr34
	v_cmpx_eq_u16_e32 0x80, v38
; %bb.2975:                             ;   in Loop: Header=BB6_2479 Depth=3
	s_mov_b32 s34, 0x7f800001
	s_xor_b32 s13, exec_lo, -1
; %bb.2976:                             ;   in Loop: Header=BB6_2479 Depth=3
	s_or_b32 exec_lo, exec_lo, s36
	s_delay_alu instid0(SALU_CYCLE_1)
	s_and_b32 s13, s13, exec_lo
	s_or_saveexec_b32 s35, s35
	v_mov_b32_e32 v39, s34
	s_xor_b32 exec_lo, exec_lo, s35
	s_cbranch_execz .LBB6_2791
.LBB6_2977:                             ;   in Loop: Header=BB6_2479 Depth=3
	v_cmp_ne_u16_e32 vcc_lo, 0, v38
	v_mov_b32_e32 v39, 0
	s_and_not1_b32 s13, s13, exec_lo
	s_and_b32 vcc_lo, vcc_lo, exec_lo
	s_delay_alu instid0(SALU_CYCLE_1)
	s_or_b32 s13, s13, vcc_lo
	s_or_b32 exec_lo, exec_lo, s35
	s_and_saveexec_b32 s34, s13
	s_cbranch_execnz .LBB6_2792
	s_branch .LBB6_2793
.LBB6_2978:                             ;   in Loop: Header=BB6_2479 Depth=3
	s_mov_b32 s13, -1
	s_mov_b32 s36, exec_lo
                                        ; implicit-def: $sgpr34
	v_cmpx_eq_u16_e32 0x80, v39
; %bb.2979:                             ;   in Loop: Header=BB6_2479 Depth=3
	s_mov_b32 s34, 0x7f800001
	s_xor_b32 s13, exec_lo, -1
; %bb.2980:                             ;   in Loop: Header=BB6_2479 Depth=3
	s_or_b32 exec_lo, exec_lo, s36
	s_delay_alu instid0(SALU_CYCLE_1)
	s_and_b32 s13, s13, exec_lo
	s_or_saveexec_b32 s35, s35
	v_mov_b32_e32 v48, s34
	s_xor_b32 exec_lo, exec_lo, s35
	s_cbranch_execz .LBB6_2803
.LBB6_2981:                             ;   in Loop: Header=BB6_2479 Depth=3
	v_cmp_ne_u16_e32 vcc_lo, 0, v39
	v_mov_b32_e32 v48, 0
	s_and_not1_b32 s13, s13, exec_lo
	s_and_b32 vcc_lo, vcc_lo, exec_lo
	s_delay_alu instid0(SALU_CYCLE_1)
	s_or_b32 s13, s13, vcc_lo
	s_or_b32 exec_lo, exec_lo, s35
	s_and_saveexec_b32 s34, s13
	s_cbranch_execnz .LBB6_2804
	s_branch .LBB6_2805
.LBB6_2982:                             ;   in Loop: Header=BB6_2479 Depth=3
	s_mov_b32 s13, -1
	s_mov_b32 s36, exec_lo
                                        ; implicit-def: $sgpr34
	v_cmpx_eq_u16_e32 0x80, v48
; %bb.2983:                             ;   in Loop: Header=BB6_2479 Depth=3
	s_mov_b32 s34, 0x7f800001
	s_xor_b32 s13, exec_lo, -1
; %bb.2984:                             ;   in Loop: Header=BB6_2479 Depth=3
	s_or_b32 exec_lo, exec_lo, s36
	s_delay_alu instid0(SALU_CYCLE_1)
	s_and_b32 s13, s13, exec_lo
	s_or_saveexec_b32 s35, s35
	v_mov_b32_e32 v49, s34
	s_xor_b32 exec_lo, exec_lo, s35
	s_cbranch_execz .LBB6_2815
.LBB6_2985:                             ;   in Loop: Header=BB6_2479 Depth=3
	v_cmp_ne_u16_e32 vcc_lo, 0, v48
	v_mov_b32_e32 v49, 0
	s_and_not1_b32 s13, s13, exec_lo
	s_and_b32 vcc_lo, vcc_lo, exec_lo
	s_delay_alu instid0(SALU_CYCLE_1)
	s_or_b32 s13, s13, vcc_lo
	s_or_b32 exec_lo, exec_lo, s35
	s_and_saveexec_b32 s34, s13
	s_cbranch_execnz .LBB6_2816
	s_branch .LBB6_2817
.LBB6_2986:                             ;   in Loop: Header=BB6_2479 Depth=3
	s_mov_b32 s13, -1
	s_mov_b32 s36, exec_lo
                                        ; implicit-def: $sgpr34
	v_cmpx_eq_u16_e32 0x80, v49
; %bb.2987:                             ;   in Loop: Header=BB6_2479 Depth=3
	s_mov_b32 s34, 0x7f800001
	s_xor_b32 s13, exec_lo, -1
; %bb.2988:                             ;   in Loop: Header=BB6_2479 Depth=3
	s_or_b32 exec_lo, exec_lo, s36
	s_delay_alu instid0(SALU_CYCLE_1)
	s_and_b32 s13, s13, exec_lo
	s_or_saveexec_b32 s35, s35
	v_mov_b32_e32 v52, s34
	s_xor_b32 exec_lo, exec_lo, s35
	s_cbranch_execz .LBB6_2827
.LBB6_2989:                             ;   in Loop: Header=BB6_2479 Depth=3
	v_cmp_ne_u16_e32 vcc_lo, 0, v49
	v_mov_b32_e32 v52, 0
	s_and_not1_b32 s13, s13, exec_lo
	s_and_b32 vcc_lo, vcc_lo, exec_lo
	s_delay_alu instid0(SALU_CYCLE_1)
	s_or_b32 s13, s13, vcc_lo
	s_or_b32 exec_lo, exec_lo, s35
	s_and_saveexec_b32 s34, s13
	s_cbranch_execnz .LBB6_2828
	s_branch .LBB6_2829
.LBB6_2990:                             ;   in Loop: Header=BB6_2479 Depth=3
	s_mov_b32 s13, -1
	s_mov_b32 s36, exec_lo
                                        ; implicit-def: $sgpr34
	v_cmpx_eq_u16_e32 0x80, v52
; %bb.2991:                             ;   in Loop: Header=BB6_2479 Depth=3
	s_mov_b32 s34, 0x7f800001
	s_xor_b32 s13, exec_lo, -1
; %bb.2992:                             ;   in Loop: Header=BB6_2479 Depth=3
	s_or_b32 exec_lo, exec_lo, s36
	s_delay_alu instid0(SALU_CYCLE_1)
	s_and_b32 s13, s13, exec_lo
	s_or_saveexec_b32 s35, s35
	v_mov_b32_e32 v53, s34
	s_xor_b32 exec_lo, exec_lo, s35
	s_cbranch_execz .LBB6_2839
.LBB6_2993:                             ;   in Loop: Header=BB6_2479 Depth=3
	v_cmp_ne_u16_e32 vcc_lo, 0, v52
	v_mov_b32_e32 v53, 0
	s_and_not1_b32 s13, s13, exec_lo
	s_and_b32 vcc_lo, vcc_lo, exec_lo
	s_delay_alu instid0(SALU_CYCLE_1)
	s_or_b32 s13, s13, vcc_lo
	s_or_b32 exec_lo, exec_lo, s35
	s_and_saveexec_b32 s34, s13
	s_cbranch_execnz .LBB6_2840
	s_branch .LBB6_2841
.LBB6_2994:                             ;   in Loop: Header=BB6_2479 Depth=3
	s_mov_b32 s13, -1
	s_mov_b32 s36, exec_lo
                                        ; implicit-def: $sgpr34
	v_cmpx_eq_u16_e32 0x80, v53
; %bb.2995:                             ;   in Loop: Header=BB6_2479 Depth=3
	s_mov_b32 s34, 0x7f800001
	s_xor_b32 s13, exec_lo, -1
; %bb.2996:                             ;   in Loop: Header=BB6_2479 Depth=3
	s_or_b32 exec_lo, exec_lo, s36
	s_delay_alu instid0(SALU_CYCLE_1)
	s_and_b32 s13, s13, exec_lo
	s_or_saveexec_b32 s35, s35
	v_mov_b32_e32 v54, s34
	s_xor_b32 exec_lo, exec_lo, s35
	s_cbranch_execz .LBB6_2851
.LBB6_2997:                             ;   in Loop: Header=BB6_2479 Depth=3
	v_cmp_ne_u16_e32 vcc_lo, 0, v53
	v_mov_b32_e32 v54, 0
	s_and_not1_b32 s13, s13, exec_lo
	s_and_b32 vcc_lo, vcc_lo, exec_lo
	s_delay_alu instid0(SALU_CYCLE_1)
	s_or_b32 s13, s13, vcc_lo
	s_or_b32 exec_lo, exec_lo, s35
	s_and_saveexec_b32 s34, s13
	s_cbranch_execnz .LBB6_2852
	s_branch .LBB6_2853
.LBB6_2998:                             ;   in Loop: Header=BB6_2479 Depth=3
	s_mov_b32 s13, -1
	s_mov_b32 s36, exec_lo
                                        ; implicit-def: $sgpr34
	v_cmpx_eq_u16_e32 0x80, v16
; %bb.2999:                             ;   in Loop: Header=BB6_2479 Depth=3
	s_mov_b32 s34, 0x7f800001
	s_xor_b32 s13, exec_lo, -1
; %bb.3000:                             ;   in Loop: Header=BB6_2479 Depth=3
	s_or_b32 exec_lo, exec_lo, s36
	s_delay_alu instid0(SALU_CYCLE_1)
	s_and_b32 s13, s13, exec_lo
	s_or_saveexec_b32 s35, s35
	v_mov_b32_e32 v17, s34
	s_xor_b32 exec_lo, exec_lo, s35
	s_cbranch_execz .LBB6_2863
.LBB6_3001:                             ;   in Loop: Header=BB6_2479 Depth=3
	v_cmp_ne_u16_e32 vcc_lo, 0, v16
	v_mov_b32_e32 v17, 0
	s_and_not1_b32 s13, s13, exec_lo
	s_and_b32 vcc_lo, vcc_lo, exec_lo
	s_delay_alu instid0(SALU_CYCLE_1)
	s_or_b32 s13, s13, vcc_lo
	s_or_b32 exec_lo, exec_lo, s35
	s_and_saveexec_b32 s34, s13
	s_cbranch_execnz .LBB6_2864
	s_branch .LBB6_2865
.LBB6_3002:                             ;   in Loop: Header=BB6_59 Depth=2
	s_or_b32 exec_lo, exec_lo, s31
.LBB6_3003:                             ;   in Loop: Header=BB6_59 Depth=2
	s_delay_alu instid0(SALU_CYCLE_1) | instskip(SKIP_2) | instid1(VALU_DEP_1)
	s_or_b32 exec_lo, exec_lo, s30
	v_lshlrev_b32_e32 v8, 10, v21
	s_mov_b32 s30, exec_lo
	v_cmpx_ne_u32_e64 v19, v8
	s_cbranch_execz .LBB6_3034
; %bb.3004:                             ;   in Loop: Header=BB6_59 Depth=2
	v_ashrrev_i32_e32 v9, 31, v20
	v_lshlrev_b32_e32 v2, 5, v2
	s_delay_alu instid0(VALU_DEP_2) | instskip(NEXT) | instid1(VALU_DEP_1)
	v_lshrrev_b32_e32 v9, 27, v9
	v_add_nc_u32_e32 v9, v20, v9
	s_delay_alu instid0(VALU_DEP_1) | instskip(NEXT) | instid1(VALU_DEP_1)
	v_and_b32_e32 v9, 0xffffffe0, v9
	v_sub_nc_u32_e32 v9, v20, v9
	s_delay_alu instid0(VALU_DEP_1) | instskip(NEXT) | instid1(VALU_DEP_1)
	v_sub_nc_u32_e32 v2, v9, v2
	v_add_nc_u32_e32 v10, v8, v2
	s_delay_alu instid0(VALU_DEP_1) | instskip(NEXT) | instid1(VALU_DEP_1)
	v_sub_nc_u32_e32 v2, v19, v10
	v_cmp_lt_i32_e32 vcc_lo, 0, v2
	s_and_b32 exec_lo, exec_lo, vcc_lo
	s_cbranch_execz .LBB6_3034
; %bb.3005:                             ;   in Loop: Header=BB6_59 Depth=2
	s_cbranch_execz .LBB6_3006
; %bb.18567:
	s_getpc_b64 s[48:49]
.Lpost_getpc310:
	s_add_u32 s48, s48, (.LBB6_18169-.Lpost_getpc310)&4294967295
	s_addc_u32 s49, s49, (.LBB6_18169-.Lpost_getpc310)>>32
	s_setpc_b64 s[48:49]
.LBB6_3006:                             ;   in Loop: Header=BB6_59 Depth=2
	ds_load_b64 v[8:9], v0
	v_add_nc_u32_e32 v13, v10, v18
	s_mov_b32 s31, 0
	s_delay_alu instid0(VALU_DEP_1)
	v_ashrrev_i32_e32 v16, 31, v13
.LBB6_3007:                             ;   Parent Loop BB6_51 Depth=1
                                        ;     Parent Loop BB6_59 Depth=2
                                        ; =>    This Inner Loop Header: Depth=3
	s_cbranch_execz .LBB6_3008
; %bb.18569:
	s_getpc_b64 s[48:49]
.Lpost_getpc311:
	s_add_u32 s48, s48, (.LBB6_18171-.Lpost_getpc311)&4294967295
	s_addc_u32 s49, s49, (.LBB6_18171-.Lpost_getpc311)>>32
	s_setpc_b64 s[48:49]
.LBB6_3008:                             ;   in Loop: Header=BB6_3007 Depth=3
	ds_load_b64 v[10:11], v0
	s_waitcnt lgkmcnt(0)
	v_and_b32_e32 v11, 0xff, v10
	v_readfirstlane_b32 s13, v10
	s_delay_alu instid0(VALU_DEP_2)
	v_cmp_gt_i16_e32 vcc_lo, 0x80, v11
	s_cbranch_vccnz .LBB6_3012
; %bb.3009:                             ;   in Loop: Header=BB6_3007 Depth=3
	v_cmp_eq_u16_e32 vcc_lo, 0x80, v11
	s_mov_b32 s34, -1
                                        ; implicit-def: $sgpr35
	s_cbranch_vccz .LBB6_3011
; %bb.3010:                             ;   in Loop: Header=BB6_3007 Depth=3
	s_mov_b32 s34, 0
	s_mov_b32 s35, 0x7f800001
.LBB6_3011:                             ;   in Loop: Header=BB6_3007 Depth=3
	s_mov_b32 vcc_lo, 0
	s_branch .LBB6_3013
.LBB6_3012:                             ;   in Loop: Header=BB6_3007 Depth=3
	s_mov_b32 vcc_lo, -1
	s_mov_b32 s34, 0
                                        ; implicit-def: $sgpr35
.LBB6_3013:                             ;   in Loop: Header=BB6_3007 Depth=3
	s_and_b32 vcc_lo, exec_lo, vcc_lo
	s_cbranch_vccz .LBB6_3015
; %bb.3014:                             ;   in Loop: Header=BB6_3007 Depth=3
	v_cmp_ne_u16_e64 s34, 0, v11
	s_mov_b32 s35, 0
.LBB6_3015:                             ;   in Loop: Header=BB6_3007 Depth=3
	s_delay_alu instid0(SALU_CYCLE_1) | instskip(NEXT) | instid1(VALU_DEP_2)
	v_mov_b32_e32 v17, s35
	s_and_not1_b32 vcc_lo, exec_lo, s34
	s_cbranch_vccnz .LBB6_3017
; %bb.3016:                             ;   in Loop: Header=BB6_3007 Depth=3
	s_and_b32 vcc_lo, s13, 3
	s_bfe_u32 s35, s13, 0x50002
	s_clz_i32_u32 s34, vcc_lo
	v_lshlrev_b32_e32 v10, 24, v10
	s_min_u32 s34, s34, 32
	s_delay_alu instid0(SALU_CYCLE_1)
	s_sub_i32 s36, s34, 29
	s_sub_i32 s34, 30, s34
	s_lshl_b32 s13, s13, s36
	v_and_b32_e32 v10, 0x80000000, v10
	s_and_b32 s13, s13, 3
	s_cmp_eq_u32 s35, 0
	s_cselect_b32 s34, s34, s35
	s_cselect_b32 s13, s13, vcc_lo
	s_lshl_b32 vcc_lo, s34, 23
	s_lshl_b32 s13, s13, 21
	s_add_i32 vcc_lo, vcc_lo, 0x37800000
	s_delay_alu instid0(SALU_CYCLE_1) | instskip(NEXT) | instid1(VALU_DEP_1)
	v_or_b32_e32 v10, vcc_lo, v10
	v_or_b32_e32 v17, s13, v10
.LBB6_3017:                             ;   in Loop: Header=BB6_3007 Depth=3
	v_add_co_u32 v10, vcc_lo, v8, v13
	v_add_co_ci_u32_e32 v11, vcc_lo, v9, v16, vcc_lo
	s_mov_b32 s13, 0
	s_mov_b32 s35, exec_lo
                                        ; implicit-def: $sgpr34
	flat_load_u8 v18, v[10:11] slc dlc
	s_waitcnt vmcnt(0) lgkmcnt(0)
	v_cmpx_lt_i16_e32 0x7f, v18
	s_xor_b32 s35, exec_lo, s35
	s_cbranch_execnz .LBB6_3030
; %bb.3018:                             ;   in Loop: Header=BB6_3007 Depth=3
	s_or_saveexec_b32 s35, s35
	v_mov_b32_e32 v19, s34
	s_xor_b32 exec_lo, exec_lo, s35
	s_cbranch_execnz .LBB6_3033
.LBB6_3019:                             ;   in Loop: Header=BB6_3007 Depth=3
	s_or_b32 exec_lo, exec_lo, s35
	s_and_saveexec_b32 s34, s13
	s_cbranch_execz .LBB6_3021
.LBB6_3020:                             ;   in Loop: Header=BB6_3007 Depth=3
	v_and_b32_e32 v19, 0xffff, v18
	v_lshlrev_b32_e32 v18, 24, v18
	s_delay_alu instid0(VALU_DEP_2) | instskip(NEXT) | instid1(VALU_DEP_2)
	v_and_b32_e32 v20, 3, v19
	v_and_b32_e32 v18, 0x80000000, v18
	s_delay_alu instid0(VALU_DEP_2) | instskip(NEXT) | instid1(VALU_DEP_1)
	v_clz_i32_u32_e32 v21, v20
	v_min_u32_e32 v21, 32, v21
	s_delay_alu instid0(VALU_DEP_1) | instskip(SKIP_1) | instid1(VALU_DEP_2)
	v_subrev_nc_u32_e32 v26, 29, v21
	v_sub_nc_u32_e32 v21, 30, v21
	v_lshlrev_b32_e32 v26, v26, v19
	v_bfe_u32 v19, v19, 2, 5
	s_delay_alu instid0(VALU_DEP_2) | instskip(NEXT) | instid1(VALU_DEP_2)
	v_and_b32_e32 v26, 3, v26
	v_cmp_eq_u32_e32 vcc_lo, 0, v19
	s_delay_alu instid0(VALU_DEP_2) | instskip(NEXT) | instid1(VALU_DEP_1)
	v_dual_cndmask_b32 v19, v19, v21 :: v_dual_cndmask_b32 v20, v20, v26
	v_lshl_add_u32 v19, v19, 23, 0x37800000
	s_delay_alu instid0(VALU_DEP_2) | instskip(NEXT) | instid1(VALU_DEP_1)
	v_lshlrev_b32_e32 v20, 21, v20
	v_or3_b32 v19, v18, v19, v20
.LBB6_3021:                             ;   in Loop: Header=BB6_3007 Depth=3
	s_or_b32 exec_lo, exec_lo, s34
	s_delay_alu instid0(VALU_DEP_1) | instskip(NEXT) | instid1(VALU_DEP_1)
	v_mul_f32_e32 v17, v17, v19
	v_and_b32_e32 v18, 0x7f800000, v17
	s_delay_alu instid0(VALU_DEP_1)
	v_cmp_ne_u32_e32 vcc_lo, 0x7f800000, v18
	v_mov_b32_e32 v18, 0x80
	s_and_saveexec_b32 s34, vcc_lo
	s_cbranch_execz .LBB6_3029
; %bb.3022:                             ;   in Loop: Header=BB6_3007 Depth=3
	v_mov_b32_e32 v18, 0
	s_mov_b32 s35, exec_lo
	v_cmpx_ne_u32_e32 0, v17
	s_cbranch_execz .LBB6_3028
; %bb.3023:                             ;   in Loop: Header=BB6_3007 Depth=3
	v_bfe_u32 v18, v17, 23, 8
	s_delay_alu instid0(VALU_DEP_1) | instskip(SKIP_1) | instid1(VALU_DEP_2)
	v_sub_nc_u32_e32 v20, 0x70, v18
	v_cmp_gt_u32_e32 vcc_lo, 0x71, v18
	v_dual_cndmask_b32 v20, 0, v20 :: v_dual_and_b32 v19, 0x7fffff, v17
	s_delay_alu instid0(VALU_DEP_1) | instskip(SKIP_2) | instid1(VALU_DEP_4)
	v_or_b32_e32 v21, 0x800000, v19
	v_cmp_eq_u32_e32 vcc_lo, 0, v18
	v_add_nc_u32_e32 v18, 0xffffff91, v18
	v_cndmask_b32_e64 v20, v20, 0x6f, vcc_lo
	s_delay_alu instid0(VALU_DEP_4) | instskip(NEXT) | instid1(VALU_DEP_3)
	v_cndmask_b32_e32 v19, v21, v19, vcc_lo
	v_cndmask_b32_e64 v18, v18, 0xffffff92, vcc_lo
	s_delay_alu instid0(VALU_DEP_3) | instskip(NEXT) | instid1(VALU_DEP_3)
	v_lshl_add_u32 v21, 0x200000, v20, -1
	v_lshrrev_b32_e32 v26, v20, v19
	v_lshlrev_b32_e64 v36, v20, 0x100000
	s_delay_alu instid0(VALU_DEP_4) | instskip(NEXT) | instid1(VALU_DEP_4)
	v_add_nc_u32_e32 v20, v20, v18
	v_and_b32_e32 v19, v21, v19
	s_delay_alu instid0(VALU_DEP_4) | instskip(NEXT) | instid1(VALU_DEP_2)
	v_bfe_u32 v27, v26, 21, 1
	v_cmp_eq_u32_e64 s13, v19, v36
	s_delay_alu instid0(VALU_DEP_2) | instskip(NEXT) | instid1(VALU_DEP_1)
	v_add_nc_u32_e32 v21, -1, v27
	v_cndmask_b32_e64 v19, 0, v21, s13
	v_lshrrev_b32_e32 v21, 23, v26
	s_mov_b32 s13, exec_lo
	s_delay_alu instid0(VALU_DEP_2) | instskip(NEXT) | instid1(VALU_DEP_2)
	v_add_nc_u32_e32 v19, v19, v26
	v_xor_b32_e32 v21, 1, v21
	s_delay_alu instid0(VALU_DEP_2) | instskip(NEXT) | instid1(VALU_DEP_1)
	v_and_b32_e32 v18, 0x1fffff, v19
	v_add_nc_u32_e32 v19, v18, v26
                                        ; implicit-def: $vgpr18
	s_delay_alu instid0(VALU_DEP_3)
	v_cmpx_ne_u32_e64 v20, v21
	s_xor_b32 s13, exec_lo, s13
; %bb.3024:                             ;   in Loop: Header=BB6_3007 Depth=3
	s_delay_alu instid0(VALU_DEP_2) | instskip(SKIP_2) | instid1(VALU_DEP_2)
	v_cmp_lt_u32_e32 vcc_lo, 0xffffff, v19
	v_sub_nc_u32_e32 v18, v20, v21
	v_cndmask_b32_e64 v20, 0, 1, vcc_lo
	v_add_co_ci_u32_e32 v18, vcc_lo, 0, v18, vcc_lo
	s_delay_alu instid0(VALU_DEP_2)
	v_lshrrev_b32_e32 v19, v20, v19
; %bb.3025:                             ;   in Loop: Header=BB6_3007 Depth=3
	s_and_not1_saveexec_b32 s13, s13
; %bb.3026:                             ;   in Loop: Header=BB6_3007 Depth=3
	s_delay_alu instid0(VALU_DEP_1)
	v_bfe_u32 v18, v19, 23, 1
; %bb.3027:                             ;   in Loop: Header=BB6_3007 Depth=3
	s_or_b32 exec_lo, exec_lo, s13
	v_lshrrev_b32_e32 v19, 21, v19
	s_delay_alu instid0(VALU_DEP_2) | instskip(SKIP_2) | instid1(VALU_DEP_2)
	v_cmp_gt_i32_e32 vcc_lo, 32, v18
	v_min_i32_e32 v20, 31, v18
	v_lshrrev_b32_e32 v17, 24, v17
	v_dual_cndmask_b32 v19, 3, v19 :: v_dual_lshlrev_b32 v20, 2, v20
	s_delay_alu instid0(VALU_DEP_2) | instskip(NEXT) | instid1(VALU_DEP_2)
	v_and_b32_e32 v17, 0x80, v17
	v_or_b32_e32 v18, v18, v19
	s_delay_alu instid0(VALU_DEP_1) | instskip(SKIP_1) | instid1(VALU_DEP_1)
	v_cmp_ne_u32_e32 vcc_lo, 0, v18
	v_and_b32_e32 v21, 3, v19
	v_or3_b32 v17, v20, v17, v21
	s_delay_alu instid0(VALU_DEP_1)
	v_cndmask_b32_e32 v18, 0, v17, vcc_lo
.LBB6_3028:                             ;   in Loop: Header=BB6_3007 Depth=3
	s_or_b32 exec_lo, exec_lo, s35
.LBB6_3029:                             ;   in Loop: Header=BB6_3007 Depth=3
	s_delay_alu instid0(SALU_CYCLE_1)
	s_or_b32 exec_lo, exec_lo, s34
	v_and_b32_e32 v17, 0xffffffe0, v1
	flat_store_b8 v[10:11], v18 glc slc dlc
	v_sub_nc_u32_e32 v2, v2, v17
	scratch_load_b32 v17, off, s33 offset:528 ; 4-byte Folded Reload
	v_cmp_gt_i32_e32 vcc_lo, 1, v2
	s_or_b32 s31, vcc_lo, s31
	s_waitcnt vmcnt(0)
	v_add_co_u32 v13, s13, v13, v17
	scratch_load_b32 v17, off, s33 offset:532 ; 4-byte Folded Reload
	s_waitcnt vmcnt(0)
	v_add_co_ci_u32_e64 v16, s13, v16, v17, s13
	s_and_not1_b32 exec_lo, exec_lo, s31
	s_cbranch_execnz .LBB6_3007
	s_branch .LBB6_3034
.LBB6_3030:                             ;   in Loop: Header=BB6_3007 Depth=3
	s_mov_b32 s13, -1
	s_mov_b32 s36, exec_lo
                                        ; implicit-def: $sgpr34
	v_cmpx_eq_u16_e32 0x80, v18
; %bb.3031:                             ;   in Loop: Header=BB6_3007 Depth=3
	s_mov_b32 s34, 0x7f800001
	s_xor_b32 s13, exec_lo, -1
; %bb.3032:                             ;   in Loop: Header=BB6_3007 Depth=3
	s_or_b32 exec_lo, exec_lo, s36
	s_delay_alu instid0(SALU_CYCLE_1)
	s_and_b32 s13, s13, exec_lo
	s_or_saveexec_b32 s35, s35
	v_mov_b32_e32 v19, s34
	s_xor_b32 exec_lo, exec_lo, s35
	s_cbranch_execz .LBB6_3019
.LBB6_3033:                             ;   in Loop: Header=BB6_3007 Depth=3
	v_cmp_ne_u16_e32 vcc_lo, 0, v18
	v_mov_b32_e32 v19, 0
	s_and_not1_b32 s13, s13, exec_lo
	s_and_b32 vcc_lo, vcc_lo, exec_lo
	s_delay_alu instid0(SALU_CYCLE_1)
	s_or_b32 s13, s13, vcc_lo
	s_or_b32 exec_lo, exec_lo, s35
	s_and_saveexec_b32 s34, s13
	s_cbranch_execnz .LBB6_3020
	s_branch .LBB6_3021
.LBB6_3034:                             ;   in Loop: Header=BB6_59 Depth=2
	s_or_b32 exec_lo, exec_lo, s30
	scratch_load_b32 v156, off, s33 offset:512 ; 4-byte Folded Reload
	v_mov_b32_e32 v16, v98
.LBB6_3035:                             ;   in Loop: Header=BB6_59 Depth=2
	s_or_b32 exec_lo, exec_lo, s14
	s_clause 0x1d
	scratch_load_b64 v[137:138], off, s33 offset:536
	scratch_load_b32 v139, off, s33 offset:544
	scratch_load_b32 v140, off, s33 offset:548
	scratch_load_b64 v[141:142], off, s33 offset:552
	scratch_load_b64 v[152:153], off, s33 offset:560
	;; [unrolled: 1-line block ×4, first 2 shown]
	scratch_load_b32 v143, off, s33 offset:584
	scratch_load_b32 v157, off, s33 offset:516
	;; [unrolled: 1-line block ×3, first 2 shown]
	scratch_load_b64 v[168:169], off, s33 offset:588
	scratch_load_b32 v159, off, s33 offset:596
	scratch_load_b32 v146, off, s33 offset:492
	;; [unrolled: 1-line block ×14, first 2 shown]
	scratch_load_b64 v[19:20], off, s33 offset:620
	scratch_load_b32 v183, off, s33 offset:628
	scratch_load_b32 v43, off, s33 offset:632
	;; [unrolled: 1-line block ×4, first 2 shown]
	v_readlane_b32 s13, v190, 0
	v_readlane_b32 s14, v190, 5
	;; [unrolled: 1-line block ×6, first 2 shown]
	v_lshrrev_b32_e32 v114, 5, v1
	v_and_b32_e32 v171, 0xffffffe0, v1
	v_mov_b32_e32 v21, 1
	s_mov_b32 s34, s5
	s_mov_b32 s5, s13
	;; [unrolled: 1-line block ×5, first 2 shown]
.LBB6_3036:                             ;   in Loop: Header=BB6_59 Depth=2
	s_and_saveexec_b32 s2, s3
	s_cbranch_execz .LBB6_3058
; %bb.3037:                             ;   in Loop: Header=BB6_59 Depth=2
	v_mov_b32_e32 v13, 1
	s_and_saveexec_b32 s6, s4
	s_delay_alu instid0(SALU_CYCLE_1)
	s_xor_b32 s6, exec_lo, s6
	s_cbranch_execz .LBB6_3055
; %bb.3038:                             ;   in Loop: Header=BB6_59 Depth=2
	s_and_saveexec_b32 s13, s1
	s_cbranch_execz .LBB6_3054
; %bb.3039:                             ;   in Loop: Header=BB6_59 Depth=2
	s_mov_b32 s40, exec_lo
	s_mov_b32 s29, exec_lo
	v_mbcnt_lo_u32_b32 v2, s40, 0
	s_waitcnt vmcnt(0) lgkmcnt(0)
	s_waitcnt_vscnt null, 0x0
	buffer_gl1_inv
	buffer_gl0_inv
	v_cmpx_eq_u32_e32 0, v2
	s_cbranch_execz .LBB6_3041
; %bb.3040:                             ;   in Loop: Header=BB6_59 Depth=2
	s_bcnt1_i32_b32 vcc_lo, s40
	s_delay_alu instid0(SALU_CYCLE_1)
	v_mov_b32_e32 v2, vcc_lo
	ds_add_u64 v0, v[2:3]
	s_cbranch_execz .LBB6_3041
; %bb.18571:
	s_getpc_b64 s[48:49]
.Lpost_getpc312:
	s_add_u32 s48, s48, (.LBB6_18127-.Lpost_getpc312)&4294967295
	s_addc_u32 s49, s49, (.LBB6_18127-.Lpost_getpc312)>>32
	s_setpc_b64 s[48:49]
.LBB6_3041:                             ;   in Loop: Header=BB6_59 Depth=2
	s_or_b32 exec_lo, exec_lo, s29
	s_cbranch_execz .LBB6_3042
; %bb.18573:
	s_getpc_b64 s[48:49]
.Lpost_getpc313:
	s_add_u32 s48, s48, (.LBB6_18101-.Lpost_getpc313)&4294967295
	s_addc_u32 s49, s49, (.LBB6_18101-.Lpost_getpc313)>>32
	s_setpc_b64 s[48:49]
.LBB6_3042:                             ;   in Loop: Header=BB6_59 Depth=2
	ds_load_b64 v[8:9], v0
	v_dual_mov_b32 v10, v154 :: v_dual_mov_b32 v11, v155
	s_mov_b32 s29, exec_lo
	s_delay_alu instid0(VALU_DEP_1) | instskip(NEXT) | instid1(VALU_DEP_2)
	v_add_co_u32 v10, vcc_lo, v10, v114
	v_add_co_ci_u32_e32 v11, vcc_lo, 0, v11, vcc_lo
	s_delay_alu instid0(VALU_DEP_1)
	v_dual_mov_b32 v155, v11 :: v_dual_mov_b32 v154, v10
	s_waitcnt lgkmcnt(0)
	v_cmpx_lt_u64_e64 v[8:9], v[10:11]
	s_cbranch_execz .LBB6_3053
; %bb.3043:                             ;   in Loop: Header=BB6_59 Depth=2
	s_mov_b32 s40, 0
	s_mov_b32 s43, 0
                                        ; implicit-def: $sgpr41
                                        ; implicit-def: $sgpr42
	s_branch .LBB6_3045
.LBB6_3044:                             ;   in Loop: Header=BB6_3045 Depth=3
	s_or_b32 exec_lo, exec_lo, s45
	s_delay_alu instid0(SALU_CYCLE_1) | instskip(NEXT) | instid1(SALU_CYCLE_1)
	s_and_b32 vcc_lo, exec_lo, vcc_lo
	s_or_b32 s40, vcc_lo, s40
	s_and_not1_b32 vcc_lo, s41, exec_lo
	s_and_b32 s41, s42, exec_lo
	s_delay_alu instid0(SALU_CYCLE_1)
	s_or_b32 s41, vcc_lo, s41
	s_and_not1_b32 exec_lo, exec_lo, s40
	s_cbranch_execz .LBB6_3051
.LBB6_3045:                             ;   Parent Loop BB6_51 Depth=1
                                        ;     Parent Loop BB6_59 Depth=2
                                        ; =>    This Inner Loop Header: Depth=3
	s_add_i32 s43, s43, 1
                                        ; implicit-def: $sgpr45
	s_delay_alu instid0(SALU_CYCLE_1) | instskip(SKIP_1) | instid1(SALU_CYCLE_1)
	s_cmpk_lg_i32 s43, 0x2710
	s_cselect_b32 s44, -1, 0
	s_and_b32 vcc_lo, exec_lo, s44
	s_cbranch_vccz .LBB6_3049
.LBB6_3046:                             ;   in Loop: Header=BB6_3045 Depth=3
	s_and_not1_b32 s42, s42, exec_lo
	s_and_b32 s45, s45, exec_lo
	s_mov_b32 vcc_lo, -1
	s_or_b32 s42, s42, s45
	s_and_saveexec_b32 s45, s44
	s_cbranch_execz .LBB6_3044
; %bb.3047:                             ;   in Loop: Header=BB6_3045 Depth=3
	s_sleep 1
	s_cbranch_execz .LBB6_3048
; %bb.18575:
	s_getpc_b64 s[48:49]
.Lpost_getpc314:
	s_add_u32 s48, s48, (.LBB6_18175-.Lpost_getpc314)&4294967295
	s_addc_u32 s49, s49, (.LBB6_18175-.Lpost_getpc314)>>32
	s_setpc_b64 s[48:49]
.LBB6_3048:                             ;   in Loop: Header=BB6_3045 Depth=3
	ds_load_b64 v[8:9], v0
	s_and_not1_b32 s42, s42, exec_lo
	s_waitcnt lgkmcnt(0)
	v_cmp_ge_u64_e32 vcc_lo, v[8:9], v[154:155]
	s_or_not1_b32 vcc_lo, vcc_lo, exec_lo
	s_branch .LBB6_3044
.LBB6_3049:                             ;   in Loop: Header=BB6_3045 Depth=3
	s_cbranch_execz .LBB6_3050
; %bb.18577:
	s_getpc_b64 s[48:49]
.Lpost_getpc315:
	s_add_u32 s48, s48, (.LBB6_18195-.Lpost_getpc315)&4294967295
	s_addc_u32 s49, s49, (.LBB6_18195-.Lpost_getpc315)>>32
	s_setpc_b64 s[48:49]
.LBB6_3050:                             ;   in Loop: Header=BB6_3045 Depth=3
	ds_load_b64 v[8:9], v0
	s_and_not1_b32 s44, s44, exec_lo
	s_mov_b32 s43, 0
	s_mov_b32 s45, -1
	s_waitcnt lgkmcnt(0)
	flat_load_b32 v2, v[8:9] glc
	s_waitcnt vmcnt(0) lgkmcnt(0)
	buffer_gl1_inv
	buffer_gl0_inv
	v_cmp_eq_u32_e32 vcc_lo, 0, v2
	s_and_b32 vcc_lo, vcc_lo, exec_lo
	s_delay_alu instid0(SALU_CYCLE_1)
	s_or_b32 s44, s44, vcc_lo
	s_branch .LBB6_3046
.LBB6_3051:                             ;   in Loop: Header=BB6_59 Depth=2
	s_or_b32 exec_lo, exec_lo, s40
	s_and_saveexec_b32 vcc_lo, s41
	s_delay_alu instid0(SALU_CYCLE_1)
	s_xor_b32 vcc_lo, exec_lo, vcc_lo
	s_cbranch_execz .LBB6_3053
; %bb.3052:                             ;   in Loop: Header=BB6_59 Depth=2
	ds_store_b32 v0, v13
	s_cbranch_execz .LBB6_3053
; %bb.18579:
	s_getpc_b64 s[48:49]
.Lpost_getpc316:
	s_add_u32 s48, s48, (.LBB6_18413-.Lpost_getpc316)&4294967295
	s_addc_u32 s49, s49, (.LBB6_18413-.Lpost_getpc316)>>32
	s_setpc_b64 s[48:49]
.LBB6_3053:                             ;   in Loop: Header=BB6_59 Depth=2
	s_or_b32 exec_lo, exec_lo, s29
	;;#ASMSTART
	s_wakeup
	;;#ASMEND
.LBB6_3054:                             ;   in Loop: Header=BB6_59 Depth=2
	s_or_b32 exec_lo, exec_lo, s13
.LBB6_3055:                             ;   in Loop: Header=BB6_59 Depth=2
	s_and_not1_saveexec_b32 s6, s6
	s_cbranch_execz .LBB6_3057
; %bb.3056:                             ;   in Loop: Header=BB6_59 Depth=2
	s_waitcnt vmcnt(0) lgkmcnt(0)
	s_waitcnt_vscnt null, 0x0
	buffer_gl1_inv
	buffer_gl0_inv
	s_barrier
.LBB6_3057:                             ;   in Loop: Header=BB6_59 Depth=2
	s_or_b32 exec_lo, exec_lo, s6
	v_mov_b32_e32 v21, 1
.LBB6_3058:                             ;   in Loop: Header=BB6_59 Depth=2
	s_or_b32 exec_lo, exec_lo, s2
                                        ; implicit-def: $vgpr2
	s_and_saveexec_b32 s2, s7
	s_delay_alu instid0(SALU_CYCLE_1)
	s_xor_b32 s2, exec_lo, s2
	s_cbranch_execz .LBB6_3062
; %bb.3059:                             ;   in Loop: Header=BB6_59 Depth=2
	v_and_b32_e32 v2, 16, v30
	s_waitcnt vmcnt(30)
	v_cmp_lt_i32_e32 vcc_lo, 0, v16
	s_delay_alu instid0(VALU_DEP_2) | instskip(SKIP_1) | instid1(VALU_DEP_2)
	v_cmp_ne_u32_e64 s13, 0, v2
	v_and_b32_e32 v2, 16, v30
	s_and_b32 s13, s13, vcc_lo
	s_delay_alu instid0(SALU_CYCLE_1)
	s_and_saveexec_b32 s6, s13
	s_cbranch_execz .LBB6_3061
; %bb.3060:                             ;   in Loop: Header=BB6_59 Depth=2
	v_mov_b32_e32 v2, 1
	s_waitcnt vmcnt(0) lgkmcnt(0)
	s_waitcnt_vscnt null, 0x0
	buffer_gl1_inv
	buffer_gl0_inv
.LBB6_3061:                             ;   in Loop: Header=BB6_59 Depth=2
	s_or_b32 exec_lo, exec_lo, s6
.LBB6_3062:                             ;   in Loop: Header=BB6_59 Depth=2
	s_and_not1_saveexec_b32 s2, s2
	s_cbranch_execz .LBB6_3084
; %bb.3063:                             ;   in Loop: Header=BB6_59 Depth=2
	v_mov_b32_e32 v13, 1
	s_and_saveexec_b32 s6, s4
	s_delay_alu instid0(SALU_CYCLE_1)
	s_xor_b32 s6, exec_lo, s6
	s_cbranch_execz .LBB6_3081
; %bb.3064:                             ;   in Loop: Header=BB6_59 Depth=2
	s_and_saveexec_b32 s13, s1
	s_cbranch_execz .LBB6_3080
; %bb.3065:                             ;   in Loop: Header=BB6_59 Depth=2
	s_mov_b32 s40, exec_lo
	s_mov_b32 s29, exec_lo
	v_mbcnt_lo_u32_b32 v2, s40, 0
	;;#ASMSTART
	s_waitcnt lgkmcnt(0) vmcnt(0)
	;;#ASMEND
	s_delay_alu instid0(VALU_DEP_1)
	v_cmpx_eq_u32_e32 0, v2
	s_cbranch_execz .LBB6_3067
; %bb.3066:                             ;   in Loop: Header=BB6_59 Depth=2
	s_bcnt1_i32_b32 vcc_lo, s40
	s_delay_alu instid0(SALU_CYCLE_1)
	v_mov_b32_e32 v2, vcc_lo
	ds_add_u64 v0, v[2:3]
	s_cbranch_execz .LBB6_3067
; %bb.18581:
	s_getpc_b64 s[48:49]
.Lpost_getpc317:
	s_add_u32 s48, s48, (.LBB6_18133-.Lpost_getpc317)&4294967295
	s_addc_u32 s49, s49, (.LBB6_18133-.Lpost_getpc317)>>32
	s_setpc_b64 s[48:49]
.LBB6_3067:                             ;   in Loop: Header=BB6_59 Depth=2
	s_or_b32 exec_lo, exec_lo, s29
	s_cbranch_execz .LBB6_3068
; %bb.18583:
	s_getpc_b64 s[48:49]
.Lpost_getpc318:
	s_add_u32 s48, s48, (.LBB6_18111-.Lpost_getpc318)&4294967295
	s_addc_u32 s49, s49, (.LBB6_18111-.Lpost_getpc318)>>32
	s_setpc_b64 s[48:49]
.LBB6_3068:                             ;   in Loop: Header=BB6_59 Depth=2
	ds_load_b64 v[8:9], v0
	s_waitcnt vmcnt(24)
	v_dual_mov_b32 v10, v154 :: v_dual_mov_b32 v11, v155
	s_mov_b32 s29, exec_lo
	s_delay_alu instid0(VALU_DEP_1) | instskip(NEXT) | instid1(VALU_DEP_2)
	v_add_co_u32 v10, vcc_lo, v10, v114
	v_add_co_ci_u32_e32 v11, vcc_lo, 0, v11, vcc_lo
	s_delay_alu instid0(VALU_DEP_1)
	v_dual_mov_b32 v155, v11 :: v_dual_mov_b32 v154, v10
	s_waitcnt lgkmcnt(0)
	v_cmpx_lt_u64_e64 v[8:9], v[10:11]
	s_cbranch_execz .LBB6_3079
; %bb.3069:                             ;   in Loop: Header=BB6_59 Depth=2
	s_mov_b32 s40, 0
	s_mov_b32 s43, 0
                                        ; implicit-def: $sgpr41
                                        ; implicit-def: $sgpr42
	s_branch .LBB6_3071
.LBB6_3070:                             ;   in Loop: Header=BB6_3071 Depth=3
	s_or_b32 exec_lo, exec_lo, s45
	s_delay_alu instid0(SALU_CYCLE_1) | instskip(NEXT) | instid1(SALU_CYCLE_1)
	s_and_b32 vcc_lo, exec_lo, vcc_lo
	s_or_b32 s40, vcc_lo, s40
	s_and_not1_b32 vcc_lo, s41, exec_lo
	s_and_b32 s41, s42, exec_lo
	s_delay_alu instid0(SALU_CYCLE_1)
	s_or_b32 s41, vcc_lo, s41
	s_and_not1_b32 exec_lo, exec_lo, s40
	s_cbranch_execz .LBB6_3077
.LBB6_3071:                             ;   Parent Loop BB6_51 Depth=1
                                        ;     Parent Loop BB6_59 Depth=2
                                        ; =>    This Inner Loop Header: Depth=3
	s_add_i32 s43, s43, 1
                                        ; implicit-def: $sgpr45
	s_delay_alu instid0(SALU_CYCLE_1) | instskip(SKIP_1) | instid1(SALU_CYCLE_1)
	s_cmpk_lg_i32 s43, 0x2710
	s_cselect_b32 s44, -1, 0
	s_and_b32 vcc_lo, exec_lo, s44
	s_cbranch_vccz .LBB6_3075
.LBB6_3072:                             ;   in Loop: Header=BB6_3071 Depth=3
	s_and_not1_b32 s42, s42, exec_lo
	s_and_b32 s45, s45, exec_lo
	s_mov_b32 vcc_lo, -1
	s_or_b32 s42, s42, s45
	s_and_saveexec_b32 s45, s44
	s_cbranch_execz .LBB6_3070
; %bb.3073:                             ;   in Loop: Header=BB6_3071 Depth=3
	s_sleep 1
	s_cbranch_execz .LBB6_3074
; %bb.18585:
	s_getpc_b64 s[48:49]
.Lpost_getpc319:
	s_add_u32 s48, s48, (.LBB6_18181-.Lpost_getpc319)&4294967295
	s_addc_u32 s49, s49, (.LBB6_18181-.Lpost_getpc319)>>32
	s_setpc_b64 s[48:49]
.LBB6_3074:                             ;   in Loop: Header=BB6_3071 Depth=3
	ds_load_b64 v[8:9], v0
	s_and_not1_b32 s42, s42, exec_lo
	s_waitcnt lgkmcnt(0)
	v_cmp_ge_u64_e32 vcc_lo, v[8:9], v[154:155]
	s_or_not1_b32 vcc_lo, vcc_lo, exec_lo
	s_branch .LBB6_3070
.LBB6_3075:                             ;   in Loop: Header=BB6_3071 Depth=3
	s_cbranch_execz .LBB6_3076
; %bb.18587:
	s_getpc_b64 s[48:49]
.Lpost_getpc320:
	s_add_u32 s48, s48, (.LBB6_18201-.Lpost_getpc320)&4294967295
	s_addc_u32 s49, s49, (.LBB6_18201-.Lpost_getpc320)>>32
	s_setpc_b64 s[48:49]
.LBB6_3076:                             ;   in Loop: Header=BB6_3071 Depth=3
	ds_load_b64 v[8:9], v0
	s_and_not1_b32 s44, s44, exec_lo
	s_mov_b32 s43, 0
	s_mov_b32 s45, -1
	s_waitcnt vmcnt(0) lgkmcnt(0)
	s_waitcnt_vscnt null, 0x0
	flat_load_b32 v2, v[8:9] glc
	s_waitcnt vmcnt(0) lgkmcnt(0)
	buffer_gl1_inv
	buffer_gl0_inv
	v_cmp_eq_u32_e32 vcc_lo, 0, v2
	s_and_b32 vcc_lo, vcc_lo, exec_lo
	s_delay_alu instid0(SALU_CYCLE_1)
	s_or_b32 s44, s44, vcc_lo
	s_branch .LBB6_3072
.LBB6_3077:                             ;   in Loop: Header=BB6_59 Depth=2
	s_or_b32 exec_lo, exec_lo, s40
	s_and_saveexec_b32 vcc_lo, s41
	s_delay_alu instid0(SALU_CYCLE_1)
	s_xor_b32 vcc_lo, exec_lo, vcc_lo
	s_cbranch_execz .LBB6_3079
; %bb.3078:                             ;   in Loop: Header=BB6_59 Depth=2
	ds_store_b32 v0, v13
	s_cbranch_execz .LBB6_3079
; %bb.18589:
	s_getpc_b64 s[48:49]
.Lpost_getpc321:
	s_add_u32 s48, s48, (.LBB6_18415-.Lpost_getpc321)&4294967295
	s_addc_u32 s49, s49, (.LBB6_18415-.Lpost_getpc321)>>32
	s_setpc_b64 s[48:49]
.LBB6_3079:                             ;   in Loop: Header=BB6_59 Depth=2
	s_or_b32 exec_lo, exec_lo, s29
	;;#ASMSTART
	s_wakeup
	;;#ASMEND
.LBB6_3080:                             ;   in Loop: Header=BB6_59 Depth=2
	s_or_b32 exec_lo, exec_lo, s13
.LBB6_3081:                             ;   in Loop: Header=BB6_59 Depth=2
	s_and_not1_saveexec_b32 s6, s6
	s_cbranch_execz .LBB6_3083
; %bb.3082:                             ;   in Loop: Header=BB6_59 Depth=2
	;;#ASMSTART
	s_waitcnt lgkmcnt(0) vmcnt(0)
	;;#ASMEND
	s_waitcnt vmcnt(0) lgkmcnt(0)
	s_waitcnt_vscnt null, 0x0
	s_barrier
.LBB6_3083:                             ;   in Loop: Header=BB6_59 Depth=2
	s_or_b32 exec_lo, exec_lo, s6
	v_dual_mov_b32 v21, 1 :: v_dual_and_b32 v2, 16, v30
.LBB6_3084:                             ;   in Loop: Header=BB6_59 Depth=2
	s_or_b32 exec_lo, exec_lo, s2
	s_delay_alu instid0(SALU_CYCLE_1) | instskip(NEXT) | instid1(VALU_DEP_1)
	s_mov_b32 s2, exec_lo
	v_cmpx_ne_u32_e32 0, v2
	s_cbranch_execz .LBB6_3088
; %bb.3085:                             ;   in Loop: Header=BB6_59 Depth=2
	s_and_saveexec_b32 s6, s11
	s_cbranch_execz .LBB6_3087
; %bb.3086:                             ;   in Loop: Header=BB6_59 Depth=2
	s_waitcnt vmcnt(0) lgkmcnt(0)
	s_waitcnt_vscnt null, 0x0
	flat_store_b32 v[152:153], v21
.LBB6_3087:                             ;   in Loop: Header=BB6_59 Depth=2
	s_or_b32 exec_lo, exec_lo, s6
	v_add_co_u32 v34, vcc_lo, v34, 2
	v_add_co_ci_u32_e32 v35, vcc_lo, 0, v35, vcc_lo
	s_waitcnt vmcnt(0) lgkmcnt(0)
	s_waitcnt_vscnt null, 0x0
	flat_store_b64 v[32:33], v[34:35]
.LBB6_3088:                             ;   in Loop: Header=BB6_59 Depth=2
	s_or_b32 exec_lo, exec_lo, s2
	v_dual_mov_b32 v2, s5 :: v_dual_add_nc_u32 v23, v12, v23
	s_xor_b32 s2, s17, -1
	s_mov_b32 s17, 0
	s_mov_b32 s5, 2
	s_delay_alu instid0(VALU_DEP_1) | instskip(SKIP_1) | instid1(SALU_CYCLE_1)
	v_cmp_ge_i32_e32 vcc_lo, v23, v22
	s_or_b32 s2, s2, vcc_lo
	s_and_b32 s2, exec_lo, s2
	s_delay_alu instid0(SALU_CYCLE_1) | instskip(NEXT) | instid1(SALU_CYCLE_1)
	s_or_b32 s16, s2, s16
	s_and_not1_b32 exec_lo, exec_lo, s16
	s_cbranch_execz .LBB6_3089
; %bb.18591:                            ;   in Loop: Header=BB6_59 Depth=2
	s_getpc_b64 s[48:49]
.Lpost_getpc322:
	s_add_u32 s48, s48, (.LBB6_59-.Lpost_getpc322)&4294967295
	s_addc_u32 s49, s49, (.LBB6_59-.Lpost_getpc322)>>32
	s_setpc_b64 s[48:49]
.LBB6_3089:                             ;   in Loop: Header=BB6_51 Depth=1
	s_or_b32 exec_lo, exec_lo, s16
.LBB6_3090:                             ;   in Loop: Header=BB6_51 Depth=1
	s_delay_alu instid0(SALU_CYCLE_1) | instskip(NEXT) | instid1(SALU_CYCLE_1)
	s_or_b32 exec_lo, exec_lo, s15
	s_mov_b32 s2, exec_lo
	v_cmpx_gt_i32_e32 2, v2
	s_cbranch_execz .LBB6_3171
; %bb.3091:                             ;   in Loop: Header=BB6_51 Depth=1
	v_cmp_eq_u32_e64 s6, 0, v2
	s_mov_b32 s5, 0
.LBB6_3092:                             ;   Parent Loop BB6_51 Depth=1
                                        ; =>  This Loop Header: Depth=2
                                        ;       Child Loop BB6_3098 Depth 3
                                        ;       Child Loop BB6_3125 Depth 3
	;; [unrolled: 1-line block ×3, first 2 shown]
	v_and_b32_e32 v2, 8, v30
	s_mov_b32 s15, -1
	s_mov_b32 s13, exec_lo
	s_delay_alu instid0(VALU_DEP_1)
	v_cmpx_ne_u32_e32 0, v2
	s_cbranch_execz .LBB6_3106
; %bb.3093:                             ;   in Loop: Header=BB6_3092 Depth=2
	s_waitcnt vmcnt(23)
	v_add_co_u32 v10, vcc_lo, v118, 8
	v_add_co_ci_u32_e32 v11, vcc_lo, 0, v119, vcc_lo
	v_add_co_u32 v8, vcc_lo, v34, 2
	v_add_co_ci_u32_e32 v9, vcc_lo, 0, v35, vcc_lo
	v_mov_b32_e32 v2, 1
	s_mov_b32 s15, exec_lo
	s_delay_alu instid0(VALU_DEP_2)
	v_cmpx_lt_u64_e64 v[10:11], v[8:9]
	s_cbranch_execz .LBB6_3105
; %bb.3094:                             ;   in Loop: Header=BB6_3092 Depth=2
	v_mov_b32_e32 v2, 0
	s_mov_b32 s16, 0
                                        ; implicit-def: $sgpr17
	s_branch .LBB6_3098
.LBB6_3095:                             ;   in Loop: Header=BB6_3098 Depth=3
	s_or_b32 exec_lo, exec_lo, s42
	v_mov_b32_e32 v10, 0
	s_or_not1_b32 s41, s41, exec_lo
.LBB6_3096:                             ;   in Loop: Header=BB6_3098 Depth=3
	s_or_b32 exec_lo, exec_lo, s40
	s_delay_alu instid0(VALU_DEP_1) | instskip(SKIP_2) | instid1(SALU_CYCLE_1)
	v_mov_b32_e32 v2, v10
	s_and_not1_b32 s17, s17, exec_lo
	s_and_b32 vcc_lo, s41, exec_lo
	s_or_b32 s17, s17, vcc_lo
.LBB6_3097:                             ;   in Loop: Header=BB6_3098 Depth=3
	s_or_b32 exec_lo, exec_lo, s29
	s_waitcnt vmcnt(0) lgkmcnt(0)
	v_add_co_u32 v10, vcc_lo, v118, 8
	v_add_co_ci_u32_e32 v11, vcc_lo, 0, v119, vcc_lo
	s_xor_b32 s29, s17, -1
	s_delay_alu instid0(VALU_DEP_1) | instskip(SKIP_1) | instid1(SALU_CYCLE_1)
	v_cmp_ge_u64_e32 vcc_lo, v[10:11], v[8:9]
	s_or_b32 s29, s29, vcc_lo
	s_and_b32 s29, exec_lo, s29
	s_delay_alu instid0(SALU_CYCLE_1) | instskip(NEXT) | instid1(SALU_CYCLE_1)
	s_or_b32 s16, s29, s16
	s_and_not1_b32 exec_lo, exec_lo, s16
	s_cbranch_execz .LBB6_3104
.LBB6_3098:                             ;   Parent Loop BB6_51 Depth=1
                                        ;     Parent Loop BB6_3092 Depth=2
                                        ; =>    This Inner Loop Header: Depth=3
	s_sleep 1
	flat_load_b64 v[118:119], v[32:33] glc
	v_and_b32_e32 v10, 64, v30
	s_and_not1_b32 s17, s17, exec_lo
	s_mov_b32 s29, exec_lo
	s_delay_alu instid0(VALU_DEP_1)
	v_cmpx_eq_u32_e32 0, v10
	s_cbranch_execz .LBB6_3097
; %bb.3099:                             ;   in Loop: Header=BB6_3098 Depth=3
	v_add_nc_u32_e32 v10, 1, v2
	s_mov_b32 s41, -1
	s_mov_b32 s40, exec_lo
	v_cmpx_lt_i32_e32 0x270e, v2
	s_cbranch_execz .LBB6_3096
; %bb.3100:                             ;   in Loop: Header=BB6_3098 Depth=3
	s_cbranch_execz .LBB6_3101
; %bb.18593:
	s_getpc_b64 s[48:49]
.Lpost_getpc323:
	s_add_u32 s48, s48, (.LBB6_18002-.Lpost_getpc323)&4294967295
	s_addc_u32 s49, s49, (.LBB6_18002-.Lpost_getpc323)>>32
	s_setpc_b64 s[48:49]
.LBB6_3101:                             ;   in Loop: Header=BB6_3098 Depth=3
	ds_load_b64 v[10:11], v0
	s_mov_b32 s42, exec_lo
	s_waitcnt vmcnt(0) lgkmcnt(0)
	s_waitcnt_vscnt null, 0x0
	flat_load_b32 v2, v[10:11] glc
	s_waitcnt vmcnt(0) lgkmcnt(0)
	buffer_gl1_inv
	buffer_gl0_inv
	v_cmpx_ne_u32_e32 0, v2
	s_cbranch_execz .LBB6_3095
; %bb.3102:                             ;   in Loop: Header=BB6_3098 Depth=3
	ds_store_b32 v0, v2
	s_cbranch_execz .LBB6_3103
; %bb.18595:
	s_getpc_b64 s[48:49]
.Lpost_getpc324:
	s_add_u32 s48, s48, (.LBB6_18014-.Lpost_getpc324)&4294967295
	s_addc_u32 s49, s49, (.LBB6_18014-.Lpost_getpc324)>>32
	s_setpc_b64 s[48:49]
.LBB6_3103:                             ;   in Loop: Header=BB6_3098 Depth=3
	v_or_b32_e32 v30, 64, v30
	s_xor_b32 s41, exec_lo, -1
	s_branch .LBB6_3095
.LBB6_3104:                             ;   in Loop: Header=BB6_3092 Depth=2
	s_or_b32 exec_lo, exec_lo, s16
	v_and_b32_e32 v2, 8, v30
.LBB6_3105:                             ;   in Loop: Header=BB6_3092 Depth=2
	s_or_b32 exec_lo, exec_lo, s15
	s_delay_alu instid0(VALU_DEP_1)
	v_cmp_eq_u32_e32 vcc_lo, 0, v2
	;;#ASMSTART
	s_wakeup
	;;#ASMEND
	s_or_not1_b32 s15, vcc_lo, exec_lo
.LBB6_3106:                             ;   in Loop: Header=BB6_3092 Depth=2
	s_or_b32 exec_lo, exec_lo, s13
	v_sub_nc_u32_e32 v2, v22, v23
	s_xor_b32 s6, s6, -1
	s_delay_alu instid0(SALU_CYCLE_1) | instskip(NEXT) | instid1(SALU_CYCLE_1)
	s_and_b32 s6, exec_lo, s6
	s_or_b32 s5, s6, s5
	s_delay_alu instid0(VALU_DEP_1) | instskip(SKIP_1) | instid1(SALU_CYCLE_1)
	v_min_i32_e32 v12, v12, v2
	s_xor_b32 s13, s15, -1
	s_and_saveexec_b32 s6, s13
	s_cbranch_execz .LBB6_3116
; %bb.3107:                             ;   in Loop: Header=BB6_3092 Depth=2
	v_and_b32_e32 v2, 0x100, v30
	s_mov_b32 s13, -1
                                        ; implicit-def: $vgpr8_vgpr9
	s_delay_alu instid0(VALU_DEP_1)
	v_cmp_ne_u32_e32 vcc_lo, 0, v2
	v_and_b32_e32 v2, 7, v34
	s_and_saveexec_b32 s15, vcc_lo
	s_cbranch_execz .LBB6_3111
; %bb.3108:                             ;   in Loop: Header=BB6_3092 Depth=2
	s_delay_alu instid0(VALU_DEP_1)
	v_mad_u64_u32 v[10:11], null, v2, 24, v[6:7]
	v_ashrrev_i32_e32 v13, 31, v12
	flat_load_b32 v8, v[10:11]
	flat_store_b64 v[10:11], v[12:13] offset:8
	s_waitcnt vmcnt(0) lgkmcnt(1)
	v_cmp_ne_u32_e32 vcc_lo, 1, v8
	v_cmp_eq_u32_e64 s13, 1, v8
                                        ; implicit-def: $vgpr8_vgpr9
	s_delay_alu instid0(VALU_DEP_1)
	s_and_saveexec_b32 s16, s13
	s_cbranch_execz .LBB6_3110
; %bb.3109:                             ;   in Loop: Header=BB6_3092 Depth=2
	flat_load_b32 v8, v[10:11] offset:4 glc
	s_waitcnt vmcnt(0) lgkmcnt(0)
	v_ashrrev_i32_e32 v9, 31, v8
.LBB6_3110:                             ;   in Loop: Header=BB6_3092 Depth=2
	s_or_b32 exec_lo, exec_lo, s16
	s_delay_alu instid0(SALU_CYCLE_1)
	s_or_not1_b32 s13, vcc_lo, exec_lo
.LBB6_3111:                             ;   in Loop: Header=BB6_3092 Depth=2
	s_or_b32 exec_lo, exec_lo, s15
	s_and_saveexec_b32 s15, s13
	s_cbranch_execz .LBB6_3113
; %bb.3112:                             ;   in Loop: Header=BB6_3092 Depth=2
	s_waitcnt vmcnt(28)
	v_mad_i64_i32 v[8:9], null, v2, v139, 0
.LBB6_3113:                             ;   in Loop: Header=BB6_3092 Depth=2
	s_or_b32 exec_lo, exec_lo, s15
	s_waitcnt vmcnt(26)
	s_delay_alu instid0(VALU_DEP_1) | instskip(SKIP_1) | instid1(VALU_DEP_3)
	v_add_co_u32 v8, vcc_lo, v141, v8
	v_and_b32_e32 v2, 0x2000, v30
	v_add_co_ci_u32_e32 v9, vcc_lo, v142, v9, vcc_lo
	s_mov_b32 s13, exec_lo
	ds_store_b64 v0, v[8:9] offset:784
	v_cmpx_ne_u32_e32 0, v2
	s_cbranch_execz .LBB6_3115
; %bb.3114:                             ;   in Loop: Header=BB6_3092 Depth=2
	ds_load_b64 v[8:9], v0 offset:584
	s_waitcnt lgkmcnt(0)
	v_add_co_u32 v8, vcc_lo, v8, 1
	v_add_co_ci_u32_e32 v9, vcc_lo, 0, v9, vcc_lo
	ds_store_b64 v0, v[8:9] offset:584
.LBB6_3115:                             ;   in Loop: Header=BB6_3092 Depth=2
	s_or_b32 exec_lo, exec_lo, s13
	v_add_co_u32 v34, vcc_lo, v34, 2
	v_add_co_ci_u32_e32 v35, vcc_lo, 0, v35, vcc_lo
.LBB6_3116:                             ;   in Loop: Header=BB6_3092 Depth=2
	s_or_b32 exec_lo, exec_lo, s6
	s_and_saveexec_b32 s6, s3
	s_cbranch_execz .LBB6_3138
; %bb.3117:                             ;   in Loop: Header=BB6_3092 Depth=2
	s_and_saveexec_b32 s13, s4
	s_delay_alu instid0(SALU_CYCLE_1)
	s_xor_b32 s13, exec_lo, s13
	s_cbranch_execz .LBB6_3135
; %bb.3118:                             ;   in Loop: Header=BB6_3092 Depth=2
	s_and_saveexec_b32 s15, s1
	s_cbranch_execz .LBB6_3134
; %bb.3119:                             ;   in Loop: Header=BB6_3092 Depth=2
	s_mov_b32 s17, exec_lo
	s_mov_b32 s16, exec_lo
	v_mbcnt_lo_u32_b32 v2, s17, 0
	s_waitcnt vmcnt(0) lgkmcnt(0)
	s_waitcnt_vscnt null, 0x0
	buffer_gl1_inv
	buffer_gl0_inv
	v_cmpx_eq_u32_e32 0, v2
	s_cbranch_execz .LBB6_3121
; %bb.3120:                             ;   in Loop: Header=BB6_3092 Depth=2
	s_bcnt1_i32_b32 s17, s17
	s_delay_alu instid0(SALU_CYCLE_1)
	v_mov_b32_e32 v2, s17
	ds_add_u64 v0, v[2:3]
	s_cbranch_execz .LBB6_3121
; %bb.18597:
	s_getpc_b64 s[48:49]
.Lpost_getpc325:
	s_add_u32 s48, s48, (.LBB6_18045-.Lpost_getpc325)&4294967295
	s_addc_u32 s49, s49, (.LBB6_18045-.Lpost_getpc325)>>32
	s_setpc_b64 s[48:49]
.LBB6_3121:                             ;   in Loop: Header=BB6_3092 Depth=2
	s_or_b32 exec_lo, exec_lo, s16
	v_mov_b32_e32 v14, 1
	s_cbranch_execz .LBB6_3122
; %bb.18599:
	s_getpc_b64 s[48:49]
.Lpost_getpc326:
	s_add_u32 s48, s48, (.LBB6_18027-.Lpost_getpc326)&4294967295
	s_addc_u32 s49, s49, (.LBB6_18027-.Lpost_getpc326)>>32
	s_setpc_b64 s[48:49]
.LBB6_3122:                             ;   in Loop: Header=BB6_3092 Depth=2
	ds_load_b64 v[8:9], v0
	v_add_co_u32 v154, vcc_lo, v154, v114
	v_add_co_ci_u32_e32 v155, vcc_lo, 0, v155, vcc_lo
	v_mov_b32_e32 v13, v114
	s_delay_alu instid0(VALU_DEP_3) | instskip(SKIP_1) | instid1(VALU_DEP_3)
	v_mov_b32_e32 v10, v154
	s_mov_b32 s16, exec_lo
	v_mov_b32_e32 v11, v155
	s_waitcnt lgkmcnt(0)
	v_cmpx_lt_u64_e64 v[8:9], v[154:155]
	s_cbranch_execz .LBB6_3133
; %bb.3123:                             ;   in Loop: Header=BB6_3092 Depth=2
	s_mov_b32 s17, 0
	s_mov_b32 s41, 0
                                        ; implicit-def: $sgpr29
                                        ; implicit-def: $sgpr40
	s_branch .LBB6_3125
.LBB6_3124:                             ;   in Loop: Header=BB6_3125 Depth=3
	s_or_b32 exec_lo, exec_lo, s43
	s_delay_alu instid0(SALU_CYCLE_1) | instskip(NEXT) | instid1(SALU_CYCLE_1)
	s_and_b32 vcc_lo, exec_lo, vcc_lo
	s_or_b32 s17, vcc_lo, s17
	s_and_not1_b32 s29, s29, exec_lo
	s_and_b32 vcc_lo, s40, exec_lo
	s_delay_alu instid0(SALU_CYCLE_1)
	s_or_b32 s29, s29, vcc_lo
	s_and_not1_b32 exec_lo, exec_lo, s17
	s_cbranch_execz .LBB6_3131
.LBB6_3125:                             ;   Parent Loop BB6_51 Depth=1
                                        ;     Parent Loop BB6_3092 Depth=2
                                        ; =>    This Inner Loop Header: Depth=3
	s_add_i32 s41, s41, 1
                                        ; implicit-def: $sgpr43
	s_delay_alu instid0(SALU_CYCLE_1) | instskip(SKIP_1) | instid1(SALU_CYCLE_1)
	s_cmpk_lg_i32 s41, 0x2710
	s_cselect_b32 s42, -1, 0
	s_and_b32 vcc_lo, exec_lo, s42
	s_cbranch_vccz .LBB6_3129
.LBB6_3126:                             ;   in Loop: Header=BB6_3125 Depth=3
	s_and_not1_b32 s40, s40, exec_lo
	s_and_b32 s43, s43, exec_lo
	s_mov_b32 vcc_lo, -1
	s_or_b32 s40, s40, s43
	s_and_saveexec_b32 s43, s42
	s_cbranch_execz .LBB6_3124
; %bb.3127:                             ;   in Loop: Header=BB6_3125 Depth=3
	s_sleep 1
	s_cbranch_execz .LBB6_3128
; %bb.18601:
	s_getpc_b64 s[48:49]
.Lpost_getpc327:
	s_add_u32 s48, s48, (.LBB6_18075-.Lpost_getpc327)&4294967295
	s_addc_u32 s49, s49, (.LBB6_18075-.Lpost_getpc327)>>32
	s_setpc_b64 s[48:49]
.LBB6_3128:                             ;   in Loop: Header=BB6_3125 Depth=3
	ds_load_b64 v[8:9], v0
	s_and_not1_b32 s40, s40, exec_lo
	s_waitcnt lgkmcnt(0)
	v_cmp_ge_u64_e32 vcc_lo, v[8:9], v[10:11]
	s_or_not1_b32 vcc_lo, vcc_lo, exec_lo
	s_branch .LBB6_3124
.LBB6_3129:                             ;   in Loop: Header=BB6_3125 Depth=3
	s_cbranch_execz .LBB6_3130
; %bb.18603:
	s_getpc_b64 s[48:49]
.Lpost_getpc328:
	s_add_u32 s48, s48, (.LBB6_18081-.Lpost_getpc328)&4294967295
	s_addc_u32 s49, s49, (.LBB6_18081-.Lpost_getpc328)>>32
	s_setpc_b64 s[48:49]
.LBB6_3130:                             ;   in Loop: Header=BB6_3125 Depth=3
	ds_load_b64 v[8:9], v0
	s_and_not1_b32 s42, s42, exec_lo
	s_mov_b32 s41, 0
	s_mov_b32 s43, -1
	s_waitcnt lgkmcnt(0)
	flat_load_b32 v2, v[8:9] glc
	s_waitcnt vmcnt(0) lgkmcnt(0)
	buffer_gl1_inv
	buffer_gl0_inv
	v_cmp_eq_u32_e32 vcc_lo, 0, v2
	s_and_b32 vcc_lo, vcc_lo, exec_lo
	s_delay_alu instid0(SALU_CYCLE_1)
	s_or_b32 s42, s42, vcc_lo
	s_branch .LBB6_3126
.LBB6_3131:                             ;   in Loop: Header=BB6_3092 Depth=2
	s_or_b32 exec_lo, exec_lo, s17
	s_and_saveexec_b32 s17, s29
	s_delay_alu instid0(SALU_CYCLE_1)
	s_xor_b32 s17, exec_lo, s17
	s_cbranch_execz .LBB6_3133
; %bb.3132:                             ;   in Loop: Header=BB6_3092 Depth=2
	ds_store_b32 v0, v14
	s_cbranch_execz .LBB6_3133
; %bb.18605:
	s_getpc_b64 s[48:49]
.Lpost_getpc329:
	s_add_u32 s48, s48, (.LBB6_18299-.Lpost_getpc329)&4294967295
	s_addc_u32 s49, s49, (.LBB6_18299-.Lpost_getpc329)>>32
	s_setpc_b64 s[48:49]
.LBB6_3133:                             ;   in Loop: Header=BB6_3092 Depth=2
	s_or_b32 exec_lo, exec_lo, s16
	v_dual_mov_b32 v155, v11 :: v_dual_mov_b32 v154, v10
	v_dual_mov_b32 v114, v13 :: v_dual_mov_b32 v21, 1
	;;#ASMSTART
	s_wakeup
	;;#ASMEND
.LBB6_3134:                             ;   in Loop: Header=BB6_3092 Depth=2
	s_or_b32 exec_lo, exec_lo, s15
.LBB6_3135:                             ;   in Loop: Header=BB6_3092 Depth=2
	s_and_not1_saveexec_b32 s13, s13
	s_cbranch_execz .LBB6_3137
; %bb.3136:                             ;   in Loop: Header=BB6_3092 Depth=2
	s_waitcnt vmcnt(0) lgkmcnt(0)
	s_waitcnt_vscnt null, 0x0
	buffer_gl1_inv
	buffer_gl0_inv
	s_barrier
.LBB6_3137:                             ;   in Loop: Header=BB6_3092 Depth=2
	s_or_b32 exec_lo, exec_lo, s13
.LBB6_3138:                             ;   in Loop: Header=BB6_3092 Depth=2
	s_delay_alu instid0(SALU_CYCLE_1) | instskip(SKIP_1) | instid1(SALU_CYCLE_1)
	s_or_b32 exec_lo, exec_lo, s6
                                        ; implicit-def: $vgpr2
	s_and_saveexec_b32 s6, s7
	s_xor_b32 s6, exec_lo, s6
	s_cbranch_execz .LBB6_3143
; %bb.3139:                             ;   in Loop: Header=BB6_3092 Depth=2
	s_cbranch_execz .LBB6_3140
; %bb.18607:
	s_getpc_b64 s[48:49]
.Lpost_getpc330:
	s_add_u32 s48, s48, (.LBB6_18000-.Lpost_getpc330)&4294967295
	s_addc_u32 s49, s49, (.LBB6_18000-.Lpost_getpc330)>>32
	s_setpc_b64 s[48:49]
.LBB6_3140:                             ;   in Loop: Header=BB6_3092 Depth=2
	ds_load_b32 v2, v0
	v_cmp_lt_i32_e32 vcc_lo, 0, v12
	s_waitcnt lgkmcnt(0)
	v_readfirstlane_b32 s13, v2
	v_and_b32_e32 v2, 16, v30
	s_delay_alu instid0(VALU_DEP_2) | instskip(NEXT) | instid1(VALU_DEP_1)
	s_cmp_eq_u32 s13, 0
	v_cmp_ne_u32_e64 s13, 0, v2
	s_cselect_b32 s15, -1, 0
	v_and_b32_e32 v2, 16, v30
	s_and_b32 s15, vcc_lo, s15
	s_delay_alu instid0(VALU_DEP_2) | instid1(SALU_CYCLE_1)
	s_and_b32 s15, s13, s15
	s_delay_alu instid0(SALU_CYCLE_1)
	s_and_saveexec_b32 s13, s15
	s_cbranch_execz .LBB6_3142
; %bb.3141:                             ;   in Loop: Header=BB6_3092 Depth=2
	v_mov_b32_e32 v2, 1
	s_waitcnt vmcnt(0)
	s_waitcnt_vscnt null, 0x0
	buffer_gl1_inv
	buffer_gl0_inv
.LBB6_3142:                             ;   in Loop: Header=BB6_3092 Depth=2
	s_or_b32 exec_lo, exec_lo, s13
.LBB6_3143:                             ;   in Loop: Header=BB6_3092 Depth=2
	s_and_not1_saveexec_b32 s6, s6
	s_cbranch_execz .LBB6_3165
; %bb.3144:                             ;   in Loop: Header=BB6_3092 Depth=2
	s_and_saveexec_b32 s13, s4
	s_delay_alu instid0(SALU_CYCLE_1)
	s_xor_b32 s13, exec_lo, s13
	s_cbranch_execz .LBB6_3162
; %bb.3145:                             ;   in Loop: Header=BB6_3092 Depth=2
	s_and_saveexec_b32 s15, s1
	s_cbranch_execz .LBB6_3161
; %bb.3146:                             ;   in Loop: Header=BB6_3092 Depth=2
	s_mov_b32 s17, exec_lo
	v_mov_b32_e32 v13, 1
	v_mbcnt_lo_u32_b32 v2, s17, 0
	s_mov_b32 s16, exec_lo
	;;#ASMSTART
	s_waitcnt lgkmcnt(0) vmcnt(0)
	;;#ASMEND
	s_delay_alu instid0(VALU_DEP_1)
	v_cmpx_eq_u32_e32 0, v2
	s_cbranch_execz .LBB6_3148
; %bb.3147:                             ;   in Loop: Header=BB6_3092 Depth=2
	s_bcnt1_i32_b32 s17, s17
	s_delay_alu instid0(SALU_CYCLE_1)
	v_mov_b32_e32 v2, s17
	ds_add_u64 v0, v[2:3]
	s_cbranch_execz .LBB6_3148
; %bb.18609:
	s_getpc_b64 s[48:49]
.Lpost_getpc331:
	s_add_u32 s48, s48, (.LBB6_18063-.Lpost_getpc331)&4294967295
	s_addc_u32 s49, s49, (.LBB6_18063-.Lpost_getpc331)>>32
	s_setpc_b64 s[48:49]
.LBB6_3148:                             ;   in Loop: Header=BB6_3092 Depth=2
	s_or_b32 exec_lo, exec_lo, s16
	s_cbranch_execz .LBB6_3149
; %bb.18611:
	s_getpc_b64 s[48:49]
.Lpost_getpc332:
	s_add_u32 s48, s48, (.LBB6_18043-.Lpost_getpc332)&4294967295
	s_addc_u32 s49, s49, (.LBB6_18043-.Lpost_getpc332)>>32
	s_setpc_b64 s[48:49]
.LBB6_3149:                             ;   in Loop: Header=BB6_3092 Depth=2
	ds_load_b64 v[8:9], v0
	s_waitcnt vmcnt(24)
	v_dual_mov_b32 v10, v154 :: v_dual_mov_b32 v11, v155
	s_mov_b32 s16, exec_lo
	s_delay_alu instid0(VALU_DEP_1) | instskip(NEXT) | instid1(VALU_DEP_2)
	v_add_co_u32 v10, vcc_lo, v10, v114
	v_add_co_ci_u32_e32 v11, vcc_lo, 0, v11, vcc_lo
	s_delay_alu instid0(VALU_DEP_1)
	v_dual_mov_b32 v155, v11 :: v_dual_mov_b32 v154, v10
	s_waitcnt lgkmcnt(0)
	v_cmpx_lt_u64_e64 v[8:9], v[10:11]
	s_cbranch_execz .LBB6_3160
; %bb.3150:                             ;   in Loop: Header=BB6_3092 Depth=2
	s_mov_b32 s17, 0
	s_mov_b32 s41, 0
                                        ; implicit-def: $sgpr29
                                        ; implicit-def: $sgpr40
	s_branch .LBB6_3152
.LBB6_3151:                             ;   in Loop: Header=BB6_3152 Depth=3
	s_or_b32 exec_lo, exec_lo, s43
	s_delay_alu instid0(SALU_CYCLE_1) | instskip(NEXT) | instid1(SALU_CYCLE_1)
	s_and_b32 vcc_lo, exec_lo, vcc_lo
	s_or_b32 s17, vcc_lo, s17
	s_and_not1_b32 s29, s29, exec_lo
	s_and_b32 vcc_lo, s40, exec_lo
	s_delay_alu instid0(SALU_CYCLE_1)
	s_or_b32 s29, s29, vcc_lo
	s_and_not1_b32 exec_lo, exec_lo, s17
	s_cbranch_execz .LBB6_3158
.LBB6_3152:                             ;   Parent Loop BB6_51 Depth=1
                                        ;     Parent Loop BB6_3092 Depth=2
                                        ; =>    This Inner Loop Header: Depth=3
	s_add_i32 s41, s41, 1
                                        ; implicit-def: $sgpr43
	s_delay_alu instid0(SALU_CYCLE_1) | instskip(SKIP_1) | instid1(SALU_CYCLE_1)
	s_cmpk_lg_i32 s41, 0x2710
	s_cselect_b32 s42, -1, 0
	s_and_b32 vcc_lo, exec_lo, s42
	s_cbranch_vccz .LBB6_3156
.LBB6_3153:                             ;   in Loop: Header=BB6_3152 Depth=3
	s_and_not1_b32 s40, s40, exec_lo
	s_and_b32 s43, s43, exec_lo
	s_mov_b32 vcc_lo, -1
	s_or_b32 s40, s40, s43
	s_and_saveexec_b32 s43, s42
	s_cbranch_execz .LBB6_3151
; %bb.3154:                             ;   in Loop: Header=BB6_3152 Depth=3
	s_sleep 1
	s_cbranch_execz .LBB6_3155
; %bb.18613:
	s_getpc_b64 s[48:49]
.Lpost_getpc333:
	s_add_u32 s48, s48, (.LBB6_18089-.Lpost_getpc333)&4294967295
	s_addc_u32 s49, s49, (.LBB6_18089-.Lpost_getpc333)>>32
	s_setpc_b64 s[48:49]
.LBB6_3155:                             ;   in Loop: Header=BB6_3152 Depth=3
	ds_load_b64 v[8:9], v0
	s_and_not1_b32 s40, s40, exec_lo
	s_waitcnt lgkmcnt(0)
	v_cmp_ge_u64_e32 vcc_lo, v[8:9], v[154:155]
	s_or_not1_b32 vcc_lo, vcc_lo, exec_lo
	s_branch .LBB6_3151
.LBB6_3156:                             ;   in Loop: Header=BB6_3152 Depth=3
	s_cbranch_execz .LBB6_3157
; %bb.18615:
	s_getpc_b64 s[48:49]
.Lpost_getpc334:
	s_add_u32 s48, s48, (.LBB6_18099-.Lpost_getpc334)&4294967295
	s_addc_u32 s49, s49, (.LBB6_18099-.Lpost_getpc334)>>32
	s_setpc_b64 s[48:49]
.LBB6_3157:                             ;   in Loop: Header=BB6_3152 Depth=3
	ds_load_b64 v[8:9], v0
	s_and_not1_b32 s42, s42, exec_lo
	s_mov_b32 s41, 0
	s_mov_b32 s43, -1
	s_waitcnt vmcnt(0) lgkmcnt(0)
	s_waitcnt_vscnt null, 0x0
	flat_load_b32 v2, v[8:9] glc
	s_waitcnt vmcnt(0) lgkmcnt(0)
	buffer_gl1_inv
	buffer_gl0_inv
	v_cmp_eq_u32_e32 vcc_lo, 0, v2
	s_and_b32 vcc_lo, vcc_lo, exec_lo
	s_delay_alu instid0(SALU_CYCLE_1)
	s_or_b32 s42, s42, vcc_lo
	s_branch .LBB6_3153
.LBB6_3158:                             ;   in Loop: Header=BB6_3092 Depth=2
	s_or_b32 exec_lo, exec_lo, s17
	s_and_saveexec_b32 s17, s29
	s_delay_alu instid0(SALU_CYCLE_1)
	s_xor_b32 s17, exec_lo, s17
	s_cbranch_execz .LBB6_3160
; %bb.3159:                             ;   in Loop: Header=BB6_3092 Depth=2
	ds_store_b32 v0, v13
	s_cbranch_execz .LBB6_3160
; %bb.18617:
	s_getpc_b64 s[48:49]
.Lpost_getpc335:
	s_add_u32 s48, s48, (.LBB6_18321-.Lpost_getpc335)&4294967295
	s_addc_u32 s49, s49, (.LBB6_18321-.Lpost_getpc335)>>32
	s_setpc_b64 s[48:49]
.LBB6_3160:                             ;   in Loop: Header=BB6_3092 Depth=2
	s_or_b32 exec_lo, exec_lo, s16
	v_mov_b32_e32 v21, 1
	;;#ASMSTART
	s_wakeup
	;;#ASMEND
.LBB6_3161:                             ;   in Loop: Header=BB6_3092 Depth=2
	s_or_b32 exec_lo, exec_lo, s15
.LBB6_3162:                             ;   in Loop: Header=BB6_3092 Depth=2
	s_and_not1_saveexec_b32 s13, s13
	s_cbranch_execz .LBB6_3164
; %bb.3163:                             ;   in Loop: Header=BB6_3092 Depth=2
	;;#ASMSTART
	s_waitcnt lgkmcnt(0) vmcnt(0)
	;;#ASMEND
	s_waitcnt vmcnt(0) lgkmcnt(0)
	s_waitcnt_vscnt null, 0x0
	s_barrier
.LBB6_3164:                             ;   in Loop: Header=BB6_3092 Depth=2
	s_or_b32 exec_lo, exec_lo, s13
	v_and_b32_e32 v2, 16, v30
.LBB6_3165:                             ;   in Loop: Header=BB6_3092 Depth=2
	s_or_b32 exec_lo, exec_lo, s6
	s_delay_alu instid0(SALU_CYCLE_1) | instskip(NEXT) | instid1(VALU_DEP_1)
	s_mov_b32 s6, exec_lo
	v_cmpx_ne_u32_e32 0, v2
	s_cbranch_execz .LBB6_3169
; %bb.3166:                             ;   in Loop: Header=BB6_3092 Depth=2
	s_and_saveexec_b32 s13, s11
	s_cbranch_execz .LBB6_3168
; %bb.3167:                             ;   in Loop: Header=BB6_3092 Depth=2
	s_waitcnt vmcnt(0) lgkmcnt(0)
	s_waitcnt_vscnt null, 0x0
	flat_store_b32 v[152:153], v21
.LBB6_3168:                             ;   in Loop: Header=BB6_3092 Depth=2
	s_or_b32 exec_lo, exec_lo, s13
	v_add_co_u32 v34, vcc_lo, v34, 2
	v_add_co_ci_u32_e32 v35, vcc_lo, 0, v35, vcc_lo
	s_waitcnt vmcnt(0) lgkmcnt(0)
	s_waitcnt_vscnt null, 0x0
	flat_store_b64 v[32:33], v[34:35]
.LBB6_3169:                             ;   in Loop: Header=BB6_3092 Depth=2
	s_or_b32 exec_lo, exec_lo, s6
	v_add_nc_u32_e32 v23, v12, v23
	s_mov_b32 s6, 0
	s_and_not1_b32 exec_lo, exec_lo, s5
	s_cbranch_execnz .LBB6_3092
; %bb.3170:                             ;   in Loop: Header=BB6_51 Depth=1
	s_or_b32 exec_lo, exec_lo, s5
.LBB6_3171:                             ;   in Loop: Header=BB6_51 Depth=1
	s_delay_alu instid0(SALU_CYCLE_1) | instskip(NEXT) | instid1(SALU_CYCLE_1)
	s_or_b32 exec_lo, exec_lo, s2
	s_and_not1_b32 vcc_lo, exec_lo, s35
	s_cbranch_vccz .LBB6_3172
; %bb.18619:                            ;   in Loop: Header=BB6_51 Depth=1
	s_getpc_b64 s[48:49]
.Lpost_getpc336:
	s_add_u32 s48, s48, (.LBB6_7985-.Lpost_getpc336)&4294967295
	s_addc_u32 s49, s49, (.LBB6_7985-.Lpost_getpc336)>>32
	s_setpc_b64 s[48:49]
.LBB6_3172:                             ;   in Loop: Header=BB6_51 Depth=1
	s_waitcnt vmcnt(2)
	v_dual_mov_b32 v162, v43 :: v_dual_mov_b32 v179, v20
	v_mov_b32_e32 v134, v168
	v_dual_mov_b32 v116, v154 :: v_dual_mov_b32 v97, v139
	v_mov_b32_e32 v112, v152
	v_mov_b32_e32 v100, v141
	v_dual_mov_b32 v86, v137 :: v_dual_mov_b32 v87, v138
	v_dual_mov_b32 v98, v183 :: v_dual_mov_b32 v135, v169
	;; [unrolled: 1-line block ×7, first 2 shown]
	v_mov_b32_e32 v117, v155
	s_mov_b32 s15, 2
.LBB6_3173:                             ;   Parent Loop BB6_51 Depth=1
                                        ; =>  This Loop Header: Depth=2
                                        ;       Child Loop BB6_3175 Depth 3
                                        ;         Child Loop BB6_3184 Depth 4
                                        ;         Child Loop BB6_3216 Depth 4
	;; [unrolled: 1-line block ×9, first 2 shown]
                                        ;       Child Loop BB6_7901 Depth 3
                                        ;         Child Loop BB6_7907 Depth 4
                                        ;         Child Loop BB6_7937 Depth 4
	;; [unrolled: 1-line block ×3, first 2 shown]
	s_delay_alu instid0(SALU_CYCLE_1) | instskip(SKIP_4) | instid1(SALU_CYCLE_1)
	s_sub_i32 s2, s25, s15
	v_mov_b32_e32 v148, 0
	s_cmp_le_i32 s19, s2
	s_mov_b32 s17, 0
	s_cselect_b32 s5, s19, 0
	s_sub_i32 s2, s2, s5
	s_delay_alu instid0(SALU_CYCLE_1) | instskip(SKIP_3) | instid1(VALU_DEP_1)
	s_ashr_i32 s5, s2, 31
	v_mul_lo_u32 v2, v65, s2
	v_mad_u64_u32 v[70:71], null, v64, s2, 0
	v_mul_lo_u32 v8, v64, s5
	v_add3_u32 v71, v71, v8, v2
	s_delay_alu instid0(VALU_DEP_3) | instskip(NEXT) | instid1(VALU_DEP_2)
	v_sub_co_u32 v8, vcc_lo, v66, v70
	v_sub_co_ci_u32_e32 v9, vcc_lo, v67, v71, vcc_lo
	s_delay_alu instid0(VALU_DEP_1) | instskip(SKIP_1) | instid1(VALU_DEP_1)
	v_cmp_lt_i64_e32 vcc_lo, v[64:65], v[8:9]
	v_cndmask_b32_e32 v8, v8, v64, vcc_lo
	v_max_i32_e32 v147, 0, v8
	s_delay_alu instid0(VALU_DEP_1) | instskip(NEXT) | instid1(VALU_DEP_1)
	v_add_nc_u32_e32 v2, 31, v147
	v_lshrrev_b32_e32 v2, 1, v2
	s_delay_alu instid0(VALU_DEP_1) | instskip(SKIP_2) | instid1(VALU_DEP_3)
	v_and_b32_e32 v9, 0x3ffffff0, v2
	v_cmp_lt_i32_e32 vcc_lo, 0, v8
	v_mov_b32_e32 v2, 0
	v_max_i32_e32 v68, s28, v9
	s_and_b32 s2, s38, vcc_lo
	s_delay_alu instid0(SALU_CYCLE_1)
	s_and_saveexec_b32 s16, s2
	s_cbranch_execnz .LBB6_3174
; %bb.18621:                            ;   in Loop: Header=BB6_3173 Depth=2
	s_getpc_b64 s[48:49]
.Lpost_getpc337:
	s_add_u32 s48, s48, (.LBB6_7899-.Lpost_getpc337)&4294967295
	s_addc_u32 s49, s49, (.LBB6_7899-.Lpost_getpc337)>>32
	s_setpc_b64 s[48:49]
.LBB6_3174:                             ;   in Loop: Header=BB6_3173 Depth=2
	v_mov_b32_e32 v148, 0
	s_mov_b32 s40, 1
	s_mov_b32 s13, -1
.LBB6_3175:                             ;   Parent Loop BB6_51 Depth=1
                                        ;     Parent Loop BB6_3173 Depth=2
                                        ; =>    This Loop Header: Depth=3
                                        ;         Child Loop BB6_3184 Depth 4
                                        ;         Child Loop BB6_3216 Depth 4
	;; [unrolled: 1-line block ×9, first 2 shown]
	s_and_saveexec_b32 s2, s0
	s_cbranch_execz .LBB6_3178
; %bb.3176:                             ;   in Loop: Header=BB6_3175 Depth=3
	s_cbranch_execz .LBB6_3177
; %bb.18623:
	s_getpc_b64 s[48:49]
.Lpost_getpc338:
	s_add_u32 s48, s48, (.LBB6_18010-.Lpost_getpc338)&4294967295
	s_addc_u32 s49, s49, (.LBB6_18010-.Lpost_getpc338)>>32
	s_setpc_b64 s[48:49]
.LBB6_3177:                             ;   in Loop: Header=BB6_3175 Depth=3
	ds_load_b64 v[8:9], v0
	s_waitcnt vmcnt(1) lgkmcnt(0)
	v_add_co_u32 v2, vcc_lo, v8, v164
	s_waitcnt vmcnt(0)
	v_add_co_ci_u32_e32 v8, vcc_lo, v9, v167, vcc_lo
	v_ashrrev_i32_e32 v9, 31, v148
	s_delay_alu instid0(VALU_DEP_3) | instskip(NEXT) | instid1(VALU_DEP_3)
	v_add_co_u32 v2, vcc_lo, v2, v70
	v_add_co_ci_u32_e32 v10, vcc_lo, v8, v71, vcc_lo
	s_delay_alu instid0(VALU_DEP_2) | instskip(NEXT) | instid1(VALU_DEP_2)
	v_add_co_u32 v8, vcc_lo, v2, v148
	v_add_co_ci_u32_e32 v9, vcc_lo, v10, v9, vcc_lo
	v_mov_b32_e32 v2, v3
	ds_store_b64 v0, v[8:9]
	ds_store_b64 v0, v[2:3]
.LBB6_3178:                             ;   in Loop: Header=BB6_3175 Depth=3
	s_or_b32 exec_lo, exec_lo, s2
	v_and_b32_e32 v2, 12, v30
	s_mov_b32 s5, -1
	s_mov_b32 s2, exec_lo
	s_delay_alu instid0(VALU_DEP_1)
	v_cmpx_ne_u32_e32 0, v2
	v_writelane_b32 v190, s13, 10
	v_writelane_b32 v190, s40, 11
	s_cbranch_execz .LBB6_3192
; %bb.3179:                             ;   in Loop: Header=BB6_3175 Depth=3
	v_dual_mov_b32 v13, v118 :: v_dual_and_b32 v2, 8, v30
	v_mov_b32_e32 v14, v119
	s_delay_alu instid0(VALU_DEP_2) | instskip(SKIP_3) | instid1(VALU_DEP_1)
	v_add_co_u32 v10, vcc_lo, v118, v2
	v_add_co_ci_u32_e32 v11, vcc_lo, 0, v119, vcc_lo
	v_add_co_u32 v8, vcc_lo, v34, 2
	v_add_co_ci_u32_e32 v9, vcc_lo, 0, v35, vcc_lo
	v_cmp_lt_u64_e32 vcc_lo, v[10:11], v[8:9]
	v_mov_b32_e32 v10, 1
	s_and_saveexec_b32 s5, vcc_lo
	s_cbranch_execz .LBB6_3191
; %bb.3180:                             ;   in Loop: Header=BB6_3175 Depth=3
	v_mov_b32_e32 v10, 0
	s_mov_b32 s6, 0
                                        ; implicit-def: $sgpr13
	s_branch .LBB6_3184
.LBB6_3181:                             ;   in Loop: Header=BB6_3184 Depth=4
	s_or_b32 exec_lo, exec_lo, s42
	v_mov_b32_e32 v11, 0
	s_or_not1_b32 s41, s41, exec_lo
.LBB6_3182:                             ;   in Loop: Header=BB6_3184 Depth=4
	s_or_b32 exec_lo, exec_lo, s40
	s_delay_alu instid0(VALU_DEP_1) | instskip(SKIP_2) | instid1(SALU_CYCLE_1)
	v_mov_b32_e32 v10, v11
	s_and_not1_b32 s13, s13, exec_lo
	s_and_b32 vcc_lo, s41, exec_lo
	s_or_b32 s13, s13, vcc_lo
.LBB6_3183:                             ;   in Loop: Header=BB6_3184 Depth=4
	s_or_b32 exec_lo, exec_lo, s29
	s_waitcnt vmcnt(0) lgkmcnt(0)
	v_add_co_u32 v11, vcc_lo, v13, v2
	v_add_co_ci_u32_e32 v12, vcc_lo, 0, v14, vcc_lo
	s_xor_b32 s29, s13, -1
	s_delay_alu instid0(VALU_DEP_1) | instskip(SKIP_1) | instid1(SALU_CYCLE_1)
	v_cmp_ge_u64_e32 vcc_lo, v[11:12], v[8:9]
	s_or_b32 s29, s29, vcc_lo
	s_and_b32 s29, exec_lo, s29
	s_delay_alu instid0(SALU_CYCLE_1) | instskip(NEXT) | instid1(SALU_CYCLE_1)
	s_or_b32 s6, s29, s6
	s_and_not1_b32 exec_lo, exec_lo, s6
	s_cbranch_execz .LBB6_3190
.LBB6_3184:                             ;   Parent Loop BB6_51 Depth=1
                                        ;     Parent Loop BB6_3173 Depth=2
                                        ;       Parent Loop BB6_3175 Depth=3
                                        ; =>      This Inner Loop Header: Depth=4
	s_sleep 1
	flat_load_b64 v[13:14], v[32:33] glc
	v_and_b32_e32 v11, 64, v30
	s_and_not1_b32 s13, s13, exec_lo
	s_mov_b32 s29, exec_lo
	s_delay_alu instid0(VALU_DEP_1)
	v_cmpx_eq_u32_e32 0, v11
	s_cbranch_execz .LBB6_3183
; %bb.3185:                             ;   in Loop: Header=BB6_3184 Depth=4
	v_add_nc_u32_e32 v11, 1, v10
	s_mov_b32 s41, -1
	s_mov_b32 s40, exec_lo
	v_cmpx_lt_i32_e32 0x270e, v10
	s_cbranch_execz .LBB6_3182
; %bb.3186:                             ;   in Loop: Header=BB6_3184 Depth=4
	s_cbranch_execz .LBB6_3187
; %bb.18625:
	s_getpc_b64 s[48:49]
.Lpost_getpc339:
	s_add_u32 s48, s48, (.LBB6_18041-.Lpost_getpc339)&4294967295
	s_addc_u32 s49, s49, (.LBB6_18041-.Lpost_getpc339)>>32
	s_setpc_b64 s[48:49]
.LBB6_3187:                             ;   in Loop: Header=BB6_3184 Depth=4
	ds_load_b64 v[10:11], v0
	s_mov_b32 s42, exec_lo
	s_waitcnt vmcnt(0) lgkmcnt(0)
	s_waitcnt_vscnt null, 0x0
	flat_load_b32 v10, v[10:11] glc
	s_waitcnt vmcnt(0) lgkmcnt(0)
	buffer_gl1_inv
	buffer_gl0_inv
	v_cmpx_ne_u32_e32 0, v10
	s_cbranch_execz .LBB6_3181
; %bb.3188:                             ;   in Loop: Header=BB6_3184 Depth=4
	ds_store_b32 v0, v10
	s_cbranch_execz .LBB6_3189
; %bb.18627:
	s_getpc_b64 s[48:49]
.Lpost_getpc340:
	s_add_u32 s48, s48, (.LBB6_18093-.Lpost_getpc340)&4294967295
	s_addc_u32 s49, s49, (.LBB6_18093-.Lpost_getpc340)>>32
	s_setpc_b64 s[48:49]
.LBB6_3189:                             ;   in Loop: Header=BB6_3184 Depth=4
	v_or_b32_e32 v30, 64, v30
	s_xor_b32 s41, exec_lo, -1
	s_branch .LBB6_3181
.LBB6_3190:                             ;   in Loop: Header=BB6_3175 Depth=3
	s_or_b32 exec_lo, exec_lo, s6
	v_and_b32_e32 v10, 12, v30
.LBB6_3191:                             ;   in Loop: Header=BB6_3175 Depth=3
	s_or_b32 exec_lo, exec_lo, s5
	s_delay_alu instid0(VALU_DEP_1)
	v_cmp_eq_u32_e32 vcc_lo, 0, v10
	v_dual_mov_b32 v119, v14 :: v_dual_mov_b32 v118, v13
	;;#ASMSTART
	s_wakeup
	;;#ASMEND
	s_or_not1_b32 s5, vcc_lo, exec_lo
.LBB6_3192:                             ;   in Loop: Header=BB6_3175 Depth=3
	s_or_b32 exec_lo, exec_lo, s2
	v_sub_nc_u32_e32 v2, v147, v148
	s_xor_b32 s5, s5, -1
	s_delay_alu instid0(VALU_DEP_1)
	v_min_i32_e32 v68, v68, v2
	s_and_saveexec_b32 s2, s5
	s_cbranch_execz .LBB6_3207
; %bb.3193:                             ;   in Loop: Header=BB6_3175 Depth=3
	v_and_b32_e32 v2, 0x108, v30
	s_mov_b32 s5, exec_lo
	s_delay_alu instid0(VALU_DEP_1)
	v_cmpx_ne_u32_e32 0x108, v2
	s_xor_b32 s5, exec_lo, s5
                                        ; implicit-def: $vgpr8_vgpr9
; %bb.3194:                             ;   in Loop: Header=BB6_3175 Depth=3
	v_and_b32_e32 v8, 7, v34
; %bb.3195:                             ;   in Loop: Header=BB6_3175 Depth=3
	s_and_not1_saveexec_b32 s5, s5
	s_cbranch_execz .LBB6_3197
; %bb.3196:                             ;   in Loop: Header=BB6_3175 Depth=3
	v_and_b32_e32 v8, 7, v34
	v_ashrrev_i32_e32 v69, 31, v68
	s_delay_alu instid0(VALU_DEP_2)
	v_mad_u64_u32 v[9:10], null, v8, 24, v[6:7]
	flat_store_b64 v[9:10], v[68:69] offset:8
.LBB6_3197:                             ;   in Loop: Header=BB6_3175 Depth=3
	s_or_b32 exec_lo, exec_lo, s5
	v_and_b32_e32 v2, 0x100, v30
	s_mov_b32 s6, -1
	s_mov_b32 s5, exec_lo
                                        ; implicit-def: $vgpr9_vgpr10
	s_delay_alu instid0(VALU_DEP_1)
	v_cmpx_ne_u32_e32 0, v2
	s_cbranch_execnz .LBB6_3200
; %bb.3198:                             ;   in Loop: Header=BB6_3175 Depth=3
	s_or_b32 exec_lo, exec_lo, s5
	s_and_saveexec_b32 s5, s6
	s_cbranch_execnz .LBB6_3203
.LBB6_3199:                             ;   in Loop: Header=BB6_3175 Depth=3
	s_or_b32 exec_lo, exec_lo, s5
	s_cbranch_execz .LBB6_3204
; %bb.18629:
	s_getpc_b64 s[48:49]
.Lpost_getpc341:
	s_add_u32 s48, s48, (.LBB6_18037-.Lpost_getpc341)&4294967295
	s_addc_u32 s49, s49, (.LBB6_18037-.Lpost_getpc341)>>32
	s_setpc_b64 s[48:49]
.LBB6_3200:                             ;   in Loop: Header=BB6_3175 Depth=3
	v_mad_u64_u32 v[11:12], null, v8, 24, v[6:7]
	s_mov_b32 s6, exec_lo
	s_delay_alu instid0(VALU_DEP_1) | instskip(NEXT) | instid1(VALU_DEP_1)
	v_mov_b32_e32 v2, v12
	v_mad_u64_u32 v[9:10], null, v3, 24, v[2:3]
	s_delay_alu instid0(VALU_DEP_1)
	v_mov_b32_e32 v12, v9
                                        ; implicit-def: $vgpr9_vgpr10
	flat_load_b32 v2, v[11:12]
	s_waitcnt vmcnt(0) lgkmcnt(0)
	v_cmp_ne_u32_e32 vcc_lo, 1, v2
	v_cmpx_eq_u32_e32 1, v2
	s_cbranch_execz .LBB6_3202
; %bb.3201:                             ;   in Loop: Header=BB6_3175 Depth=3
	flat_load_b32 v9, v[11:12] offset:4 glc
	s_waitcnt vmcnt(0) lgkmcnt(0)
	v_ashrrev_i32_e32 v10, 31, v9
.LBB6_3202:                             ;   in Loop: Header=BB6_3175 Depth=3
	s_or_b32 exec_lo, exec_lo, s6
	s_delay_alu instid0(SALU_CYCLE_1)
	s_or_not1_b32 s6, vcc_lo, exec_lo
	s_or_b32 exec_lo, exec_lo, s5
	s_and_saveexec_b32 s5, s6
	s_cbranch_execz .LBB6_3199
.LBB6_3203:                             ;   in Loop: Header=BB6_3175 Depth=3
	v_mov_b32_e32 v12, v97
	v_mul_lo_u32 v11, v8, v102
	s_delay_alu instid0(VALU_DEP_2) | instskip(SKIP_1) | instid1(VALU_DEP_1)
	v_mul_lo_u32 v2, v3, v12
	v_mad_u64_u32 v[9:10], null, v8, v12, 0
	v_add3_u32 v10, v10, v11, v2
	s_or_b32 exec_lo, exec_lo, s5
	s_cbranch_execz .LBB6_3204
; %bb.18631:
	s_getpc_b64 s[48:49]
.Lpost_getpc342:
	s_add_u32 s48, s48, (.LBB6_18037-.Lpost_getpc342)&4294967295
	s_addc_u32 s49, s49, (.LBB6_18037-.Lpost_getpc342)>>32
	s_setpc_b64 s[48:49]
.LBB6_3204:                             ;   in Loop: Header=BB6_3175 Depth=3
	v_dual_mov_b32 v11, v100 :: v_dual_and_b32 v2, 0x2000, v30
	v_mov_b32_e32 v12, v101
	s_mov_b32 s5, exec_lo
	s_delay_alu instid0(VALU_DEP_2) | instskip(NEXT) | instid1(VALU_DEP_2)
	v_add_co_u32 v8, vcc_lo, v11, v9
	v_add_co_ci_u32_e32 v9, vcc_lo, v12, v10, vcc_lo
	ds_store_b64 v0, v[8:9]
	v_cmpx_ne_u32_e32 0, v2
	s_cbranch_execz .LBB6_3206
; %bb.3205:                             ;   in Loop: Header=BB6_3175 Depth=3
	ds_load_b64 v[8:9], v0 offset:584
	s_waitcnt lgkmcnt(0)
	v_add_co_u32 v8, vcc_lo, v8, 1
	v_add_co_ci_u32_e32 v9, vcc_lo, 0, v9, vcc_lo
	ds_store_b64 v0, v[8:9] offset:584
.LBB6_3206:                             ;   in Loop: Header=BB6_3175 Depth=3
	s_or_b32 exec_lo, exec_lo, s5
	v_add_co_u32 v34, vcc_lo, v34, 2
	v_add_co_ci_u32_e32 v35, vcc_lo, 0, v35, vcc_lo
.LBB6_3207:                             ;   in Loop: Header=BB6_3175 Depth=3
	s_or_b32 exec_lo, exec_lo, s2
	s_and_saveexec_b32 s2, s3
	s_cbranch_execz .LBB6_3229
; %bb.3208:                             ;   in Loop: Header=BB6_3175 Depth=3
	s_and_saveexec_b32 s5, s4
	s_delay_alu instid0(SALU_CYCLE_1)
	s_xor_b32 s5, exec_lo, s5
	s_cbranch_execz .LBB6_3226
; %bb.3209:                             ;   in Loop: Header=BB6_3175 Depth=3
	s_and_saveexec_b32 s6, s1
	s_cbranch_execz .LBB6_3225
; %bb.3210:                             ;   in Loop: Header=BB6_3175 Depth=3
	s_mov_b32 s29, exec_lo
	s_mov_b32 s13, exec_lo
	v_mbcnt_lo_u32_b32 v2, s29, 0
	s_waitcnt vmcnt(0) lgkmcnt(0)
	s_waitcnt_vscnt null, 0x0
	buffer_gl1_inv
	buffer_gl0_inv
	v_cmpx_eq_u32_e32 0, v2
	s_cbranch_execz .LBB6_3212
; %bb.3211:                             ;   in Loop: Header=BB6_3175 Depth=3
	s_bcnt1_i32_b32 s29, s29
	s_delay_alu instid0(SALU_CYCLE_1)
	v_mov_b32_e32 v2, s29
	ds_add_u64 v0, v[2:3]
	s_cbranch_execz .LBB6_3212
; %bb.18633:
	s_getpc_b64 s[48:49]
.Lpost_getpc343:
	s_add_u32 s48, s48, (.LBB6_18147-.Lpost_getpc343)&4294967295
	s_addc_u32 s49, s49, (.LBB6_18147-.Lpost_getpc343)>>32
	s_setpc_b64 s[48:49]
.LBB6_3212:                             ;   in Loop: Header=BB6_3175 Depth=3
	s_or_b32 exec_lo, exec_lo, s13
	s_cbranch_execz .LBB6_3213
; %bb.18635:
	s_getpc_b64 s[48:49]
.Lpost_getpc344:
	s_add_u32 s48, s48, (.LBB6_18115-.Lpost_getpc344)&4294967295
	s_addc_u32 s49, s49, (.LBB6_18115-.Lpost_getpc344)>>32
	s_setpc_b64 s[48:49]
.LBB6_3213:                             ;   in Loop: Header=BB6_3175 Depth=3
	ds_load_b64 v[8:9], v0
	v_dual_mov_b32 v10, v116 :: v_dual_mov_b32 v11, v117
	s_mov_b32 s13, exec_lo
	s_delay_alu instid0(VALU_DEP_1) | instskip(NEXT) | instid1(VALU_DEP_2)
	v_add_co_u32 v10, vcc_lo, v10, v114
	v_add_co_ci_u32_e32 v11, vcc_lo, 0, v11, vcc_lo
	s_delay_alu instid0(VALU_DEP_1)
	v_dual_mov_b32 v117, v11 :: v_dual_mov_b32 v116, v10
	s_waitcnt lgkmcnt(0)
	v_cmpx_lt_u64_e64 v[8:9], v[10:11]
	s_cbranch_execz .LBB6_3224
; %bb.3214:                             ;   in Loop: Header=BB6_3175 Depth=3
	s_mov_b32 s29, 0
	s_mov_b32 s42, 0
                                        ; implicit-def: $sgpr40
                                        ; implicit-def: $sgpr41
	s_branch .LBB6_3216
.LBB6_3215:                             ;   in Loop: Header=BB6_3216 Depth=4
	s_or_b32 exec_lo, exec_lo, s44
	s_delay_alu instid0(SALU_CYCLE_1) | instskip(NEXT) | instid1(SALU_CYCLE_1)
	s_and_b32 vcc_lo, exec_lo, vcc_lo
	s_or_b32 s29, vcc_lo, s29
	s_and_not1_b32 vcc_lo, s40, exec_lo
	s_and_b32 s40, s41, exec_lo
	s_delay_alu instid0(SALU_CYCLE_1)
	s_or_b32 s40, vcc_lo, s40
	s_and_not1_b32 exec_lo, exec_lo, s29
	s_cbranch_execz .LBB6_3222
.LBB6_3216:                             ;   Parent Loop BB6_51 Depth=1
                                        ;     Parent Loop BB6_3173 Depth=2
                                        ;       Parent Loop BB6_3175 Depth=3
                                        ; =>      This Inner Loop Header: Depth=4
	s_add_i32 s42, s42, 1
                                        ; implicit-def: $sgpr44
	s_delay_alu instid0(SALU_CYCLE_1) | instskip(SKIP_1) | instid1(SALU_CYCLE_1)
	s_cmpk_lg_i32 s42, 0x2710
	s_cselect_b32 s43, -1, 0
	s_and_b32 vcc_lo, exec_lo, s43
	s_cbranch_vccz .LBB6_3220
.LBB6_3217:                             ;   in Loop: Header=BB6_3216 Depth=4
	s_and_not1_b32 s41, s41, exec_lo
	s_and_b32 s44, s44, exec_lo
	s_mov_b32 vcc_lo, -1
	s_or_b32 s41, s41, s44
	s_and_saveexec_b32 s44, s43
	s_cbranch_execz .LBB6_3215
; %bb.3218:                             ;   in Loop: Header=BB6_3216 Depth=4
	s_sleep 1
	s_cbranch_execz .LBB6_3219
; %bb.18637:
	s_getpc_b64 s[48:49]
.Lpost_getpc345:
	s_add_u32 s48, s48, (.LBB6_18197-.Lpost_getpc345)&4294967295
	s_addc_u32 s49, s49, (.LBB6_18197-.Lpost_getpc345)>>32
	s_setpc_b64 s[48:49]
.LBB6_3219:                             ;   in Loop: Header=BB6_3216 Depth=4
	ds_load_b64 v[8:9], v0
	s_and_not1_b32 s41, s41, exec_lo
	s_waitcnt lgkmcnt(0)
	v_cmp_ge_u64_e32 vcc_lo, v[8:9], v[116:117]
	s_or_not1_b32 vcc_lo, vcc_lo, exec_lo
	s_branch .LBB6_3215
.LBB6_3220:                             ;   in Loop: Header=BB6_3216 Depth=4
	s_cbranch_execz .LBB6_3221
; %bb.18639:
	s_getpc_b64 s[48:49]
.Lpost_getpc346:
	s_add_u32 s48, s48, (.LBB6_18211-.Lpost_getpc346)&4294967295
	s_addc_u32 s49, s49, (.LBB6_18211-.Lpost_getpc346)>>32
	s_setpc_b64 s[48:49]
.LBB6_3221:                             ;   in Loop: Header=BB6_3216 Depth=4
	ds_load_b64 v[8:9], v0
	s_and_not1_b32 s43, s43, exec_lo
	s_mov_b32 s42, 0
	s_mov_b32 s44, -1
	s_waitcnt lgkmcnt(0)
	flat_load_b32 v2, v[8:9] glc
	s_waitcnt vmcnt(0) lgkmcnt(0)
	buffer_gl1_inv
	buffer_gl0_inv
	v_cmp_eq_u32_e32 vcc_lo, 0, v2
	s_and_b32 vcc_lo, vcc_lo, exec_lo
	s_delay_alu instid0(SALU_CYCLE_1)
	s_or_b32 s43, s43, vcc_lo
	s_branch .LBB6_3217
.LBB6_3222:                             ;   in Loop: Header=BB6_3175 Depth=3
	s_or_b32 exec_lo, exec_lo, s29
	s_and_saveexec_b32 s29, s40
	s_delay_alu instid0(SALU_CYCLE_1)
	s_xor_b32 s29, exec_lo, s29
	s_cbranch_execz .LBB6_3224
; %bb.3223:                             ;   in Loop: Header=BB6_3175 Depth=3
	v_mov_b32_e32 v2, 1
	ds_store_b32 v0, v2
	s_cbranch_execz .LBB6_3224
; %bb.18641:
	s_getpc_b64 s[48:49]
.Lpost_getpc347:
	s_add_u32 s48, s48, (.LBB6_18417-.Lpost_getpc347)&4294967295
	s_addc_u32 s49, s49, (.LBB6_18417-.Lpost_getpc347)>>32
	s_setpc_b64 s[48:49]
.LBB6_3224:                             ;   in Loop: Header=BB6_3175 Depth=3
	s_or_b32 exec_lo, exec_lo, s13
	;;#ASMSTART
	s_wakeup
	;;#ASMEND
.LBB6_3225:                             ;   in Loop: Header=BB6_3175 Depth=3
	s_or_b32 exec_lo, exec_lo, s6
.LBB6_3226:                             ;   in Loop: Header=BB6_3175 Depth=3
	s_and_not1_saveexec_b32 s5, s5
	s_cbranch_execz .LBB6_3228
; %bb.3227:                             ;   in Loop: Header=BB6_3175 Depth=3
	s_waitcnt vmcnt(0) lgkmcnt(0)
	s_waitcnt_vscnt null, 0x0
	buffer_gl1_inv
	buffer_gl0_inv
	s_barrier
.LBB6_3228:                             ;   in Loop: Header=BB6_3175 Depth=3
	s_or_b32 exec_lo, exec_lo, s5
.LBB6_3229:                             ;   in Loop: Header=BB6_3175 Depth=3
	v_writelane_b32 v190, s14, 5
	v_writelane_b32 v190, s39, 1
	;; [unrolled: 1-line block ×5, first 2 shown]
	s_or_b32 exec_lo, exec_lo, s2
	s_cbranch_execz .LBB6_3230
; %bb.18643:
	s_getpc_b64 s[48:49]
.Lpost_getpc348:
	s_add_u32 s48, s48, (.LBB6_18016-.Lpost_getpc348)&4294967295
	s_addc_u32 s49, s49, (.LBB6_18016-.Lpost_getpc348)>>32
	s_setpc_b64 s[48:49]
.LBB6_3230:                             ;   in Loop: Header=BB6_3175 Depth=3
	ds_load_b32 v8, v0
	v_and_b32_e32 v2, 0x4000, v30
	s_xor_b32 s13, s30, -1
	s_mov_b32 s29, s35
	s_mov_b32 s6, s31
	;; [unrolled: 1-line block ×3, first 2 shown]
	v_cmp_ne_u32_e32 vcc_lo, 0, v2
	s_mov_b32 s2, s30
	s_and_b32 s14, s13, vcc_lo
	s_delay_alu instid0(SALU_CYCLE_1)
	s_and_saveexec_b32 s13, s14
	s_cbranch_execz .LBB6_3252
; %bb.3231:                             ;   in Loop: Header=BB6_3175 Depth=3
	s_and_saveexec_b32 s14, s4
	s_delay_alu instid0(SALU_CYCLE_1)
	s_xor_b32 s14, exec_lo, s14
	s_cbranch_execz .LBB6_3249
; %bb.3232:                             ;   in Loop: Header=BB6_3175 Depth=3
	s_and_saveexec_b32 s30, s1
	s_cbranch_execz .LBB6_3248
; %bb.3233:                             ;   in Loop: Header=BB6_3175 Depth=3
	s_mov_b32 s34, exec_lo
	s_mov_b32 s31, exec_lo
	v_mbcnt_lo_u32_b32 v2, s34, 0
	s_waitcnt vmcnt(0) lgkmcnt(0)
	s_waitcnt_vscnt null, 0x0
	buffer_gl1_inv
	buffer_gl0_inv
	v_cmpx_eq_u32_e32 0, v2
	s_cbranch_execz .LBB6_3235
; %bb.3234:                             ;   in Loop: Header=BB6_3175 Depth=3
	s_bcnt1_i32_b32 vcc_lo, s34
	s_delay_alu instid0(SALU_CYCLE_1)
	v_mov_b32_e32 v2, vcc_lo
	ds_add_u64 v0, v[2:3]
	s_cbranch_execz .LBB6_3235
; %bb.18645:
	s_getpc_b64 s[48:49]
.Lpost_getpc349:
	s_add_u32 s48, s48, (.LBB6_18183-.Lpost_getpc349)&4294967295
	s_addc_u32 s49, s49, (.LBB6_18183-.Lpost_getpc349)>>32
	s_setpc_b64 s[48:49]
.LBB6_3235:                             ;   in Loop: Header=BB6_3175 Depth=3
	s_or_b32 exec_lo, exec_lo, s31
	s_cbranch_execz .LBB6_3236
; %bb.18647:
	s_getpc_b64 s[48:49]
.Lpost_getpc350:
	s_add_u32 s48, s48, (.LBB6_18173-.Lpost_getpc350)&4294967295
	s_addc_u32 s49, s49, (.LBB6_18173-.Lpost_getpc350)>>32
	s_setpc_b64 s[48:49]
.LBB6_3236:                             ;   in Loop: Header=BB6_3175 Depth=3
	ds_load_b64 v[9:10], v0
	v_dual_mov_b32 v11, v116 :: v_dual_mov_b32 v12, v117
	s_mov_b32 s31, exec_lo
	s_delay_alu instid0(VALU_DEP_1) | instskip(NEXT) | instid1(VALU_DEP_2)
	v_add_co_u32 v11, vcc_lo, v11, v114
	v_add_co_ci_u32_e32 v12, vcc_lo, 0, v12, vcc_lo
	s_delay_alu instid0(VALU_DEP_1)
	v_dual_mov_b32 v117, v12 :: v_dual_mov_b32 v116, v11
	s_waitcnt lgkmcnt(0)
	v_cmpx_lt_u64_e64 v[9:10], v[11:12]
	s_cbranch_execz .LBB6_3247
; %bb.3237:                             ;   in Loop: Header=BB6_3175 Depth=3
	s_mov_b32 s34, 0
	s_mov_b32 s37, 0
                                        ; implicit-def: $sgpr35
                                        ; implicit-def: $sgpr36
	s_branch .LBB6_3239
.LBB6_3238:                             ;   in Loop: Header=BB6_3239 Depth=4
	s_or_b32 exec_lo, exec_lo, s39
	s_delay_alu instid0(SALU_CYCLE_1) | instskip(NEXT) | instid1(SALU_CYCLE_1)
	s_and_b32 vcc_lo, exec_lo, vcc_lo
	s_or_b32 s34, vcc_lo, s34
	s_and_not1_b32 vcc_lo, s35, exec_lo
	s_and_b32 s35, s36, exec_lo
	s_delay_alu instid0(SALU_CYCLE_1)
	s_or_b32 s35, vcc_lo, s35
	s_and_not1_b32 exec_lo, exec_lo, s34
	s_cbranch_execz .LBB6_3245
.LBB6_3239:                             ;   Parent Loop BB6_51 Depth=1
                                        ;     Parent Loop BB6_3173 Depth=2
                                        ;       Parent Loop BB6_3175 Depth=3
                                        ; =>      This Inner Loop Header: Depth=4
	s_add_i32 s37, s37, 1
                                        ; implicit-def: $sgpr39
	s_delay_alu instid0(SALU_CYCLE_1) | instskip(SKIP_1) | instid1(SALU_CYCLE_1)
	s_cmpk_lg_i32 s37, 0x2710
	s_cselect_b32 s38, -1, 0
	s_and_b32 vcc_lo, exec_lo, s38
	s_cbranch_vccz .LBB6_3243
.LBB6_3240:                             ;   in Loop: Header=BB6_3239 Depth=4
	s_and_not1_b32 s36, s36, exec_lo
	s_and_b32 s39, s39, exec_lo
	s_mov_b32 vcc_lo, -1
	s_or_b32 s36, s36, s39
	s_and_saveexec_b32 s39, s38
	s_cbranch_execz .LBB6_3238
; %bb.3241:                             ;   in Loop: Header=BB6_3239 Depth=4
	s_sleep 1
	s_cbranch_execz .LBB6_3242
; %bb.18649:
	s_getpc_b64 s[48:49]
.Lpost_getpc351:
	s_add_u32 s48, s48, (.LBB6_18251-.Lpost_getpc351)&4294967295
	s_addc_u32 s49, s49, (.LBB6_18251-.Lpost_getpc351)>>32
	s_setpc_b64 s[48:49]
.LBB6_3242:                             ;   in Loop: Header=BB6_3239 Depth=4
	ds_load_b64 v[9:10], v0
	s_and_not1_b32 s36, s36, exec_lo
	s_waitcnt lgkmcnt(0)
	v_cmp_ge_u64_e32 vcc_lo, v[9:10], v[116:117]
	s_or_not1_b32 vcc_lo, vcc_lo, exec_lo
	s_branch .LBB6_3238
.LBB6_3243:                             ;   in Loop: Header=BB6_3239 Depth=4
	s_cbranch_execz .LBB6_3244
; %bb.18651:
	s_getpc_b64 s[48:49]
.Lpost_getpc352:
	s_add_u32 s48, s48, (.LBB6_18265-.Lpost_getpc352)&4294967295
	s_addc_u32 s49, s49, (.LBB6_18265-.Lpost_getpc352)>>32
	s_setpc_b64 s[48:49]
.LBB6_3244:                             ;   in Loop: Header=BB6_3239 Depth=4
	ds_load_b64 v[9:10], v0
	s_and_not1_b32 s38, s38, exec_lo
	s_mov_b32 s37, 0
	s_mov_b32 s39, -1
	s_waitcnt lgkmcnt(0)
	flat_load_b32 v2, v[9:10] glc
	s_waitcnt vmcnt(0) lgkmcnt(0)
	buffer_gl1_inv
	buffer_gl0_inv
	v_cmp_eq_u32_e32 vcc_lo, 0, v2
	s_and_b32 vcc_lo, vcc_lo, exec_lo
	s_delay_alu instid0(SALU_CYCLE_1)
	s_or_b32 s38, s38, vcc_lo
	s_branch .LBB6_3240
.LBB6_3245:                             ;   in Loop: Header=BB6_3175 Depth=3
	s_or_b32 exec_lo, exec_lo, s34
	s_and_saveexec_b32 vcc_lo, s35
	s_delay_alu instid0(SALU_CYCLE_1)
	s_xor_b32 vcc_lo, exec_lo, vcc_lo
	s_cbranch_execz .LBB6_3247
; %bb.3246:                             ;   in Loop: Header=BB6_3175 Depth=3
	v_mov_b32_e32 v2, 1
	ds_store_b32 v0, v2
	s_cbranch_execz .LBB6_3247
; %bb.18653:
	s_getpc_b64 s[48:49]
.Lpost_getpc353:
	s_add_u32 s48, s48, (.LBB6_18453-.Lpost_getpc353)&4294967295
	s_addc_u32 s49, s49, (.LBB6_18453-.Lpost_getpc353)>>32
	s_setpc_b64 s[48:49]
.LBB6_3247:                             ;   in Loop: Header=BB6_3175 Depth=3
	s_or_b32 exec_lo, exec_lo, s31
	;;#ASMSTART
	s_wakeup
	;;#ASMEND
.LBB6_3248:                             ;   in Loop: Header=BB6_3175 Depth=3
	s_or_b32 exec_lo, exec_lo, s30
.LBB6_3249:                             ;   in Loop: Header=BB6_3175 Depth=3
	s_and_not1_saveexec_b32 s14, s14
	s_cbranch_execz .LBB6_3251
; %bb.3250:                             ;   in Loop: Header=BB6_3175 Depth=3
	s_waitcnt vmcnt(0) lgkmcnt(0)
	s_waitcnt_vscnt null, 0x0
	buffer_gl1_inv
	buffer_gl0_inv
	s_barrier
.LBB6_3251:                             ;   in Loop: Header=BB6_3175 Depth=3
	s_or_b32 exec_lo, exec_lo, s14
.LBB6_3252:                             ;   in Loop: Header=BB6_3175 Depth=3
	s_delay_alu instid0(SALU_CYCLE_1)
	s_or_b32 exec_lo, exec_lo, s13
	s_cbranch_execz .LBB6_3253
; %bb.18655:
	s_getpc_b64 s[48:49]
.Lpost_getpc354:
	s_add_u32 s48, s48, (.LBB6_18059-.Lpost_getpc354)&4294967295
	s_addc_u32 s49, s49, (.LBB6_18059-.Lpost_getpc354)>>32
	s_setpc_b64 s[48:49]
.LBB6_3253:                             ;   in Loop: Header=BB6_3175 Depth=3
	ds_load_b64 v[9:10], v0
	v_mov_b32_e32 v69, 0
	s_waitcnt lgkmcnt(0)
	v_cmp_eq_u64_e32 vcc_lo, 0, v[9:10]
	s_or_b32 s13, vcc_lo, vcc_lo
	s_delay_alu instid0(SALU_CYCLE_1)
	s_and_b32 vcc_lo, exec_lo, s13
	s_cbranch_vccz .LBB6_3254
; %bb.18657:                            ;   in Loop: Header=BB6_3175 Depth=3
	s_getpc_b64 s[48:49]
.Lpost_getpc355:
	s_add_u32 s48, s48, (.LBB6_7845-.Lpost_getpc355)&4294967295
	s_addc_u32 s49, s49, (.LBB6_7845-.Lpost_getpc355)>>32
	s_setpc_b64 s[48:49]
.LBB6_3254:                             ;   in Loop: Header=BB6_3175 Depth=3
	s_mov_b32 s13, -1
	s_and_saveexec_b32 s14, s12
	s_cbranch_execz .LBB6_3256
; %bb.3255:                             ;   in Loop: Header=BB6_3175 Depth=3
	ds_load_b32 v2, v0 offset:720
	s_waitcnt lgkmcnt(0)
	v_and_b32_e32 v2, 15, v2
	s_delay_alu instid0(VALU_DEP_1)
	v_cmp_eq_u32_e32 vcc_lo, 0, v2
	s_or_not1_b32 s13, vcc_lo, exec_lo
.LBB6_3256:                             ;   in Loop: Header=BB6_3175 Depth=3
	s_or_b32 exec_lo, exec_lo, s14
	s_and_saveexec_b32 s14, s6
	s_cbranch_execz .LBB6_3258
; %bb.3257:                             ;   in Loop: Header=BB6_3175 Depth=3
	ds_load_b32 v2, v0 offset:784
	s_waitcnt lgkmcnt(0)
	v_and_b32_e32 v2, 15, v2
	s_delay_alu instid0(VALU_DEP_1) | instskip(SKIP_3) | instid1(SALU_CYCLE_1)
	v_cmp_eq_u32_e32 vcc_lo, 0, v2
	s_and_b32 vcc_lo, s13, vcc_lo
	s_and_not1_b32 s13, s13, exec_lo
	s_and_b32 vcc_lo, vcc_lo, exec_lo
	s_or_b32 s13, s13, vcc_lo
.LBB6_3258:                             ;   in Loop: Header=BB6_3175 Depth=3
	s_or_b32 exec_lo, exec_lo, s14
	v_cmp_eq_u32_e32 vcc_lo, 0, v8
	s_xor_b32 s13, s13, -1
	v_mov_b32_e32 v8, v128
	v_cndmask_b32_e64 v2, 0, 1, s13
	;;#ASMSTART
	;;#ASMEND
	v_dual_cndmask_b32 v69, 0, v68 :: v_dual_mov_b32 v16, 0
	s_delay_alu instid0(VALU_DEP_2) | instskip(SKIP_1) | instid1(VALU_DEP_2)
	v_cmp_ne_u32_e32 vcc_lo, 0, v2
	s_mov_b32 s13, -1
	v_dual_mov_b32 v18, v0 :: v_dual_mov_b32 v17, v69
	s_cbranch_vccz .LBB6_3259
; %bb.18659:                            ;   in Loop: Header=BB6_3175 Depth=3
	s_getpc_b64 s[48:49]
.Lpost_getpc356:
	s_add_u32 s48, s48, (.LBB6_6492-.Lpost_getpc356)&4294967295
	s_addc_u32 s49, s49, (.LBB6_6492-.Lpost_getpc356)>>32
	s_setpc_b64 s[48:49]
.LBB6_3259:                             ;   in Loop: Header=BB6_3175 Depth=3
	v_ashrrev_i32_e32 v2, 31, v69
	s_mov_b32 s14, exec_lo
	s_delay_alu instid0(VALU_DEP_1) | instskip(NEXT) | instid1(VALU_DEP_1)
	v_lshrrev_b32_e32 v2, 21, v2
	v_add_nc_u32_e32 v2, v69, v2
	s_delay_alu instid0(VALU_DEP_1) | instskip(NEXT) | instid1(VALU_DEP_1)
	v_ashrrev_i32_e32 v149, 11, v2
	v_sub_nc_u32_e32 v2, v149, v128
	s_delay_alu instid0(VALU_DEP_1)
	v_cmpx_lt_i32_e32 0, v2
	s_cbranch_execz .LBB6_5833
; %bb.3260:                             ;   in Loop: Header=BB6_3175 Depth=3
	s_cbranch_execz .LBB6_3261
; %bb.18661:
	s_getpc_b64 s[48:49]
.Lpost_getpc357:
	s_add_u32 s48, s48, (.LBB6_18215-.Lpost_getpc357)&4294967295
	s_addc_u32 s49, s49, (.LBB6_18215-.Lpost_getpc357)>>32
	s_setpc_b64 s[48:49]
.LBB6_3261:                             ;   in Loop: Header=BB6_3175 Depth=3
	ds_load_b64 v[12:13], v0
	ds_load_b128 v[8:11], v0
	v_mov_b32_e32 v14, v188
	s_waitcnt lgkmcnt(1)
	v_readfirstlane_b32 s13, v12
	s_waitcnt lgkmcnt(0)
	s_delay_alu instid0(VALU_DEP_2)
	v_add_co_u32 v80, vcc_lo, v8, v14
	v_mov_b32_e32 v8, v189
	v_and_b32_e32 v150, 0xff, v12
	s_and_b32 s30, s13, 3
	s_bfe_u32 s34, s13, 0x50002
	s_clz_i32_u32 s31, s30
	v_add_co_ci_u32_e32 v81, vcc_lo, v9, v8, vcc_lo
	v_add_co_u32 v82, vcc_lo, v10, v14
	s_min_u32 s31, s31, 32
	v_add_co_ci_u32_e32 v83, vcc_lo, v11, v8, vcc_lo
	s_sub_i32 vcc_lo, s31, 29
	s_sub_i32 s31, 30, s31
	s_lshl_b32 vcc_lo, s13, vcc_lo
	s_delay_alu instid0(SALU_CYCLE_1)
	s_and_b32 s35, vcc_lo, 3
	v_add_co_u32 v84, vcc_lo, v12, v14
	s_cmp_eq_u32 s34, 0
	v_add_co_ci_u32_e32 v85, vcc_lo, v13, v8, vcc_lo
	s_cselect_b32 vcc_lo, s31, s34
	s_cselect_b32 s30, s35, s30
	s_lshl_b32 s13, s13, 24
	s_lshl_b32 vcc_lo, vcc_lo, 23
	s_and_b32 s13, s13, 0x80000000
	s_add_i32 vcc_lo, vcc_lo, 0x37800000
	s_lshl_b32 s31, s30, 21
	s_or_b32 s13, s13, vcc_lo
	s_mov_b32 s30, 0
	s_or_b32 s31, s13, s31
	s_branch .LBB6_3265
.LBB6_3262:                             ;   in Loop: Header=BB6_3265 Depth=4
	s_or_b32 exec_lo, exec_lo, s13
	s_delay_alu instid0(VALU_DEP_1) | instskip(NEXT) | instid1(VALU_DEP_2)
	v_lshrrev_b32_e32 v48, 21, v48
	v_cmp_gt_i32_e32 vcc_lo, 32, v11
	v_min_i32_e32 v49, 31, v11
	v_lshrrev_b32_e32 v39, 24, v39
	s_delay_alu instid0(VALU_DEP_2) | instskip(NEXT) | instid1(VALU_DEP_2)
	v_dual_cndmask_b32 v48, 3, v48 :: v_dual_lshlrev_b32 v49, 2, v49
	v_and_b32_e32 v39, 0x80, v39
	s_delay_alu instid0(VALU_DEP_2) | instskip(NEXT) | instid1(VALU_DEP_3)
	v_or_b32_e32 v11, v11, v48
	v_and_b32_e32 v49, 0xfc, v49
	s_delay_alu instid0(VALU_DEP_2) | instskip(SKIP_1) | instid1(VALU_DEP_1)
	v_cmp_ne_u32_e32 vcc_lo, 0, v11
	v_and_b32_e32 v50, 3, v48
	v_or3_b32 v39, v39, v49, v50
	s_delay_alu instid0(VALU_DEP_1) | instskip(NEXT) | instid1(VALU_DEP_1)
	v_lshlrev_b32_e32 v39, 8, v39
	v_cndmask_b32_e32 v11, 0, v39, vcc_lo
.LBB6_3263:                             ;   in Loop: Header=BB6_3265 Depth=4
	s_or_b32 exec_lo, exec_lo, s35
.LBB6_3264:                             ;   in Loop: Header=BB6_3265 Depth=4
	s_delay_alu instid0(SALU_CYCLE_1)
	s_or_b32 exec_lo, exec_lo, s34
	v_or_b32_e32 v13, v13, v61
	v_and_b32_e32 v39, 0xff, v74
	v_lshlrev_b32_e32 v49, 8, v76
	v_and_b32_e32 v50, 0xff, v57
	v_lshlrev_b32_e32 v51, 8, v58
	;; [unrolled: 2-line block ×3, first 2 shown]
	v_lshlrev_b32_e32 v13, 16, v13
	v_lshlrev_b32_e32 v39, 16, v39
	v_perm_b32 v49, v49, v78, 0xc0c0500
	v_lshlrev_b32_e32 v14, 24, v14
	v_lshlrev_b32_e32 v50, 16, v50
	v_perm_b32 v51, v51, v60, 0xc0c0500
	v_or3_b32 v13, v72, v48, v13
	v_or3_b32 v12, v12, v39, v49
	v_and_b32_e32 v48, 0xff, v110
	v_lshlrev_b32_e32 v49, 8, v111
	v_or3_b32 v14, v14, v50, v51
	v_and_b32_e32 v50, 0xff, v92
	v_lshlrev_b32_e32 v51, 8, v93
	v_lshlrev_b32_e32 v16, 24, v16
	;; [unrolled: 1-line block ×3, first 2 shown]
	v_perm_b32 v49, v49, v122, 0xc0c0500
	v_lshlrev_b32_e32 v18, 24, v18
	v_lshlrev_b32_e32 v50, 16, v50
	v_perm_b32 v51, v51, v95, 0xc0c0500
	v_or_b32_e32 v15, v15, v103
	v_or_b32_e32 v17, v17, v105
	v_or3_b32 v16, v16, v48, v49
	v_or_b32_e32 v21, v21, v56
	v_or3_b32 v18, v18, v50, v51
	v_and_b32_e32 v49, 0xff, v176
	v_lshlrev_b32_e32 v50, 8, v161
	v_and_b32_e32 v53, 0xff, v96
	v_lshlrev_b32_e32 v15, 16, v15
	;; [unrolled: 2-line block ×3, first 2 shown]
	v_or_b32_e32 v19, v19, v88
	v_and_b32_e32 v48, 0xff, v183
	v_lshlrev_b32_e32 v21, 16, v21
	v_lshlrev_b32_e32 v20, 24, v20
	;; [unrolled: 1-line block ×3, first 2 shown]
	v_perm_b32 v50, v50, v151, 0xc0c0500
	v_or3_b32 v15, v133, v53, v15
	v_or3_b32 v17, v108, v39, v17
	v_and_b32_e32 v39, 0xff, v89
	v_lshlrev_b32_e32 v19, 16, v19
	v_and_b32_e32 v51, 0xff, v79
	v_lshlrev_b32_e32 v53, 8, v75
	v_or_b32_e32 v23, v23, v121
	v_or3_b32 v21, v43, v48, v21
	v_or3_b32 v20, v20, v49, v50
	v_or_b32_e32 v9, v9, v132
	v_and_b32_e32 v48, 0xff, v182
	v_lshlrev_b32_e32 v50, 8, v40
	v_and_b32_e32 v27, 0xff, v27
	v_lshlrev_b32_e32 v26, 8, v26
	v_or_b32_e32 v11, v11, v38
	v_lshlrev_b32_e32 v22, 24, v22
	v_lshlrev_b32_e32 v51, 16, v51
	v_perm_b32 v53, v53, v62, 0xc0c0500
	v_or3_b32 v19, v90, v39, v19
	v_and_b32_e32 v39, 0xff, v104
	v_lshlrev_b32_e32 v23, 16, v23
	v_and_b32_e32 v49, 0xff, v129
	v_lshlrev_b32_e32 v9, 16, v9
	v_lshlrev_b32_e32 v8, 24, v8
	;; [unrolled: 1-line block ×3, first 2 shown]
	v_perm_b32 v50, v50, v144, 0xc0c0500
	v_lshlrev_b32_e32 v10, 24, v10
	v_lshlrev_b32_e32 v27, 16, v27
	v_perm_b32 v26, v26, v52, 0xc0c0500
	v_and_b32_e32 v36, 0xff, v36
	v_lshlrev_b32_e32 v11, 16, v11
	v_or3_b32 v22, v22, v51, v53
	v_or3_b32 v23, v106, v39, v23
	;; [unrolled: 1-line block ×6, first 2 shown]
	s_clause 0x3
	global_store_b128 v[84:85], v[20:23], off glc slc dlc
	global_store_b128 v[84:85], v[16:19], off offset:512 glc slc dlc
	global_store_b128 v[84:85], v[12:15], off offset:1024 glc slc dlc
	;; [unrolled: 1-line block ×3, first 2 shown]
	v_mov_b32_e32 v9, v162
	v_mov_b32_e32 v8, v98
	v_sub_nc_u32_e32 v2, v2, v114
	s_delay_alu instid0(VALU_DEP_2) | instskip(NEXT) | instid1(VALU_DEP_4)
	v_add_co_u32 v80, vcc_lo, v80, v8
	v_add_co_ci_u32_e32 v81, vcc_lo, v81, v9, vcc_lo
	v_add_co_u32 v82, vcc_lo, v82, v8
	v_add_co_ci_u32_e32 v83, vcc_lo, v83, v9, vcc_lo
	v_cmp_gt_i32_e32 vcc_lo, 1, v2
	v_add_co_u32 v84, s13, v84, v8
	s_delay_alu instid0(VALU_DEP_1) | instskip(SKIP_1) | instid1(SALU_CYCLE_1)
	v_add_co_ci_u32_e64 v85, s13, v85, v9, s13
	s_or_b32 s30, vcc_lo, s30
	s_and_not1_b32 exec_lo, exec_lo, s30
	s_cbranch_execz .LBB6_5832
.LBB6_3265:                             ;   Parent Loop BB6_51 Depth=1
                                        ;     Parent Loop BB6_3173 Depth=2
                                        ;       Parent Loop BB6_3175 Depth=3
                                        ; =>      This Inner Loop Header: Depth=4
	v_cmp_gt_i16_e64 vcc_lo, 0x80, v150
	s_delay_alu instid0(VALU_DEP_1)
	s_and_b32 vcc_lo, exec_lo, vcc_lo
	s_cbranch_vccnz .LBB6_3269
; %bb.3266:                             ;   in Loop: Header=BB6_3265 Depth=4
	v_cmp_eq_u16_e64 vcc_lo, 0x80, v150
	s_mov_b32 s13, -1
                                        ; implicit-def: $sgpr34
	s_delay_alu instid0(VALU_DEP_1)
	s_and_b32 vcc_lo, exec_lo, vcc_lo
	s_cbranch_vccz .LBB6_3268
; %bb.3267:                             ;   in Loop: Header=BB6_3265 Depth=4
	s_mov_b32 s13, 0
	s_mov_b32 s34, 0x7f800001
.LBB6_3268:                             ;   in Loop: Header=BB6_3265 Depth=4
	s_mov_b32 vcc_lo, 0
	s_branch .LBB6_3270
.LBB6_3269:                             ;   in Loop: Header=BB6_3265 Depth=4
	s_mov_b32 vcc_lo, -1
	s_mov_b32 s13, 0
                                        ; implicit-def: $sgpr34
.LBB6_3270:                             ;   in Loop: Header=BB6_3265 Depth=4
	s_and_b32 vcc_lo, exec_lo, vcc_lo
	s_cbranch_vccz .LBB6_3272
; %bb.3271:                             ;   in Loop: Header=BB6_3265 Depth=4
	v_cmp_ne_u16_e64 s13, 0, v150
	s_mov_b32 s34, 0
.LBB6_3272:                             ;   in Loop: Header=BB6_3265 Depth=4
	s_delay_alu instid0(VALU_DEP_1)
	s_and_not1_b32 vcc_lo, exec_lo, s13
	s_cbranch_vccnz .LBB6_3274
; %bb.3273:                             ;   in Loop: Header=BB6_3265 Depth=4
	s_mov_b32 s34, s31
.LBB6_3274:                             ;   in Loop: Header=BB6_3265 Depth=4
	global_load_b128 v[8:11], v[80:81], off slc dlc
	s_mov_b32 s13, 0
	s_mov_b32 s36, exec_lo
                                        ; implicit-def: $sgpr35
	s_waitcnt vmcnt(0)
	v_and_b32_e32 v13, 0xff, v8
	s_delay_alu instid0(VALU_DEP_1)
	v_cmpx_lt_i16_e32 0x7f, v13
	s_xor_b32 s36, exec_lo, s36
	s_cbranch_execnz .LBB6_5064
; %bb.3275:                             ;   in Loop: Header=BB6_3265 Depth=4
	s_or_saveexec_b32 s36, s36
	v_mov_b32_e32 v12, s35
	s_xor_b32 exec_lo, exec_lo, s36
	s_cbranch_execnz .LBB6_5067
.LBB6_3276:                             ;   in Loop: Header=BB6_3265 Depth=4
	s_or_b32 exec_lo, exec_lo, s36
	s_and_saveexec_b32 s35, s13
	s_cbranch_execz .LBB6_3278
.LBB6_3277:                             ;   in Loop: Header=BB6_3265 Depth=4
	v_bfe_u32 v15, v8, 2, 5
	v_lshlrev_b32_e32 v16, 24, v8
	s_delay_alu instid0(VALU_DEP_2) | instskip(SKIP_1) | instid1(VALU_DEP_1)
	v_cmp_eq_u32_e32 vcc_lo, 0, v15
	v_and_b32_e32 v12, 3, v8
	v_clz_i32_u32_e32 v13, v12
	s_delay_alu instid0(VALU_DEP_1) | instskip(NEXT) | instid1(VALU_DEP_1)
	v_min_u32_e32 v13, 32, v13
	v_subrev_nc_u32_e32 v14, 29, v13
	v_sub_nc_u32_e32 v13, 30, v13
	s_delay_alu instid0(VALU_DEP_1) | instskip(NEXT) | instid1(VALU_DEP_1)
	v_dual_cndmask_b32 v13, v15, v13 :: v_dual_lshlrev_b32 v14, v14, v8
	v_and_b32_e32 v14, 3, v14
	s_delay_alu instid0(VALU_DEP_2) | instskip(NEXT) | instid1(VALU_DEP_2)
	v_lshl_add_u32 v13, v13, 23, 0x37800000
	v_cndmask_b32_e32 v12, v12, v14, vcc_lo
	v_and_b32_e32 v14, 0x80000000, v16
	s_delay_alu instid0(VALU_DEP_2) | instskip(NEXT) | instid1(VALU_DEP_1)
	v_lshlrev_b32_e32 v12, 21, v12
	v_or3_b32 v12, v14, v13, v12
.LBB6_3278:                             ;   in Loop: Header=BB6_3265 Depth=4
	s_or_b32 exec_lo, exec_lo, s35
	s_delay_alu instid0(VALU_DEP_1) | instskip(SKIP_1) | instid1(VALU_DEP_1)
	v_dual_mul_f32 v12, s34, v12 :: v_dual_mov_b32 v151, 0x80
	s_mov_b32 s35, exec_lo
	v_and_b32_e32 v13, 0x7f800000, v12
	s_delay_alu instid0(VALU_DEP_1)
	v_cmpx_ne_u32_e32 0x7f800000, v13
	s_cbranch_execz .LBB6_3286
; %bb.3279:                             ;   in Loop: Header=BB6_3265 Depth=4
	v_mov_b32_e32 v151, 0
	s_mov_b32 s36, exec_lo
	v_cmpx_ne_u32_e32 0, v12
	s_cbranch_execz .LBB6_3285
; %bb.3280:                             ;   in Loop: Header=BB6_3265 Depth=4
	v_bfe_u32 v13, v12, 23, 8
	s_delay_alu instid0(VALU_DEP_1) | instskip(SKIP_1) | instid1(VALU_DEP_2)
	v_sub_nc_u32_e32 v15, 0x70, v13
	v_cmp_gt_u32_e32 vcc_lo, 0x71, v13
	v_dual_cndmask_b32 v15, 0, v15 :: v_dual_and_b32 v14, 0x7fffff, v12
	s_delay_alu instid0(VALU_DEP_1) | instskip(SKIP_2) | instid1(VALU_DEP_4)
	v_or_b32_e32 v16, 0x800000, v14
	v_cmp_eq_u32_e32 vcc_lo, 0, v13
	v_add_nc_u32_e32 v13, 0xffffff91, v13
	v_cndmask_b32_e64 v15, v15, 0x6f, vcc_lo
	s_delay_alu instid0(VALU_DEP_4) | instskip(NEXT) | instid1(VALU_DEP_3)
	v_cndmask_b32_e32 v14, v16, v14, vcc_lo
	v_cndmask_b32_e64 v13, v13, 0xffffff92, vcc_lo
	s_delay_alu instid0(VALU_DEP_3) | instskip(NEXT) | instid1(VALU_DEP_3)
	v_lshl_add_u32 v16, 0x200000, v15, -1
	v_lshrrev_b32_e32 v17, v15, v14
	v_lshlrev_b32_e64 v19, v15, 0x100000
	s_delay_alu instid0(VALU_DEP_4) | instskip(NEXT) | instid1(VALU_DEP_4)
	v_add_nc_u32_e32 v15, v15, v13
	v_and_b32_e32 v14, v16, v14
	s_delay_alu instid0(VALU_DEP_4) | instskip(NEXT) | instid1(VALU_DEP_2)
	v_bfe_u32 v18, v17, 21, 1
	v_cmp_eq_u32_e64 s13, v14, v19
	s_delay_alu instid0(VALU_DEP_2) | instskip(NEXT) | instid1(VALU_DEP_1)
	v_add_nc_u32_e32 v16, -1, v18
	v_cndmask_b32_e64 v14, 0, v16, s13
	v_lshrrev_b32_e32 v16, 23, v17
	s_mov_b32 s13, exec_lo
	s_delay_alu instid0(VALU_DEP_2) | instskip(NEXT) | instid1(VALU_DEP_2)
	v_add_nc_u32_e32 v14, v14, v17
	v_xor_b32_e32 v16, 1, v16
	s_delay_alu instid0(VALU_DEP_2) | instskip(NEXT) | instid1(VALU_DEP_1)
	v_and_b32_e32 v13, 0x1fffff, v14
	v_add_nc_u32_e32 v14, v13, v17
                                        ; implicit-def: $vgpr13
	s_delay_alu instid0(VALU_DEP_3)
	v_cmpx_ne_u32_e64 v15, v16
	s_xor_b32 s13, exec_lo, s13
; %bb.3281:                             ;   in Loop: Header=BB6_3265 Depth=4
	s_delay_alu instid0(VALU_DEP_2) | instskip(SKIP_2) | instid1(VALU_DEP_2)
	v_cmp_lt_u32_e32 vcc_lo, 0xffffff, v14
	v_sub_nc_u32_e32 v13, v15, v16
	v_cndmask_b32_e64 v15, 0, 1, vcc_lo
	v_add_co_ci_u32_e32 v13, vcc_lo, 0, v13, vcc_lo
	s_delay_alu instid0(VALU_DEP_2)
	v_lshrrev_b32_e32 v14, v15, v14
; %bb.3282:                             ;   in Loop: Header=BB6_3265 Depth=4
	s_and_not1_saveexec_b32 s13, s13
; %bb.3283:                             ;   in Loop: Header=BB6_3265 Depth=4
	s_delay_alu instid0(VALU_DEP_1)
	v_bfe_u32 v13, v14, 23, 1
; %bb.3284:                             ;   in Loop: Header=BB6_3265 Depth=4
	s_or_b32 exec_lo, exec_lo, s13
	v_lshrrev_b32_e32 v14, 21, v14
	s_delay_alu instid0(VALU_DEP_2) | instskip(SKIP_2) | instid1(VALU_DEP_2)
	v_cmp_gt_i32_e32 vcc_lo, 32, v13
	v_min_i32_e32 v15, 31, v13
	v_lshrrev_b32_e32 v12, 24, v12
	v_dual_cndmask_b32 v14, 3, v14 :: v_dual_lshlrev_b32 v15, 2, v15
	s_delay_alu instid0(VALU_DEP_2) | instskip(NEXT) | instid1(VALU_DEP_2)
	v_and_b32_e32 v12, 0x80, v12
	v_or_b32_e32 v13, v13, v14
	s_delay_alu instid0(VALU_DEP_1) | instskip(SKIP_1) | instid1(VALU_DEP_1)
	v_cmp_ne_u32_e32 vcc_lo, 0, v13
	v_and_b32_e32 v16, 3, v14
	v_or3_b32 v12, v15, v12, v16
	s_delay_alu instid0(VALU_DEP_1)
	v_cndmask_b32_e32 v151, 0, v12, vcc_lo
.LBB6_3285:                             ;   in Loop: Header=BB6_3265 Depth=4
	s_or_b32 exec_lo, exec_lo, s36
.LBB6_3286:                             ;   in Loop: Header=BB6_3265 Depth=4
	s_delay_alu instid0(SALU_CYCLE_1) | instskip(SKIP_3) | instid1(VALU_DEP_1)
	s_or_b32 exec_lo, exec_lo, s35
	v_lshrrev_b16 v12, 8, v8
	s_mov_b32 s13, 0
	s_mov_b32 s36, exec_lo
                                        ; implicit-def: $sgpr35
	v_cmpx_lt_i16_e32 0x7f, v12
	s_xor_b32 s36, exec_lo, s36
	s_cbranch_execnz .LBB6_5068
; %bb.3287:                             ;   in Loop: Header=BB6_3265 Depth=4
	s_or_saveexec_b32 s36, s36
	v_mov_b32_e32 v13, s35
	s_xor_b32 exec_lo, exec_lo, s36
	s_cbranch_execnz .LBB6_5071
.LBB6_3288:                             ;   in Loop: Header=BB6_3265 Depth=4
	s_or_b32 exec_lo, exec_lo, s36
	s_and_saveexec_b32 s35, s13
	s_cbranch_execz .LBB6_3290
.LBB6_3289:                             ;   in Loop: Header=BB6_3265 Depth=4
	v_and_b32_e32 v13, 0xffff, v12
	v_lshlrev_b32_e32 v12, 24, v12
	s_delay_alu instid0(VALU_DEP_2) | instskip(NEXT) | instid1(VALU_DEP_2)
	v_and_b32_e32 v14, 3, v13
	v_and_b32_e32 v12, 0x80000000, v12
	s_delay_alu instid0(VALU_DEP_2) | instskip(NEXT) | instid1(VALU_DEP_1)
	v_clz_i32_u32_e32 v15, v14
	v_min_u32_e32 v15, 32, v15
	s_delay_alu instid0(VALU_DEP_1) | instskip(SKIP_1) | instid1(VALU_DEP_2)
	v_subrev_nc_u32_e32 v16, 29, v15
	v_sub_nc_u32_e32 v15, 30, v15
	v_lshlrev_b32_e32 v16, v16, v13
	v_bfe_u32 v13, v13, 2, 5
	s_delay_alu instid0(VALU_DEP_2) | instskip(NEXT) | instid1(VALU_DEP_2)
	v_and_b32_e32 v16, 3, v16
	v_cmp_eq_u32_e32 vcc_lo, 0, v13
	s_delay_alu instid0(VALU_DEP_2) | instskip(NEXT) | instid1(VALU_DEP_1)
	v_dual_cndmask_b32 v13, v13, v15 :: v_dual_cndmask_b32 v14, v14, v16
	v_lshl_add_u32 v13, v13, 23, 0x37800000
	s_delay_alu instid0(VALU_DEP_2) | instskip(NEXT) | instid1(VALU_DEP_1)
	v_lshlrev_b32_e32 v14, 21, v14
	v_or3_b32 v13, v12, v13, v14
.LBB6_3290:                             ;   in Loop: Header=BB6_3265 Depth=4
	s_or_b32 exec_lo, exec_lo, s35
	s_delay_alu instid0(VALU_DEP_1) | instskip(SKIP_1) | instid1(VALU_DEP_1)
	v_dual_mul_f32 v12, s34, v13 :: v_dual_mov_b32 v161, 0x80
	s_mov_b32 s35, exec_lo
	v_and_b32_e32 v13, 0x7f800000, v12
	s_delay_alu instid0(VALU_DEP_1)
	v_cmpx_ne_u32_e32 0x7f800000, v13
	s_cbranch_execz .LBB6_3298
; %bb.3291:                             ;   in Loop: Header=BB6_3265 Depth=4
	v_mov_b32_e32 v161, 0
	s_mov_b32 s36, exec_lo
	v_cmpx_ne_u32_e32 0, v12
	s_cbranch_execz .LBB6_3297
; %bb.3292:                             ;   in Loop: Header=BB6_3265 Depth=4
	v_bfe_u32 v13, v12, 23, 8
	s_delay_alu instid0(VALU_DEP_1) | instskip(SKIP_1) | instid1(VALU_DEP_2)
	v_sub_nc_u32_e32 v15, 0x70, v13
	v_cmp_gt_u32_e32 vcc_lo, 0x71, v13
	v_dual_cndmask_b32 v15, 0, v15 :: v_dual_and_b32 v14, 0x7fffff, v12
	s_delay_alu instid0(VALU_DEP_1) | instskip(SKIP_2) | instid1(VALU_DEP_4)
	v_or_b32_e32 v16, 0x800000, v14
	v_cmp_eq_u32_e32 vcc_lo, 0, v13
	v_add_nc_u32_e32 v13, 0xffffff91, v13
	v_cndmask_b32_e64 v15, v15, 0x6f, vcc_lo
	s_delay_alu instid0(VALU_DEP_4) | instskip(NEXT) | instid1(VALU_DEP_3)
	v_cndmask_b32_e32 v14, v16, v14, vcc_lo
	v_cndmask_b32_e64 v13, v13, 0xffffff92, vcc_lo
	s_delay_alu instid0(VALU_DEP_3) | instskip(NEXT) | instid1(VALU_DEP_3)
	v_lshl_add_u32 v16, 0x200000, v15, -1
	v_lshrrev_b32_e32 v17, v15, v14
	v_lshlrev_b32_e64 v19, v15, 0x100000
	s_delay_alu instid0(VALU_DEP_4) | instskip(NEXT) | instid1(VALU_DEP_4)
	v_add_nc_u32_e32 v15, v15, v13
	v_and_b32_e32 v14, v16, v14
	s_delay_alu instid0(VALU_DEP_4) | instskip(NEXT) | instid1(VALU_DEP_2)
	v_bfe_u32 v18, v17, 21, 1
	v_cmp_eq_u32_e64 s13, v14, v19
	s_delay_alu instid0(VALU_DEP_2) | instskip(NEXT) | instid1(VALU_DEP_1)
	v_add_nc_u32_e32 v16, -1, v18
	v_cndmask_b32_e64 v14, 0, v16, s13
	v_lshrrev_b32_e32 v16, 23, v17
	s_mov_b32 s13, exec_lo
	s_delay_alu instid0(VALU_DEP_2) | instskip(NEXT) | instid1(VALU_DEP_2)
	v_add_nc_u32_e32 v14, v14, v17
	v_xor_b32_e32 v16, 1, v16
	s_delay_alu instid0(VALU_DEP_2) | instskip(NEXT) | instid1(VALU_DEP_1)
	v_and_b32_e32 v13, 0x1fffff, v14
	v_add_nc_u32_e32 v14, v13, v17
                                        ; implicit-def: $vgpr13
	s_delay_alu instid0(VALU_DEP_3)
	v_cmpx_ne_u32_e64 v15, v16
	s_xor_b32 s13, exec_lo, s13
; %bb.3293:                             ;   in Loop: Header=BB6_3265 Depth=4
	s_delay_alu instid0(VALU_DEP_2) | instskip(SKIP_2) | instid1(VALU_DEP_2)
	v_cmp_lt_u32_e32 vcc_lo, 0xffffff, v14
	v_sub_nc_u32_e32 v13, v15, v16
	v_cndmask_b32_e64 v15, 0, 1, vcc_lo
	v_add_co_ci_u32_e32 v13, vcc_lo, 0, v13, vcc_lo
	s_delay_alu instid0(VALU_DEP_2)
	v_lshrrev_b32_e32 v14, v15, v14
; %bb.3294:                             ;   in Loop: Header=BB6_3265 Depth=4
	s_and_not1_saveexec_b32 s13, s13
; %bb.3295:                             ;   in Loop: Header=BB6_3265 Depth=4
	s_delay_alu instid0(VALU_DEP_1)
	v_bfe_u32 v13, v14, 23, 1
; %bb.3296:                             ;   in Loop: Header=BB6_3265 Depth=4
	s_or_b32 exec_lo, exec_lo, s13
	v_lshrrev_b32_e32 v14, 21, v14
	s_delay_alu instid0(VALU_DEP_2) | instskip(SKIP_2) | instid1(VALU_DEP_2)
	v_cmp_gt_i32_e32 vcc_lo, 32, v13
	v_min_i32_e32 v15, 31, v13
	v_lshrrev_b32_e32 v12, 24, v12
	v_dual_cndmask_b32 v14, 3, v14 :: v_dual_lshlrev_b32 v15, 2, v15
	s_delay_alu instid0(VALU_DEP_2) | instskip(NEXT) | instid1(VALU_DEP_2)
	v_and_b32_e32 v12, 0x80, v12
	v_or_b32_e32 v13, v13, v14
	s_delay_alu instid0(VALU_DEP_1) | instskip(SKIP_1) | instid1(VALU_DEP_1)
	v_cmp_ne_u32_e32 vcc_lo, 0, v13
	v_and_b32_e32 v16, 3, v14
	v_or3_b32 v12, v15, v12, v16
	s_delay_alu instid0(VALU_DEP_1)
	v_cndmask_b32_e32 v161, 0, v12, vcc_lo
.LBB6_3297:                             ;   in Loop: Header=BB6_3265 Depth=4
	s_or_b32 exec_lo, exec_lo, s36
.LBB6_3298:                             ;   in Loop: Header=BB6_3265 Depth=4
	s_delay_alu instid0(SALU_CYCLE_1) | instskip(SKIP_3) | instid1(VALU_DEP_1)
	s_or_b32 exec_lo, exec_lo, s35
	v_lshrrev_b32_e32 v12, 16, v8
	s_mov_b32 s13, 0
	s_mov_b32 s36, exec_lo
                                        ; implicit-def: $sgpr35
	v_and_b32_e32 v14, 0xff, v12
	s_delay_alu instid0(VALU_DEP_1)
	v_cmpx_lt_i16_e32 0x7f, v14
	s_xor_b32 s36, exec_lo, s36
	s_cbranch_execnz .LBB6_5072
; %bb.3299:                             ;   in Loop: Header=BB6_3265 Depth=4
	s_or_saveexec_b32 s36, s36
	v_mov_b32_e32 v13, s35
	s_xor_b32 exec_lo, exec_lo, s36
	s_cbranch_execnz .LBB6_5075
.LBB6_3300:                             ;   in Loop: Header=BB6_3265 Depth=4
	s_or_b32 exec_lo, exec_lo, s36
	s_and_saveexec_b32 s35, s13
	s_cbranch_execz .LBB6_3302
.LBB6_3301:                             ;   in Loop: Header=BB6_3265 Depth=4
	v_bfe_u32 v13, v8, 16, 2
	v_lshlrev_b32_e32 v16, 8, v8
	s_delay_alu instid0(VALU_DEP_2) | instskip(NEXT) | instid1(VALU_DEP_1)
	v_clz_i32_u32_e32 v14, v13
	v_min_u32_e32 v14, 32, v14
	s_delay_alu instid0(VALU_DEP_1) | instskip(SKIP_1) | instid1(VALU_DEP_2)
	v_subrev_nc_u32_e32 v15, 29, v14
	v_sub_nc_u32_e32 v14, 30, v14
	v_lshlrev_b32_e32 v12, v15, v12
	v_bfe_u32 v15, v8, 18, 5
	s_delay_alu instid0(VALU_DEP_2) | instskip(NEXT) | instid1(VALU_DEP_2)
	v_and_b32_e32 v12, 3, v12
	v_cmp_eq_u32_e32 vcc_lo, 0, v15
	v_cndmask_b32_e32 v14, v15, v14, vcc_lo
	s_delay_alu instid0(VALU_DEP_3) | instskip(SKIP_1) | instid1(VALU_DEP_3)
	v_cndmask_b32_e32 v12, v13, v12, vcc_lo
	v_and_b32_e32 v13, 0x80000000, v16
	v_lshl_add_u32 v14, v14, 23, 0x37800000
	s_delay_alu instid0(VALU_DEP_3) | instskip(NEXT) | instid1(VALU_DEP_1)
	v_lshlrev_b32_e32 v12, 21, v12
	v_or3_b32 v13, v13, v14, v12
.LBB6_3302:                             ;   in Loop: Header=BB6_3265 Depth=4
	s_or_b32 exec_lo, exec_lo, s35
	s_delay_alu instid0(VALU_DEP_1) | instskip(SKIP_2) | instid1(VALU_DEP_2)
	v_mul_f32_e32 v12, s34, v13
	v_mov_b32_e32 v176, 0x80
	s_mov_b32 s35, exec_lo
	v_and_b32_e32 v13, 0x7f800000, v12
	s_delay_alu instid0(VALU_DEP_1)
	v_cmpx_ne_u32_e32 0x7f800000, v13
	s_cbranch_execz .LBB6_3310
; %bb.3303:                             ;   in Loop: Header=BB6_3265 Depth=4
	v_mov_b32_e32 v176, 0
	s_mov_b32 s36, exec_lo
	v_cmpx_ne_u32_e32 0, v12
	s_cbranch_execz .LBB6_3309
; %bb.3304:                             ;   in Loop: Header=BB6_3265 Depth=4
	v_bfe_u32 v13, v12, 23, 8
	s_delay_alu instid0(VALU_DEP_1) | instskip(SKIP_1) | instid1(VALU_DEP_2)
	v_sub_nc_u32_e32 v15, 0x70, v13
	v_cmp_gt_u32_e32 vcc_lo, 0x71, v13
	v_dual_cndmask_b32 v15, 0, v15 :: v_dual_and_b32 v14, 0x7fffff, v12
	s_delay_alu instid0(VALU_DEP_1) | instskip(SKIP_2) | instid1(VALU_DEP_4)
	v_or_b32_e32 v16, 0x800000, v14
	v_cmp_eq_u32_e32 vcc_lo, 0, v13
	v_add_nc_u32_e32 v13, 0xffffff91, v13
	v_cndmask_b32_e64 v15, v15, 0x6f, vcc_lo
	s_delay_alu instid0(VALU_DEP_4) | instskip(NEXT) | instid1(VALU_DEP_3)
	v_cndmask_b32_e32 v14, v16, v14, vcc_lo
	v_cndmask_b32_e64 v13, v13, 0xffffff92, vcc_lo
	s_delay_alu instid0(VALU_DEP_3) | instskip(NEXT) | instid1(VALU_DEP_3)
	v_lshl_add_u32 v16, 0x200000, v15, -1
	v_lshrrev_b32_e32 v17, v15, v14
	v_lshlrev_b32_e64 v19, v15, 0x100000
	s_delay_alu instid0(VALU_DEP_4) | instskip(NEXT) | instid1(VALU_DEP_4)
	v_add_nc_u32_e32 v15, v15, v13
	v_and_b32_e32 v14, v16, v14
	s_delay_alu instid0(VALU_DEP_4) | instskip(NEXT) | instid1(VALU_DEP_2)
	v_bfe_u32 v18, v17, 21, 1
	v_cmp_eq_u32_e64 s13, v14, v19
	s_delay_alu instid0(VALU_DEP_2) | instskip(NEXT) | instid1(VALU_DEP_1)
	v_add_nc_u32_e32 v16, -1, v18
	v_cndmask_b32_e64 v14, 0, v16, s13
	v_lshrrev_b32_e32 v16, 23, v17
	s_mov_b32 s13, exec_lo
	s_delay_alu instid0(VALU_DEP_2) | instskip(NEXT) | instid1(VALU_DEP_2)
	v_add_nc_u32_e32 v14, v14, v17
	v_xor_b32_e32 v16, 1, v16
	s_delay_alu instid0(VALU_DEP_2) | instskip(NEXT) | instid1(VALU_DEP_1)
	v_and_b32_e32 v13, 0x1fffff, v14
	v_add_nc_u32_e32 v14, v13, v17
                                        ; implicit-def: $vgpr13
	s_delay_alu instid0(VALU_DEP_3)
	v_cmpx_ne_u32_e64 v15, v16
	s_xor_b32 s13, exec_lo, s13
; %bb.3305:                             ;   in Loop: Header=BB6_3265 Depth=4
	s_delay_alu instid0(VALU_DEP_2) | instskip(SKIP_2) | instid1(VALU_DEP_2)
	v_cmp_lt_u32_e32 vcc_lo, 0xffffff, v14
	v_sub_nc_u32_e32 v13, v15, v16
	v_cndmask_b32_e64 v15, 0, 1, vcc_lo
	v_add_co_ci_u32_e32 v13, vcc_lo, 0, v13, vcc_lo
	s_delay_alu instid0(VALU_DEP_2)
	v_lshrrev_b32_e32 v14, v15, v14
; %bb.3306:                             ;   in Loop: Header=BB6_3265 Depth=4
	s_and_not1_saveexec_b32 s13, s13
; %bb.3307:                             ;   in Loop: Header=BB6_3265 Depth=4
	s_delay_alu instid0(VALU_DEP_1)
	v_bfe_u32 v13, v14, 23, 1
; %bb.3308:                             ;   in Loop: Header=BB6_3265 Depth=4
	s_or_b32 exec_lo, exec_lo, s13
	v_lshrrev_b32_e32 v14, 21, v14
	s_delay_alu instid0(VALU_DEP_2) | instskip(SKIP_2) | instid1(VALU_DEP_4)
	v_cmp_gt_i32_e32 vcc_lo, 32, v13
	v_lshrrev_b32_e32 v12, 24, v12
	v_min_i32_e32 v15, 31, v13
	v_cndmask_b32_e32 v14, 3, v14, vcc_lo
	s_delay_alu instid0(VALU_DEP_3) | instskip(NEXT) | instid1(VALU_DEP_3)
	v_and_b32_e32 v12, 0x80, v12
	v_lshlrev_b32_e32 v15, 2, v15
	s_delay_alu instid0(VALU_DEP_3) | instskip(SKIP_1) | instid1(VALU_DEP_2)
	v_and_b32_e32 v16, 3, v14
	v_or_b32_e32 v13, v13, v14
	v_or3_b32 v12, v15, v12, v16
	s_delay_alu instid0(VALU_DEP_2) | instskip(NEXT) | instid1(VALU_DEP_2)
	v_cmp_ne_u32_e32 vcc_lo, 0, v13
	v_cndmask_b32_e32 v176, 0, v12, vcc_lo
.LBB6_3309:                             ;   in Loop: Header=BB6_3265 Depth=4
	s_or_b32 exec_lo, exec_lo, s36
.LBB6_3310:                             ;   in Loop: Header=BB6_3265 Depth=4
	s_delay_alu instid0(SALU_CYCLE_1) | instskip(SKIP_3) | instid1(VALU_DEP_1)
	s_or_b32 exec_lo, exec_lo, s35
	v_lshrrev_b32_e32 v12, 24, v8
	s_mov_b32 s13, 0
	s_mov_b32 s36, exec_lo
                                        ; implicit-def: $sgpr35
	v_cmpx_lt_i16_e32 0x7f, v12
	s_xor_b32 s36, exec_lo, s36
	s_cbranch_execnz .LBB6_5076
; %bb.3311:                             ;   in Loop: Header=BB6_3265 Depth=4
	s_or_saveexec_b32 s36, s36
	v_mov_b32_e32 v13, s35
	s_xor_b32 exec_lo, exec_lo, s36
	s_cbranch_execnz .LBB6_5079
.LBB6_3312:                             ;   in Loop: Header=BB6_3265 Depth=4
	s_or_b32 exec_lo, exec_lo, s36
	s_and_saveexec_b32 s35, s13
	s_cbranch_execz .LBB6_3314
.LBB6_3313:                             ;   in Loop: Header=BB6_3265 Depth=4
	v_bfe_u32 v13, v8, 24, 2
	s_delay_alu instid0(VALU_DEP_1) | instskip(NEXT) | instid1(VALU_DEP_1)
	v_clz_i32_u32_e32 v14, v13
	v_min_u32_e32 v14, 32, v14
	s_delay_alu instid0(VALU_DEP_1) | instskip(SKIP_1) | instid1(VALU_DEP_2)
	v_subrev_nc_u32_e32 v15, 29, v14
	v_sub_nc_u32_e32 v14, 30, v14
	v_lshlrev_b32_e32 v12, v15, v12
	v_bfe_u32 v15, v8, 26, 5
	v_and_b32_e32 v8, 0x80000000, v8
	s_delay_alu instid0(VALU_DEP_3) | instskip(NEXT) | instid1(VALU_DEP_3)
	v_and_b32_e32 v12, 3, v12
	v_cmp_eq_u32_e32 vcc_lo, 0, v15
	v_cndmask_b32_e32 v14, v15, v14, vcc_lo
	s_delay_alu instid0(VALU_DEP_3) | instskip(NEXT) | instid1(VALU_DEP_2)
	v_cndmask_b32_e32 v12, v13, v12, vcc_lo
	v_lshl_add_u32 v13, v14, 23, 0x37800000
	s_delay_alu instid0(VALU_DEP_2) | instskip(NEXT) | instid1(VALU_DEP_1)
	v_lshlrev_b32_e32 v12, 21, v12
	v_or3_b32 v13, v8, v13, v12
.LBB6_3314:                             ;   in Loop: Header=BB6_3265 Depth=4
	s_or_b32 exec_lo, exec_lo, s35
	s_delay_alu instid0(VALU_DEP_1) | instskip(SKIP_1) | instid1(VALU_DEP_1)
	v_dual_mul_f32 v8, s34, v13 :: v_dual_mov_b32 v43, 0x80
	s_mov_b32 s35, exec_lo
	v_and_b32_e32 v12, 0x7f800000, v8
	s_delay_alu instid0(VALU_DEP_1)
	v_cmpx_ne_u32_e32 0x7f800000, v12
	s_cbranch_execz .LBB6_3322
; %bb.3315:                             ;   in Loop: Header=BB6_3265 Depth=4
	v_mov_b32_e32 v43, 0
	s_mov_b32 s36, exec_lo
	v_cmpx_ne_u32_e32 0, v8
	s_cbranch_execz .LBB6_3321
; %bb.3316:                             ;   in Loop: Header=BB6_3265 Depth=4
	v_bfe_u32 v12, v8, 23, 8
	s_delay_alu instid0(VALU_DEP_1) | instskip(SKIP_1) | instid1(VALU_DEP_2)
	v_sub_nc_u32_e32 v14, 0x70, v12
	v_cmp_gt_u32_e32 vcc_lo, 0x71, v12
	v_dual_cndmask_b32 v14, 0, v14 :: v_dual_and_b32 v13, 0x7fffff, v8
	s_delay_alu instid0(VALU_DEP_1) | instskip(SKIP_2) | instid1(VALU_DEP_4)
	v_or_b32_e32 v15, 0x800000, v13
	v_cmp_eq_u32_e32 vcc_lo, 0, v12
	v_add_nc_u32_e32 v12, 0xffffff91, v12
	v_cndmask_b32_e64 v14, v14, 0x6f, vcc_lo
	s_delay_alu instid0(VALU_DEP_4) | instskip(NEXT) | instid1(VALU_DEP_3)
	v_cndmask_b32_e32 v13, v15, v13, vcc_lo
	v_cndmask_b32_e64 v12, v12, 0xffffff92, vcc_lo
	s_delay_alu instid0(VALU_DEP_3) | instskip(NEXT) | instid1(VALU_DEP_3)
	v_lshl_add_u32 v15, 0x200000, v14, -1
	v_lshrrev_b32_e32 v16, v14, v13
	v_lshlrev_b32_e64 v18, v14, 0x100000
	s_delay_alu instid0(VALU_DEP_4) | instskip(NEXT) | instid1(VALU_DEP_4)
	v_add_nc_u32_e32 v14, v14, v12
	v_and_b32_e32 v13, v15, v13
	s_delay_alu instid0(VALU_DEP_4) | instskip(NEXT) | instid1(VALU_DEP_2)
	v_bfe_u32 v17, v16, 21, 1
	v_cmp_eq_u32_e64 s13, v13, v18
	s_delay_alu instid0(VALU_DEP_2) | instskip(NEXT) | instid1(VALU_DEP_1)
	v_add_nc_u32_e32 v15, -1, v17
	v_cndmask_b32_e64 v13, 0, v15, s13
	v_lshrrev_b32_e32 v15, 23, v16
	s_mov_b32 s13, exec_lo
	s_delay_alu instid0(VALU_DEP_2) | instskip(NEXT) | instid1(VALU_DEP_2)
	v_add_nc_u32_e32 v13, v13, v16
	v_xor_b32_e32 v15, 1, v15
	s_delay_alu instid0(VALU_DEP_2) | instskip(NEXT) | instid1(VALU_DEP_1)
	v_and_b32_e32 v12, 0x1fffff, v13
	v_add_nc_u32_e32 v13, v12, v16
                                        ; implicit-def: $vgpr12
	s_delay_alu instid0(VALU_DEP_3)
	v_cmpx_ne_u32_e64 v14, v15
	s_xor_b32 s13, exec_lo, s13
; %bb.3317:                             ;   in Loop: Header=BB6_3265 Depth=4
	s_delay_alu instid0(VALU_DEP_2) | instskip(SKIP_2) | instid1(VALU_DEP_2)
	v_cmp_lt_u32_e32 vcc_lo, 0xffffff, v13
	v_sub_nc_u32_e32 v12, v14, v15
	v_cndmask_b32_e64 v14, 0, 1, vcc_lo
	v_add_co_ci_u32_e32 v12, vcc_lo, 0, v12, vcc_lo
	s_delay_alu instid0(VALU_DEP_2)
	v_lshrrev_b32_e32 v13, v14, v13
; %bb.3318:                             ;   in Loop: Header=BB6_3265 Depth=4
	s_and_not1_saveexec_b32 s13, s13
; %bb.3319:                             ;   in Loop: Header=BB6_3265 Depth=4
	s_delay_alu instid0(VALU_DEP_1)
	v_bfe_u32 v12, v13, 23, 1
; %bb.3320:                             ;   in Loop: Header=BB6_3265 Depth=4
	s_or_b32 exec_lo, exec_lo, s13
	v_lshrrev_b32_e32 v13, 21, v13
	s_delay_alu instid0(VALU_DEP_2) | instskip(SKIP_2) | instid1(VALU_DEP_2)
	v_cmp_gt_i32_e32 vcc_lo, 32, v12
	v_lshrrev_b32_e32 v8, 24, v8
	v_min_i32_e32 v14, 31, v12
	v_dual_cndmask_b32 v13, 3, v13 :: v_dual_and_b32 v8, 0x80, v8
	s_delay_alu instid0(VALU_DEP_1) | instskip(SKIP_1) | instid1(VALU_DEP_2)
	v_or_b32_e32 v12, v12, v13
	v_and_b32_e32 v15, 3, v13
	v_cmp_ne_u32_e32 vcc_lo, 0, v12
	v_lshlrev_b32_e32 v14, 2, v14
	s_delay_alu instid0(VALU_DEP_1) | instskip(NEXT) | instid1(VALU_DEP_1)
	v_or3_b32 v8, v14, v8, v15
	v_cndmask_b32_e32 v43, 0, v8, vcc_lo
.LBB6_3321:                             ;   in Loop: Header=BB6_3265 Depth=4
	s_or_b32 exec_lo, exec_lo, s36
.LBB6_3322:                             ;   in Loop: Header=BB6_3265 Depth=4
	s_delay_alu instid0(SALU_CYCLE_1) | instskip(SKIP_3) | instid1(VALU_DEP_1)
	s_or_b32 exec_lo, exec_lo, s35
	v_and_b32_e32 v12, 0xff, v9
	s_mov_b32 s13, 0
	s_mov_b32 s36, exec_lo
                                        ; implicit-def: $sgpr35
	v_cmpx_lt_i16_e32 0x7f, v12
	s_xor_b32 s36, exec_lo, s36
	s_cbranch_execnz .LBB6_5080
; %bb.3323:                             ;   in Loop: Header=BB6_3265 Depth=4
	s_or_saveexec_b32 s36, s36
	v_mov_b32_e32 v8, s35
	s_xor_b32 exec_lo, exec_lo, s36
	s_cbranch_execnz .LBB6_5083
.LBB6_3324:                             ;   in Loop: Header=BB6_3265 Depth=4
	s_or_b32 exec_lo, exec_lo, s36
	s_and_saveexec_b32 s35, s13
	s_cbranch_execz .LBB6_3326
.LBB6_3325:                             ;   in Loop: Header=BB6_3265 Depth=4
	v_and_b32_e32 v8, 3, v9
	v_bfe_u32 v14, v9, 2, 5
	v_lshlrev_b32_e32 v15, 24, v9
	s_delay_alu instid0(VALU_DEP_3) | instskip(NEXT) | instid1(VALU_DEP_3)
	v_clz_i32_u32_e32 v12, v8
	v_cmp_eq_u32_e32 vcc_lo, 0, v14
	s_delay_alu instid0(VALU_DEP_2) | instskip(NEXT) | instid1(VALU_DEP_1)
	v_min_u32_e32 v12, 32, v12
	v_subrev_nc_u32_e32 v13, 29, v12
	v_sub_nc_u32_e32 v12, 30, v12
	s_delay_alu instid0(VALU_DEP_1) | instskip(NEXT) | instid1(VALU_DEP_1)
	v_dual_cndmask_b32 v12, v14, v12 :: v_dual_lshlrev_b32 v13, v13, v9
	v_and_b32_e32 v13, 3, v13
	s_delay_alu instid0(VALU_DEP_2) | instskip(NEXT) | instid1(VALU_DEP_2)
	v_lshl_add_u32 v12, v12, 23, 0x37800000
	v_dual_cndmask_b32 v8, v8, v13 :: v_dual_and_b32 v13, 0x80000000, v15
	s_delay_alu instid0(VALU_DEP_1) | instskip(NEXT) | instid1(VALU_DEP_1)
	v_lshlrev_b32_e32 v8, 21, v8
	v_or3_b32 v8, v13, v12, v8
.LBB6_3326:                             ;   in Loop: Header=BB6_3265 Depth=4
	s_or_b32 exec_lo, exec_lo, s35
	s_delay_alu instid0(VALU_DEP_1) | instskip(SKIP_1) | instid1(VALU_DEP_1)
	v_dual_mul_f32 v8, s34, v8 :: v_dual_mov_b32 v183, 0x80
	s_mov_b32 s35, exec_lo
	v_and_b32_e32 v12, 0x7f800000, v8
	s_delay_alu instid0(VALU_DEP_1)
	v_cmpx_ne_u32_e32 0x7f800000, v12
	s_cbranch_execz .LBB6_3334
; %bb.3327:                             ;   in Loop: Header=BB6_3265 Depth=4
	v_mov_b32_e32 v183, 0
	s_mov_b32 s36, exec_lo
	v_cmpx_ne_u32_e32 0, v8
	s_cbranch_execz .LBB6_3333
; %bb.3328:                             ;   in Loop: Header=BB6_3265 Depth=4
	v_bfe_u32 v12, v8, 23, 8
	s_delay_alu instid0(VALU_DEP_1) | instskip(SKIP_1) | instid1(VALU_DEP_2)
	v_sub_nc_u32_e32 v14, 0x70, v12
	v_cmp_gt_u32_e32 vcc_lo, 0x71, v12
	v_dual_cndmask_b32 v14, 0, v14 :: v_dual_and_b32 v13, 0x7fffff, v8
	s_delay_alu instid0(VALU_DEP_1) | instskip(SKIP_2) | instid1(VALU_DEP_4)
	v_or_b32_e32 v15, 0x800000, v13
	v_cmp_eq_u32_e32 vcc_lo, 0, v12
	v_add_nc_u32_e32 v12, 0xffffff91, v12
	v_cndmask_b32_e64 v14, v14, 0x6f, vcc_lo
	s_delay_alu instid0(VALU_DEP_4) | instskip(NEXT) | instid1(VALU_DEP_3)
	v_cndmask_b32_e32 v13, v15, v13, vcc_lo
	v_cndmask_b32_e64 v12, v12, 0xffffff92, vcc_lo
	s_delay_alu instid0(VALU_DEP_3) | instskip(NEXT) | instid1(VALU_DEP_3)
	v_lshl_add_u32 v15, 0x200000, v14, -1
	v_lshrrev_b32_e32 v16, v14, v13
	v_lshlrev_b32_e64 v18, v14, 0x100000
	s_delay_alu instid0(VALU_DEP_4) | instskip(NEXT) | instid1(VALU_DEP_4)
	v_add_nc_u32_e32 v14, v14, v12
	v_and_b32_e32 v13, v15, v13
	s_delay_alu instid0(VALU_DEP_4) | instskip(NEXT) | instid1(VALU_DEP_2)
	v_bfe_u32 v17, v16, 21, 1
	v_cmp_eq_u32_e64 s13, v13, v18
	s_delay_alu instid0(VALU_DEP_2) | instskip(NEXT) | instid1(VALU_DEP_1)
	v_add_nc_u32_e32 v15, -1, v17
	v_cndmask_b32_e64 v13, 0, v15, s13
	v_lshrrev_b32_e32 v15, 23, v16
	s_mov_b32 s13, exec_lo
	s_delay_alu instid0(VALU_DEP_2) | instskip(NEXT) | instid1(VALU_DEP_2)
	v_add_nc_u32_e32 v13, v13, v16
	v_xor_b32_e32 v15, 1, v15
	s_delay_alu instid0(VALU_DEP_2) | instskip(NEXT) | instid1(VALU_DEP_1)
	v_and_b32_e32 v12, 0x1fffff, v13
	v_add_nc_u32_e32 v13, v12, v16
                                        ; implicit-def: $vgpr12
	s_delay_alu instid0(VALU_DEP_3)
	v_cmpx_ne_u32_e64 v14, v15
	s_xor_b32 s13, exec_lo, s13
; %bb.3329:                             ;   in Loop: Header=BB6_3265 Depth=4
	s_delay_alu instid0(VALU_DEP_2) | instskip(SKIP_2) | instid1(VALU_DEP_2)
	v_cmp_lt_u32_e32 vcc_lo, 0xffffff, v13
	v_sub_nc_u32_e32 v12, v14, v15
	v_cndmask_b32_e64 v14, 0, 1, vcc_lo
	v_add_co_ci_u32_e32 v12, vcc_lo, 0, v12, vcc_lo
	s_delay_alu instid0(VALU_DEP_2)
	v_lshrrev_b32_e32 v13, v14, v13
; %bb.3330:                             ;   in Loop: Header=BB6_3265 Depth=4
	s_and_not1_saveexec_b32 s13, s13
; %bb.3331:                             ;   in Loop: Header=BB6_3265 Depth=4
	s_delay_alu instid0(VALU_DEP_1)
	v_bfe_u32 v12, v13, 23, 1
; %bb.3332:                             ;   in Loop: Header=BB6_3265 Depth=4
	s_or_b32 exec_lo, exec_lo, s13
	v_lshrrev_b32_e32 v13, 21, v13
	s_delay_alu instid0(VALU_DEP_2) | instskip(SKIP_2) | instid1(VALU_DEP_2)
	v_cmp_gt_i32_e32 vcc_lo, 32, v12
	v_min_i32_e32 v14, 31, v12
	v_lshrrev_b32_e32 v8, 24, v8
	v_dual_cndmask_b32 v13, 3, v13 :: v_dual_lshlrev_b32 v14, 2, v14
	s_delay_alu instid0(VALU_DEP_2) | instskip(NEXT) | instid1(VALU_DEP_2)
	v_and_b32_e32 v8, 0x80, v8
	v_or_b32_e32 v12, v12, v13
	v_and_b32_e32 v15, 3, v13
	s_delay_alu instid0(VALU_DEP_2) | instskip(SKIP_1) | instid1(VALU_DEP_1)
	v_cmp_ne_u32_e32 vcc_lo, 0, v12
	v_and_b32_e32 v14, 0xfc, v14
	v_or3_b32 v8, v14, v8, v15
	s_delay_alu instid0(VALU_DEP_1)
	v_cndmask_b32_e32 v183, 0, v8, vcc_lo
.LBB6_3333:                             ;   in Loop: Header=BB6_3265 Depth=4
	s_or_b32 exec_lo, exec_lo, s36
.LBB6_3334:                             ;   in Loop: Header=BB6_3265 Depth=4
	s_delay_alu instid0(SALU_CYCLE_1) | instskip(SKIP_3) | instid1(VALU_DEP_1)
	s_or_b32 exec_lo, exec_lo, s35
	v_lshrrev_b16 v8, 8, v9
	s_mov_b32 s13, 0
	s_mov_b32 s36, exec_lo
                                        ; implicit-def: $sgpr35
	v_cmpx_lt_i16_e32 0x7f, v8
	s_xor_b32 s36, exec_lo, s36
	s_cbranch_execnz .LBB6_5084
; %bb.3335:                             ;   in Loop: Header=BB6_3265 Depth=4
	s_or_saveexec_b32 s36, s36
	v_mov_b32_e32 v12, s35
	s_xor_b32 exec_lo, exec_lo, s36
	s_cbranch_execnz .LBB6_5087
.LBB6_3336:                             ;   in Loop: Header=BB6_3265 Depth=4
	s_or_b32 exec_lo, exec_lo, s36
	s_and_saveexec_b32 s35, s13
	s_cbranch_execz .LBB6_3338
.LBB6_3337:                             ;   in Loop: Header=BB6_3265 Depth=4
	v_and_b32_e32 v12, 0xffff, v8
	v_lshlrev_b32_e32 v8, 24, v8
	s_delay_alu instid0(VALU_DEP_2) | instskip(NEXT) | instid1(VALU_DEP_2)
	v_and_b32_e32 v13, 3, v12
	v_and_b32_e32 v8, 0x80000000, v8
	s_delay_alu instid0(VALU_DEP_2) | instskip(NEXT) | instid1(VALU_DEP_1)
	v_clz_i32_u32_e32 v14, v13
	v_min_u32_e32 v14, 32, v14
	s_delay_alu instid0(VALU_DEP_1) | instskip(SKIP_1) | instid1(VALU_DEP_2)
	v_subrev_nc_u32_e32 v15, 29, v14
	v_sub_nc_u32_e32 v14, 30, v14
	v_lshlrev_b32_e32 v15, v15, v12
	v_bfe_u32 v12, v12, 2, 5
	s_delay_alu instid0(VALU_DEP_2) | instskip(NEXT) | instid1(VALU_DEP_2)
	v_and_b32_e32 v15, 3, v15
	v_cmp_eq_u32_e32 vcc_lo, 0, v12
	s_delay_alu instid0(VALU_DEP_2) | instskip(NEXT) | instid1(VALU_DEP_1)
	v_dual_cndmask_b32 v12, v12, v14 :: v_dual_cndmask_b32 v13, v13, v15
	v_lshl_add_u32 v12, v12, 23, 0x37800000
	s_delay_alu instid0(VALU_DEP_2) | instskip(NEXT) | instid1(VALU_DEP_1)
	v_lshlrev_b32_e32 v13, 21, v13
	v_or3_b32 v12, v8, v12, v13
.LBB6_3338:                             ;   in Loop: Header=BB6_3265 Depth=4
	s_or_b32 exec_lo, exec_lo, s35
	s_delay_alu instid0(VALU_DEP_1) | instskip(SKIP_2) | instid1(VALU_DEP_2)
	v_mul_f32_e32 v8, s34, v12
	v_mov_b32_e32 v126, 0x8000
	s_mov_b32 s35, exec_lo
	v_and_b32_e32 v12, 0x7f800000, v8
	s_delay_alu instid0(VALU_DEP_1)
	v_cmpx_ne_u32_e32 0x7f800000, v12
	s_cbranch_execz .LBB6_3346
; %bb.3339:                             ;   in Loop: Header=BB6_3265 Depth=4
	v_mov_b32_e32 v126, 0
	s_mov_b32 s36, exec_lo
	v_cmpx_ne_u32_e32 0, v8
	s_cbranch_execz .LBB6_3345
; %bb.3340:                             ;   in Loop: Header=BB6_3265 Depth=4
	v_bfe_u32 v12, v8, 23, 8
	s_delay_alu instid0(VALU_DEP_1) | instskip(SKIP_1) | instid1(VALU_DEP_2)
	v_sub_nc_u32_e32 v14, 0x70, v12
	v_cmp_gt_u32_e32 vcc_lo, 0x71, v12
	v_dual_cndmask_b32 v14, 0, v14 :: v_dual_and_b32 v13, 0x7fffff, v8
	s_delay_alu instid0(VALU_DEP_1) | instskip(SKIP_2) | instid1(VALU_DEP_4)
	v_or_b32_e32 v15, 0x800000, v13
	v_cmp_eq_u32_e32 vcc_lo, 0, v12
	v_add_nc_u32_e32 v12, 0xffffff91, v12
	v_cndmask_b32_e64 v14, v14, 0x6f, vcc_lo
	s_delay_alu instid0(VALU_DEP_4) | instskip(NEXT) | instid1(VALU_DEP_3)
	v_cndmask_b32_e32 v13, v15, v13, vcc_lo
	v_cndmask_b32_e64 v12, v12, 0xffffff92, vcc_lo
	s_delay_alu instid0(VALU_DEP_3) | instskip(NEXT) | instid1(VALU_DEP_3)
	v_lshl_add_u32 v15, 0x200000, v14, -1
	v_lshrrev_b32_e32 v16, v14, v13
	v_lshlrev_b32_e64 v18, v14, 0x100000
	s_delay_alu instid0(VALU_DEP_4) | instskip(NEXT) | instid1(VALU_DEP_4)
	v_add_nc_u32_e32 v14, v14, v12
	v_and_b32_e32 v13, v15, v13
	s_delay_alu instid0(VALU_DEP_4) | instskip(NEXT) | instid1(VALU_DEP_2)
	v_bfe_u32 v17, v16, 21, 1
	v_cmp_eq_u32_e64 s13, v13, v18
	s_delay_alu instid0(VALU_DEP_2) | instskip(NEXT) | instid1(VALU_DEP_1)
	v_add_nc_u32_e32 v15, -1, v17
	v_cndmask_b32_e64 v13, 0, v15, s13
	v_lshrrev_b32_e32 v15, 23, v16
	s_mov_b32 s13, exec_lo
	s_delay_alu instid0(VALU_DEP_2) | instskip(NEXT) | instid1(VALU_DEP_2)
	v_add_nc_u32_e32 v13, v13, v16
	v_xor_b32_e32 v15, 1, v15
	s_delay_alu instid0(VALU_DEP_2) | instskip(NEXT) | instid1(VALU_DEP_1)
	v_and_b32_e32 v12, 0x1fffff, v13
	v_add_nc_u32_e32 v13, v12, v16
                                        ; implicit-def: $vgpr12
	s_delay_alu instid0(VALU_DEP_3)
	v_cmpx_ne_u32_e64 v14, v15
	s_xor_b32 s13, exec_lo, s13
; %bb.3341:                             ;   in Loop: Header=BB6_3265 Depth=4
	s_delay_alu instid0(VALU_DEP_2) | instskip(SKIP_2) | instid1(VALU_DEP_2)
	v_cmp_lt_u32_e32 vcc_lo, 0xffffff, v13
	v_sub_nc_u32_e32 v12, v14, v15
	v_cndmask_b32_e64 v14, 0, 1, vcc_lo
	v_add_co_ci_u32_e32 v12, vcc_lo, 0, v12, vcc_lo
	s_delay_alu instid0(VALU_DEP_2)
	v_lshrrev_b32_e32 v13, v14, v13
; %bb.3342:                             ;   in Loop: Header=BB6_3265 Depth=4
	s_and_not1_saveexec_b32 s13, s13
; %bb.3343:                             ;   in Loop: Header=BB6_3265 Depth=4
	s_delay_alu instid0(VALU_DEP_1)
	v_bfe_u32 v12, v13, 23, 1
; %bb.3344:                             ;   in Loop: Header=BB6_3265 Depth=4
	s_or_b32 exec_lo, exec_lo, s13
	v_lshrrev_b32_e32 v13, 21, v13
	s_delay_alu instid0(VALU_DEP_2) | instskip(SKIP_2) | instid1(VALU_DEP_2)
	v_cmp_gt_i32_e32 vcc_lo, 32, v12
	v_min_i32_e32 v14, 31, v12
	v_lshrrev_b32_e32 v8, 24, v8
	v_dual_cndmask_b32 v13, 3, v13 :: v_dual_lshlrev_b32 v14, 2, v14
	s_delay_alu instid0(VALU_DEP_2) | instskip(NEXT) | instid1(VALU_DEP_2)
	v_and_b32_e32 v8, 0x80, v8
	v_or_b32_e32 v12, v12, v13
	s_delay_alu instid0(VALU_DEP_3) | instskip(NEXT) | instid1(VALU_DEP_2)
	v_and_b32_e32 v14, 0xfc, v14
	v_cmp_ne_u32_e32 vcc_lo, 0, v12
	v_and_b32_e32 v15, 3, v13
	s_delay_alu instid0(VALU_DEP_1) | instskip(NEXT) | instid1(VALU_DEP_1)
	v_or3_b32 v8, v8, v14, v15
	v_lshlrev_b32_e32 v8, 8, v8
	s_delay_alu instid0(VALU_DEP_1)
	v_cndmask_b32_e32 v126, 0, v8, vcc_lo
.LBB6_3345:                             ;   in Loop: Header=BB6_3265 Depth=4
	s_or_b32 exec_lo, exec_lo, s36
.LBB6_3346:                             ;   in Loop: Header=BB6_3265 Depth=4
	s_delay_alu instid0(SALU_CYCLE_1) | instskip(SKIP_3) | instid1(VALU_DEP_1)
	s_or_b32 exec_lo, exec_lo, s35
	v_lshrrev_b32_e32 v8, 16, v9
	s_mov_b32 s13, 0
	s_mov_b32 s36, exec_lo
                                        ; implicit-def: $sgpr35
	v_and_b32_e32 v13, 0xff, v8
	s_delay_alu instid0(VALU_DEP_1)
	v_cmpx_lt_i16_e32 0x7f, v13
	s_xor_b32 s36, exec_lo, s36
	s_cbranch_execnz .LBB6_5088
; %bb.3347:                             ;   in Loop: Header=BB6_3265 Depth=4
	s_or_saveexec_b32 s36, s36
	v_mov_b32_e32 v12, s35
	s_xor_b32 exec_lo, exec_lo, s36
	s_cbranch_execnz .LBB6_5091
.LBB6_3348:                             ;   in Loop: Header=BB6_3265 Depth=4
	s_or_b32 exec_lo, exec_lo, s36
	s_and_saveexec_b32 s35, s13
	s_cbranch_execz .LBB6_3350
.LBB6_3349:                             ;   in Loop: Header=BB6_3265 Depth=4
	v_bfe_u32 v12, v9, 16, 2
	s_delay_alu instid0(VALU_DEP_1) | instskip(NEXT) | instid1(VALU_DEP_1)
	v_clz_i32_u32_e32 v13, v12
	v_min_u32_e32 v13, 32, v13
	s_delay_alu instid0(VALU_DEP_1) | instskip(SKIP_1) | instid1(VALU_DEP_2)
	v_subrev_nc_u32_e32 v14, 29, v13
	v_sub_nc_u32_e32 v13, 30, v13
	v_lshlrev_b32_e32 v8, v14, v8
	v_bfe_u32 v14, v9, 18, 5
	s_delay_alu instid0(VALU_DEP_1) | instskip(NEXT) | instid1(VALU_DEP_3)
	v_cmp_eq_u32_e32 vcc_lo, 0, v14
	v_dual_cndmask_b32 v13, v14, v13 :: v_dual_and_b32 v8, 3, v8
	s_delay_alu instid0(VALU_DEP_1) | instskip(NEXT) | instid1(VALU_DEP_2)
	v_dual_cndmask_b32 v8, v12, v8 :: v_dual_lshlrev_b32 v15, 8, v9
	v_lshl_add_u32 v13, v13, 23, 0x37800000
	s_delay_alu instid0(VALU_DEP_2) | instskip(NEXT) | instid1(VALU_DEP_3)
	v_and_b32_e32 v12, 0x80000000, v15
	v_lshlrev_b32_e32 v8, 21, v8
	s_delay_alu instid0(VALU_DEP_1)
	v_or3_b32 v12, v12, v13, v8
.LBB6_3350:                             ;   in Loop: Header=BB6_3265 Depth=4
	s_or_b32 exec_lo, exec_lo, s35
	s_delay_alu instid0(VALU_DEP_1) | instskip(SKIP_2) | instid1(VALU_DEP_2)
	v_mul_f32_e32 v8, s34, v12
	v_mov_b32_e32 v56, 0x80
	s_mov_b32 s35, exec_lo
	v_and_b32_e32 v12, 0x7f800000, v8
	s_delay_alu instid0(VALU_DEP_1)
	v_cmpx_ne_u32_e32 0x7f800000, v12
	s_cbranch_execz .LBB6_3358
; %bb.3351:                             ;   in Loop: Header=BB6_3265 Depth=4
	v_mov_b32_e32 v56, 0
	s_mov_b32 s36, exec_lo
	v_cmpx_ne_u32_e32 0, v8
	s_cbranch_execz .LBB6_3357
; %bb.3352:                             ;   in Loop: Header=BB6_3265 Depth=4
	v_bfe_u32 v12, v8, 23, 8
	s_delay_alu instid0(VALU_DEP_1) | instskip(SKIP_1) | instid1(VALU_DEP_2)
	v_sub_nc_u32_e32 v14, 0x70, v12
	v_cmp_gt_u32_e32 vcc_lo, 0x71, v12
	v_dual_cndmask_b32 v14, 0, v14 :: v_dual_and_b32 v13, 0x7fffff, v8
	s_delay_alu instid0(VALU_DEP_1) | instskip(SKIP_2) | instid1(VALU_DEP_4)
	v_or_b32_e32 v15, 0x800000, v13
	v_cmp_eq_u32_e32 vcc_lo, 0, v12
	v_add_nc_u32_e32 v12, 0xffffff91, v12
	v_cndmask_b32_e64 v14, v14, 0x6f, vcc_lo
	s_delay_alu instid0(VALU_DEP_4) | instskip(NEXT) | instid1(VALU_DEP_3)
	v_cndmask_b32_e32 v13, v15, v13, vcc_lo
	v_cndmask_b32_e64 v12, v12, 0xffffff92, vcc_lo
	s_delay_alu instid0(VALU_DEP_3) | instskip(NEXT) | instid1(VALU_DEP_3)
	v_lshl_add_u32 v15, 0x200000, v14, -1
	v_lshrrev_b32_e32 v16, v14, v13
	v_lshlrev_b32_e64 v18, v14, 0x100000
	s_delay_alu instid0(VALU_DEP_4) | instskip(NEXT) | instid1(VALU_DEP_4)
	v_add_nc_u32_e32 v14, v14, v12
	v_and_b32_e32 v13, v15, v13
	s_delay_alu instid0(VALU_DEP_4) | instskip(NEXT) | instid1(VALU_DEP_2)
	v_bfe_u32 v17, v16, 21, 1
	v_cmp_eq_u32_e64 s13, v13, v18
	s_delay_alu instid0(VALU_DEP_2) | instskip(NEXT) | instid1(VALU_DEP_1)
	v_add_nc_u32_e32 v15, -1, v17
	v_cndmask_b32_e64 v13, 0, v15, s13
	v_lshrrev_b32_e32 v15, 23, v16
	s_mov_b32 s13, exec_lo
	s_delay_alu instid0(VALU_DEP_2) | instskip(NEXT) | instid1(VALU_DEP_2)
	v_add_nc_u32_e32 v13, v13, v16
	v_xor_b32_e32 v15, 1, v15
	s_delay_alu instid0(VALU_DEP_2) | instskip(NEXT) | instid1(VALU_DEP_1)
	v_and_b32_e32 v12, 0x1fffff, v13
	v_add_nc_u32_e32 v13, v12, v16
                                        ; implicit-def: $vgpr12
	s_delay_alu instid0(VALU_DEP_3)
	v_cmpx_ne_u32_e64 v14, v15
	s_xor_b32 s13, exec_lo, s13
; %bb.3353:                             ;   in Loop: Header=BB6_3265 Depth=4
	s_delay_alu instid0(VALU_DEP_2) | instskip(SKIP_2) | instid1(VALU_DEP_2)
	v_cmp_lt_u32_e32 vcc_lo, 0xffffff, v13
	v_sub_nc_u32_e32 v12, v14, v15
	v_cndmask_b32_e64 v14, 0, 1, vcc_lo
	v_add_co_ci_u32_e32 v12, vcc_lo, 0, v12, vcc_lo
	s_delay_alu instid0(VALU_DEP_2)
	v_lshrrev_b32_e32 v13, v14, v13
; %bb.3354:                             ;   in Loop: Header=BB6_3265 Depth=4
	s_and_not1_saveexec_b32 s13, s13
; %bb.3355:                             ;   in Loop: Header=BB6_3265 Depth=4
	s_delay_alu instid0(VALU_DEP_1)
	v_bfe_u32 v12, v13, 23, 1
; %bb.3356:                             ;   in Loop: Header=BB6_3265 Depth=4
	s_or_b32 exec_lo, exec_lo, s13
	v_lshrrev_b32_e32 v13, 21, v13
	s_delay_alu instid0(VALU_DEP_2) | instskip(SKIP_2) | instid1(VALU_DEP_2)
	v_cmp_gt_i32_e32 vcc_lo, 32, v12
	v_min_i32_e32 v14, 31, v12
	v_lshrrev_b32_e32 v8, 24, v8
	v_dual_cndmask_b32 v13, 3, v13 :: v_dual_lshlrev_b32 v14, 2, v14
	s_delay_alu instid0(VALU_DEP_2) | instskip(NEXT) | instid1(VALU_DEP_2)
	v_and_b32_e32 v8, 0x80, v8
	v_or_b32_e32 v12, v12, v13
	s_delay_alu instid0(VALU_DEP_3) | instskip(NEXT) | instid1(VALU_DEP_2)
	v_and_b32_e32 v14, 0xfc, v14
	v_cmp_ne_u32_e32 vcc_lo, 0, v12
	v_and_b32_e32 v15, 3, v13
	s_delay_alu instid0(VALU_DEP_1) | instskip(NEXT) | instid1(VALU_DEP_1)
	v_or3_b32 v8, v14, v8, v15
	v_cndmask_b32_e32 v56, 0, v8, vcc_lo
.LBB6_3357:                             ;   in Loop: Header=BB6_3265 Depth=4
	s_or_b32 exec_lo, exec_lo, s36
.LBB6_3358:                             ;   in Loop: Header=BB6_3265 Depth=4
	s_delay_alu instid0(SALU_CYCLE_1) | instskip(SKIP_3) | instid1(VALU_DEP_1)
	s_or_b32 exec_lo, exec_lo, s35
	v_lshrrev_b32_e32 v8, 24, v9
	s_mov_b32 s13, 0
	s_mov_b32 s36, exec_lo
                                        ; implicit-def: $sgpr35
	v_cmpx_lt_i16_e32 0x7f, v8
	s_xor_b32 s36, exec_lo, s36
	s_cbranch_execnz .LBB6_5092
; %bb.3359:                             ;   in Loop: Header=BB6_3265 Depth=4
	s_or_saveexec_b32 s36, s36
	v_mov_b32_e32 v12, s35
	s_xor_b32 exec_lo, exec_lo, s36
	s_cbranch_execnz .LBB6_5095
.LBB6_3360:                             ;   in Loop: Header=BB6_3265 Depth=4
	s_or_b32 exec_lo, exec_lo, s36
	s_and_saveexec_b32 s35, s13
	s_cbranch_execz .LBB6_3362
.LBB6_3361:                             ;   in Loop: Header=BB6_3265 Depth=4
	v_bfe_u32 v12, v9, 24, 2
	s_delay_alu instid0(VALU_DEP_1) | instskip(NEXT) | instid1(VALU_DEP_1)
	v_clz_i32_u32_e32 v13, v12
	v_min_u32_e32 v13, 32, v13
	s_delay_alu instid0(VALU_DEP_1) | instskip(SKIP_1) | instid1(VALU_DEP_2)
	v_subrev_nc_u32_e32 v14, 29, v13
	v_sub_nc_u32_e32 v13, 30, v13
	v_lshlrev_b32_e32 v8, v14, v8
	v_bfe_u32 v14, v9, 26, 5
	v_and_b32_e32 v9, 0x80000000, v9
	s_delay_alu instid0(VALU_DEP_2) | instskip(NEXT) | instid1(VALU_DEP_4)
	v_cmp_eq_u32_e32 vcc_lo, 0, v14
	v_dual_cndmask_b32 v13, v14, v13 :: v_dual_and_b32 v8, 3, v8
	s_delay_alu instid0(VALU_DEP_1) | instskip(NEXT) | instid1(VALU_DEP_2)
	v_cndmask_b32_e32 v8, v12, v8, vcc_lo
	v_lshl_add_u32 v12, v13, 23, 0x37800000
	s_delay_alu instid0(VALU_DEP_2) | instskip(NEXT) | instid1(VALU_DEP_1)
	v_lshlrev_b32_e32 v8, 21, v8
	v_or3_b32 v12, v9, v12, v8
.LBB6_3362:                             ;   in Loop: Header=BB6_3265 Depth=4
	s_or_b32 exec_lo, exec_lo, s35
	s_delay_alu instid0(VALU_DEP_1) | instskip(SKIP_1) | instid1(VALU_DEP_1)
	v_dual_mul_f32 v8, s34, v12 :: v_dual_mov_b32 v125, 0x8000
	s_mov_b32 s35, exec_lo
	v_and_b32_e32 v9, 0x7f800000, v8
	s_delay_alu instid0(VALU_DEP_1)
	v_cmpx_ne_u32_e32 0x7f800000, v9
	s_cbranch_execz .LBB6_3370
; %bb.3363:                             ;   in Loop: Header=BB6_3265 Depth=4
	v_mov_b32_e32 v125, 0
	s_mov_b32 s36, exec_lo
	v_cmpx_ne_u32_e32 0, v8
	s_cbranch_execz .LBB6_3369
; %bb.3364:                             ;   in Loop: Header=BB6_3265 Depth=4
	v_bfe_u32 v9, v8, 23, 8
	s_delay_alu instid0(VALU_DEP_1) | instskip(SKIP_1) | instid1(VALU_DEP_2)
	v_sub_nc_u32_e32 v13, 0x70, v9
	v_cmp_gt_u32_e32 vcc_lo, 0x71, v9
	v_dual_cndmask_b32 v13, 0, v13 :: v_dual_and_b32 v12, 0x7fffff, v8
	s_delay_alu instid0(VALU_DEP_1) | instskip(SKIP_2) | instid1(VALU_DEP_4)
	v_or_b32_e32 v14, 0x800000, v12
	v_cmp_eq_u32_e32 vcc_lo, 0, v9
	v_add_nc_u32_e32 v9, 0xffffff91, v9
	v_cndmask_b32_e64 v13, v13, 0x6f, vcc_lo
	s_delay_alu instid0(VALU_DEP_4) | instskip(NEXT) | instid1(VALU_DEP_3)
	v_cndmask_b32_e32 v12, v14, v12, vcc_lo
	v_cndmask_b32_e64 v9, v9, 0xffffff92, vcc_lo
	s_delay_alu instid0(VALU_DEP_3) | instskip(NEXT) | instid1(VALU_DEP_3)
	v_lshl_add_u32 v14, 0x200000, v13, -1
	v_lshrrev_b32_e32 v15, v13, v12
	v_lshlrev_b32_e64 v17, v13, 0x100000
	s_delay_alu instid0(VALU_DEP_4) | instskip(NEXT) | instid1(VALU_DEP_4)
	v_add_nc_u32_e32 v13, v13, v9
	v_and_b32_e32 v12, v14, v12
	s_delay_alu instid0(VALU_DEP_4) | instskip(NEXT) | instid1(VALU_DEP_2)
	v_bfe_u32 v16, v15, 21, 1
	v_cmp_eq_u32_e64 s13, v12, v17
	s_delay_alu instid0(VALU_DEP_2) | instskip(NEXT) | instid1(VALU_DEP_1)
	v_add_nc_u32_e32 v14, -1, v16
	v_cndmask_b32_e64 v12, 0, v14, s13
	v_lshrrev_b32_e32 v14, 23, v15
	s_mov_b32 s13, exec_lo
	s_delay_alu instid0(VALU_DEP_2) | instskip(NEXT) | instid1(VALU_DEP_2)
	v_add_nc_u32_e32 v12, v12, v15
	v_xor_b32_e32 v14, 1, v14
	s_delay_alu instid0(VALU_DEP_2) | instskip(NEXT) | instid1(VALU_DEP_1)
	v_and_b32_e32 v9, 0x1fffff, v12
	v_add_nc_u32_e32 v12, v9, v15
                                        ; implicit-def: $vgpr9
	s_delay_alu instid0(VALU_DEP_3)
	v_cmpx_ne_u32_e64 v13, v14
	s_xor_b32 s13, exec_lo, s13
; %bb.3365:                             ;   in Loop: Header=BB6_3265 Depth=4
	s_delay_alu instid0(VALU_DEP_2) | instskip(SKIP_2) | instid1(VALU_DEP_2)
	v_cmp_lt_u32_e32 vcc_lo, 0xffffff, v12
	v_sub_nc_u32_e32 v9, v13, v14
	v_cndmask_b32_e64 v13, 0, 1, vcc_lo
	v_add_co_ci_u32_e32 v9, vcc_lo, 0, v9, vcc_lo
	s_delay_alu instid0(VALU_DEP_2)
	v_lshrrev_b32_e32 v12, v13, v12
; %bb.3366:                             ;   in Loop: Header=BB6_3265 Depth=4
	s_and_not1_saveexec_b32 s13, s13
; %bb.3367:                             ;   in Loop: Header=BB6_3265 Depth=4
	s_delay_alu instid0(VALU_DEP_1)
	v_bfe_u32 v9, v12, 23, 1
; %bb.3368:                             ;   in Loop: Header=BB6_3265 Depth=4
	s_or_b32 exec_lo, exec_lo, s13
	v_lshrrev_b32_e32 v12, 21, v12
	s_delay_alu instid0(VALU_DEP_2) | instskip(SKIP_2) | instid1(VALU_DEP_3)
	v_min_i32_e32 v13, 31, v9
	v_cmp_gt_i32_e32 vcc_lo, 32, v9
	v_lshrrev_b32_e32 v8, 24, v8
	v_dual_cndmask_b32 v12, 3, v12 :: v_dual_lshlrev_b32 v13, 2, v13
	s_delay_alu instid0(VALU_DEP_2) | instskip(NEXT) | instid1(VALU_DEP_2)
	v_and_b32_e32 v8, 0x80, v8
	v_and_b32_e32 v13, 0xfc, v13
	s_delay_alu instid0(VALU_DEP_3) | instskip(SKIP_1) | instid1(VALU_DEP_2)
	v_and_b32_e32 v14, 3, v12
	v_or_b32_e32 v9, v9, v12
	v_or3_b32 v8, v8, v13, v14
	s_delay_alu instid0(VALU_DEP_2) | instskip(NEXT) | instid1(VALU_DEP_2)
	v_cmp_ne_u32_e32 vcc_lo, 0, v9
	v_lshlrev_b32_e32 v8, 8, v8
	s_delay_alu instid0(VALU_DEP_1)
	v_cndmask_b32_e32 v125, 0, v8, vcc_lo
.LBB6_3369:                             ;   in Loop: Header=BB6_3265 Depth=4
	s_or_b32 exec_lo, exec_lo, s36
.LBB6_3370:                             ;   in Loop: Header=BB6_3265 Depth=4
	s_delay_alu instid0(SALU_CYCLE_1) | instskip(SKIP_3) | instid1(VALU_DEP_1)
	s_or_b32 exec_lo, exec_lo, s35
	v_and_b32_e32 v9, 0xff, v10
	s_mov_b32 s13, 0
	s_mov_b32 s36, exec_lo
                                        ; implicit-def: $sgpr35
	v_cmpx_lt_i16_e32 0x7f, v9
	s_xor_b32 s36, exec_lo, s36
	s_cbranch_execnz .LBB6_5096
; %bb.3371:                             ;   in Loop: Header=BB6_3265 Depth=4
	s_or_saveexec_b32 s36, s36
	v_mov_b32_e32 v8, s35
	s_xor_b32 exec_lo, exec_lo, s36
	s_cbranch_execnz .LBB6_5099
.LBB6_3372:                             ;   in Loop: Header=BB6_3265 Depth=4
	s_or_b32 exec_lo, exec_lo, s36
	s_and_saveexec_b32 s35, s13
	s_cbranch_execz .LBB6_3374
.LBB6_3373:                             ;   in Loop: Header=BB6_3265 Depth=4
	v_bfe_u32 v13, v10, 2, 5
	v_lshlrev_b32_e32 v14, 24, v10
	s_delay_alu instid0(VALU_DEP_2) | instskip(SKIP_1) | instid1(VALU_DEP_1)
	v_cmp_eq_u32_e32 vcc_lo, 0, v13
	v_and_b32_e32 v8, 3, v10
	v_clz_i32_u32_e32 v9, v8
	s_delay_alu instid0(VALU_DEP_1) | instskip(NEXT) | instid1(VALU_DEP_1)
	v_min_u32_e32 v9, 32, v9
	v_subrev_nc_u32_e32 v12, 29, v9
	v_sub_nc_u32_e32 v9, 30, v9
	s_delay_alu instid0(VALU_DEP_1) | instskip(NEXT) | instid1(VALU_DEP_1)
	v_dual_cndmask_b32 v9, v13, v9 :: v_dual_lshlrev_b32 v12, v12, v10
	v_and_b32_e32 v12, 3, v12
	s_delay_alu instid0(VALU_DEP_2) | instskip(NEXT) | instid1(VALU_DEP_2)
	v_lshl_add_u32 v9, v9, 23, 0x37800000
	v_cndmask_b32_e32 v8, v8, v12, vcc_lo
	v_and_b32_e32 v12, 0x80000000, v14
	s_delay_alu instid0(VALU_DEP_2) | instskip(NEXT) | instid1(VALU_DEP_1)
	v_lshlrev_b32_e32 v8, 21, v8
	v_or3_b32 v8, v12, v9, v8
.LBB6_3374:                             ;   in Loop: Header=BB6_3265 Depth=4
	s_or_b32 exec_lo, exec_lo, s35
	s_delay_alu instid0(VALU_DEP_1) | instskip(SKIP_2) | instid1(VALU_DEP_2)
	v_mul_f32_e32 v8, s34, v8
	v_mov_b32_e32 v62, 0x80
	s_mov_b32 s35, exec_lo
	v_and_b32_e32 v9, 0x7f800000, v8
	s_delay_alu instid0(VALU_DEP_1)
	v_cmpx_ne_u32_e32 0x7f800000, v9
	s_cbranch_execz .LBB6_3382
; %bb.3375:                             ;   in Loop: Header=BB6_3265 Depth=4
	v_mov_b32_e32 v62, 0
	s_mov_b32 s36, exec_lo
	v_cmpx_ne_u32_e32 0, v8
	s_cbranch_execz .LBB6_3381
; %bb.3376:                             ;   in Loop: Header=BB6_3265 Depth=4
	v_bfe_u32 v9, v8, 23, 8
	s_delay_alu instid0(VALU_DEP_1) | instskip(SKIP_1) | instid1(VALU_DEP_2)
	v_sub_nc_u32_e32 v13, 0x70, v9
	v_cmp_gt_u32_e32 vcc_lo, 0x71, v9
	v_dual_cndmask_b32 v13, 0, v13 :: v_dual_and_b32 v12, 0x7fffff, v8
	s_delay_alu instid0(VALU_DEP_1) | instskip(SKIP_2) | instid1(VALU_DEP_4)
	v_or_b32_e32 v14, 0x800000, v12
	v_cmp_eq_u32_e32 vcc_lo, 0, v9
	v_add_nc_u32_e32 v9, 0xffffff91, v9
	v_cndmask_b32_e64 v13, v13, 0x6f, vcc_lo
	s_delay_alu instid0(VALU_DEP_4) | instskip(NEXT) | instid1(VALU_DEP_3)
	v_cndmask_b32_e32 v12, v14, v12, vcc_lo
	v_cndmask_b32_e64 v9, v9, 0xffffff92, vcc_lo
	s_delay_alu instid0(VALU_DEP_3) | instskip(NEXT) | instid1(VALU_DEP_3)
	v_lshl_add_u32 v14, 0x200000, v13, -1
	v_lshrrev_b32_e32 v15, v13, v12
	v_lshlrev_b32_e64 v17, v13, 0x100000
	s_delay_alu instid0(VALU_DEP_4) | instskip(NEXT) | instid1(VALU_DEP_4)
	v_add_nc_u32_e32 v13, v13, v9
	v_and_b32_e32 v12, v14, v12
	s_delay_alu instid0(VALU_DEP_4) | instskip(NEXT) | instid1(VALU_DEP_2)
	v_bfe_u32 v16, v15, 21, 1
	v_cmp_eq_u32_e64 s13, v12, v17
	s_delay_alu instid0(VALU_DEP_2) | instskip(NEXT) | instid1(VALU_DEP_1)
	v_add_nc_u32_e32 v14, -1, v16
	v_cndmask_b32_e64 v12, 0, v14, s13
	v_lshrrev_b32_e32 v14, 23, v15
	s_mov_b32 s13, exec_lo
	s_delay_alu instid0(VALU_DEP_2) | instskip(NEXT) | instid1(VALU_DEP_2)
	v_add_nc_u32_e32 v12, v12, v15
	v_xor_b32_e32 v14, 1, v14
	s_delay_alu instid0(VALU_DEP_2) | instskip(NEXT) | instid1(VALU_DEP_1)
	v_and_b32_e32 v9, 0x1fffff, v12
	v_add_nc_u32_e32 v12, v9, v15
                                        ; implicit-def: $vgpr9
	s_delay_alu instid0(VALU_DEP_3)
	v_cmpx_ne_u32_e64 v13, v14
	s_xor_b32 s13, exec_lo, s13
; %bb.3377:                             ;   in Loop: Header=BB6_3265 Depth=4
	s_delay_alu instid0(VALU_DEP_2) | instskip(SKIP_2) | instid1(VALU_DEP_2)
	v_cmp_lt_u32_e32 vcc_lo, 0xffffff, v12
	v_sub_nc_u32_e32 v9, v13, v14
	v_cndmask_b32_e64 v13, 0, 1, vcc_lo
	v_add_co_ci_u32_e32 v9, vcc_lo, 0, v9, vcc_lo
	s_delay_alu instid0(VALU_DEP_2)
	v_lshrrev_b32_e32 v12, v13, v12
; %bb.3378:                             ;   in Loop: Header=BB6_3265 Depth=4
	s_and_not1_saveexec_b32 s13, s13
; %bb.3379:                             ;   in Loop: Header=BB6_3265 Depth=4
	s_delay_alu instid0(VALU_DEP_1)
	v_bfe_u32 v9, v12, 23, 1
; %bb.3380:                             ;   in Loop: Header=BB6_3265 Depth=4
	s_or_b32 exec_lo, exec_lo, s13
	v_lshrrev_b32_e32 v12, 21, v12
	s_delay_alu instid0(VALU_DEP_2) | instskip(SKIP_2) | instid1(VALU_DEP_4)
	v_cmp_gt_i32_e32 vcc_lo, 32, v9
	v_lshrrev_b32_e32 v8, 24, v8
	v_min_i32_e32 v13, 31, v9
	v_cndmask_b32_e32 v12, 3, v12, vcc_lo
	s_delay_alu instid0(VALU_DEP_3) | instskip(NEXT) | instid1(VALU_DEP_3)
	v_and_b32_e32 v8, 0x80, v8
	v_lshlrev_b32_e32 v13, 2, v13
	s_delay_alu instid0(VALU_DEP_3) | instskip(SKIP_1) | instid1(VALU_DEP_2)
	v_and_b32_e32 v14, 3, v12
	v_or_b32_e32 v9, v9, v12
	v_or3_b32 v8, v13, v8, v14
	s_delay_alu instid0(VALU_DEP_2) | instskip(NEXT) | instid1(VALU_DEP_2)
	v_cmp_ne_u32_e32 vcc_lo, 0, v9
	v_cndmask_b32_e32 v62, 0, v8, vcc_lo
.LBB6_3381:                             ;   in Loop: Header=BB6_3265 Depth=4
	s_or_b32 exec_lo, exec_lo, s36
.LBB6_3382:                             ;   in Loop: Header=BB6_3265 Depth=4
	s_delay_alu instid0(SALU_CYCLE_1) | instskip(SKIP_3) | instid1(VALU_DEP_1)
	s_or_b32 exec_lo, exec_lo, s35
	v_lshrrev_b16 v8, 8, v10
	s_mov_b32 s13, 0
	s_mov_b32 s36, exec_lo
                                        ; implicit-def: $sgpr35
	v_cmpx_lt_i16_e32 0x7f, v8
	s_xor_b32 s36, exec_lo, s36
	s_cbranch_execnz .LBB6_5100
; %bb.3383:                             ;   in Loop: Header=BB6_3265 Depth=4
	s_or_saveexec_b32 s36, s36
	v_mov_b32_e32 v9, s35
	s_xor_b32 exec_lo, exec_lo, s36
	s_cbranch_execnz .LBB6_5103
.LBB6_3384:                             ;   in Loop: Header=BB6_3265 Depth=4
	s_or_b32 exec_lo, exec_lo, s36
	s_and_saveexec_b32 s35, s13
	s_cbranch_execz .LBB6_3386
.LBB6_3385:                             ;   in Loop: Header=BB6_3265 Depth=4
	v_and_b32_e32 v9, 0xffff, v8
	v_lshlrev_b32_e32 v8, 24, v8
	s_delay_alu instid0(VALU_DEP_2) | instskip(NEXT) | instid1(VALU_DEP_2)
	v_and_b32_e32 v12, 3, v9
	v_and_b32_e32 v8, 0x80000000, v8
	s_delay_alu instid0(VALU_DEP_2) | instskip(NEXT) | instid1(VALU_DEP_1)
	v_clz_i32_u32_e32 v13, v12
	v_min_u32_e32 v13, 32, v13
	s_delay_alu instid0(VALU_DEP_1) | instskip(SKIP_1) | instid1(VALU_DEP_2)
	v_subrev_nc_u32_e32 v14, 29, v13
	v_sub_nc_u32_e32 v13, 30, v13
	v_lshlrev_b32_e32 v14, v14, v9
	v_bfe_u32 v9, v9, 2, 5
	s_delay_alu instid0(VALU_DEP_1) | instskip(NEXT) | instid1(VALU_DEP_3)
	v_cmp_eq_u32_e32 vcc_lo, 0, v9
	v_dual_cndmask_b32 v9, v9, v13 :: v_dual_and_b32 v14, 3, v14
	s_delay_alu instid0(VALU_DEP_1) | instskip(NEXT) | instid1(VALU_DEP_2)
	v_cndmask_b32_e32 v12, v12, v14, vcc_lo
	v_lshl_add_u32 v9, v9, 23, 0x37800000
	s_delay_alu instid0(VALU_DEP_2) | instskip(NEXT) | instid1(VALU_DEP_1)
	v_lshlrev_b32_e32 v12, 21, v12
	v_or3_b32 v9, v8, v9, v12
.LBB6_3386:                             ;   in Loop: Header=BB6_3265 Depth=4
	s_or_b32 exec_lo, exec_lo, s35
	s_delay_alu instid0(VALU_DEP_1) | instskip(SKIP_1) | instid1(VALU_DEP_1)
	v_dual_mul_f32 v8, s34, v9 :: v_dual_mov_b32 v75, 0x80
	s_mov_b32 s35, exec_lo
	v_and_b32_e32 v9, 0x7f800000, v8
	s_delay_alu instid0(VALU_DEP_1)
	v_cmpx_ne_u32_e32 0x7f800000, v9
	s_cbranch_execz .LBB6_3394
; %bb.3387:                             ;   in Loop: Header=BB6_3265 Depth=4
	v_mov_b32_e32 v75, 0
	s_mov_b32 s36, exec_lo
	v_cmpx_ne_u32_e32 0, v8
	s_cbranch_execz .LBB6_3393
; %bb.3388:                             ;   in Loop: Header=BB6_3265 Depth=4
	v_bfe_u32 v9, v8, 23, 8
	s_delay_alu instid0(VALU_DEP_1) | instskip(SKIP_1) | instid1(VALU_DEP_2)
	v_sub_nc_u32_e32 v13, 0x70, v9
	v_cmp_gt_u32_e32 vcc_lo, 0x71, v9
	v_dual_cndmask_b32 v13, 0, v13 :: v_dual_and_b32 v12, 0x7fffff, v8
	s_delay_alu instid0(VALU_DEP_1) | instskip(SKIP_2) | instid1(VALU_DEP_4)
	v_or_b32_e32 v14, 0x800000, v12
	v_cmp_eq_u32_e32 vcc_lo, 0, v9
	v_add_nc_u32_e32 v9, 0xffffff91, v9
	v_cndmask_b32_e64 v13, v13, 0x6f, vcc_lo
	s_delay_alu instid0(VALU_DEP_4) | instskip(NEXT) | instid1(VALU_DEP_3)
	v_cndmask_b32_e32 v12, v14, v12, vcc_lo
	v_cndmask_b32_e64 v9, v9, 0xffffff92, vcc_lo
	s_delay_alu instid0(VALU_DEP_3) | instskip(NEXT) | instid1(VALU_DEP_3)
	v_lshl_add_u32 v14, 0x200000, v13, -1
	v_lshrrev_b32_e32 v15, v13, v12
	v_lshlrev_b32_e64 v17, v13, 0x100000
	s_delay_alu instid0(VALU_DEP_4) | instskip(NEXT) | instid1(VALU_DEP_4)
	v_add_nc_u32_e32 v13, v13, v9
	v_and_b32_e32 v12, v14, v12
	s_delay_alu instid0(VALU_DEP_4) | instskip(NEXT) | instid1(VALU_DEP_2)
	v_bfe_u32 v16, v15, 21, 1
	v_cmp_eq_u32_e64 s13, v12, v17
	s_delay_alu instid0(VALU_DEP_2) | instskip(NEXT) | instid1(VALU_DEP_1)
	v_add_nc_u32_e32 v14, -1, v16
	v_cndmask_b32_e64 v12, 0, v14, s13
	v_lshrrev_b32_e32 v14, 23, v15
	s_mov_b32 s13, exec_lo
	s_delay_alu instid0(VALU_DEP_2) | instskip(NEXT) | instid1(VALU_DEP_2)
	v_add_nc_u32_e32 v12, v12, v15
	v_xor_b32_e32 v14, 1, v14
	s_delay_alu instid0(VALU_DEP_2) | instskip(NEXT) | instid1(VALU_DEP_1)
	v_and_b32_e32 v9, 0x1fffff, v12
	v_add_nc_u32_e32 v12, v9, v15
                                        ; implicit-def: $vgpr9
	s_delay_alu instid0(VALU_DEP_3)
	v_cmpx_ne_u32_e64 v13, v14
	s_xor_b32 s13, exec_lo, s13
; %bb.3389:                             ;   in Loop: Header=BB6_3265 Depth=4
	s_delay_alu instid0(VALU_DEP_2) | instskip(SKIP_2) | instid1(VALU_DEP_2)
	v_cmp_lt_u32_e32 vcc_lo, 0xffffff, v12
	v_sub_nc_u32_e32 v9, v13, v14
	v_cndmask_b32_e64 v13, 0, 1, vcc_lo
	v_add_co_ci_u32_e32 v9, vcc_lo, 0, v9, vcc_lo
	s_delay_alu instid0(VALU_DEP_2)
	v_lshrrev_b32_e32 v12, v13, v12
; %bb.3390:                             ;   in Loop: Header=BB6_3265 Depth=4
	s_and_not1_saveexec_b32 s13, s13
; %bb.3391:                             ;   in Loop: Header=BB6_3265 Depth=4
	s_delay_alu instid0(VALU_DEP_1)
	v_bfe_u32 v9, v12, 23, 1
; %bb.3392:                             ;   in Loop: Header=BB6_3265 Depth=4
	s_or_b32 exec_lo, exec_lo, s13
	v_lshrrev_b32_e32 v12, 21, v12
	s_delay_alu instid0(VALU_DEP_2) | instskip(SKIP_2) | instid1(VALU_DEP_4)
	v_cmp_gt_i32_e32 vcc_lo, 32, v9
	v_lshrrev_b32_e32 v8, 24, v8
	v_min_i32_e32 v13, 31, v9
	v_cndmask_b32_e32 v12, 3, v12, vcc_lo
	s_delay_alu instid0(VALU_DEP_3) | instskip(NEXT) | instid1(VALU_DEP_3)
	v_and_b32_e32 v8, 0x80, v8
	v_lshlrev_b32_e32 v13, 2, v13
	s_delay_alu instid0(VALU_DEP_3) | instskip(SKIP_1) | instid1(VALU_DEP_2)
	v_and_b32_e32 v14, 3, v12
	v_or_b32_e32 v9, v9, v12
	v_or3_b32 v8, v13, v8, v14
	s_delay_alu instid0(VALU_DEP_2) | instskip(NEXT) | instid1(VALU_DEP_2)
	v_cmp_ne_u32_e32 vcc_lo, 0, v9
	v_cndmask_b32_e32 v75, 0, v8, vcc_lo
.LBB6_3393:                             ;   in Loop: Header=BB6_3265 Depth=4
	s_or_b32 exec_lo, exec_lo, s36
.LBB6_3394:                             ;   in Loop: Header=BB6_3265 Depth=4
	s_delay_alu instid0(SALU_CYCLE_1) | instskip(SKIP_3) | instid1(VALU_DEP_1)
	s_or_b32 exec_lo, exec_lo, s35
	v_lshrrev_b32_e32 v8, 16, v10
	s_mov_b32 s13, 0
	s_mov_b32 s36, exec_lo
                                        ; implicit-def: $sgpr35
	v_and_b32_e32 v12, 0xff, v8
	s_delay_alu instid0(VALU_DEP_1)
	v_cmpx_lt_i16_e32 0x7f, v12
	s_xor_b32 s36, exec_lo, s36
	s_cbranch_execnz .LBB6_5104
; %bb.3395:                             ;   in Loop: Header=BB6_3265 Depth=4
	s_or_saveexec_b32 s36, s36
	v_mov_b32_e32 v9, s35
	s_xor_b32 exec_lo, exec_lo, s36
	s_cbranch_execnz .LBB6_5107
.LBB6_3396:                             ;   in Loop: Header=BB6_3265 Depth=4
	s_or_b32 exec_lo, exec_lo, s36
	s_and_saveexec_b32 s35, s13
	s_cbranch_execz .LBB6_3398
.LBB6_3397:                             ;   in Loop: Header=BB6_3265 Depth=4
	v_bfe_u32 v9, v10, 16, 2
	v_lshlrev_b32_e32 v14, 8, v10
	s_delay_alu instid0(VALU_DEP_2) | instskip(NEXT) | instid1(VALU_DEP_1)
	v_clz_i32_u32_e32 v12, v9
	v_min_u32_e32 v12, 32, v12
	s_delay_alu instid0(VALU_DEP_1) | instskip(SKIP_1) | instid1(VALU_DEP_2)
	v_subrev_nc_u32_e32 v13, 29, v12
	v_sub_nc_u32_e32 v12, 30, v12
	v_lshlrev_b32_e32 v8, v13, v8
	v_bfe_u32 v13, v10, 18, 5
	s_delay_alu instid0(VALU_DEP_2) | instskip(NEXT) | instid1(VALU_DEP_2)
	v_and_b32_e32 v8, 3, v8
	v_cmp_eq_u32_e32 vcc_lo, 0, v13
	v_cndmask_b32_e32 v12, v13, v12, vcc_lo
	s_delay_alu instid0(VALU_DEP_3) | instskip(NEXT) | instid1(VALU_DEP_2)
	v_dual_cndmask_b32 v8, v9, v8 :: v_dual_and_b32 v9, 0x80000000, v14
	v_lshl_add_u32 v12, v12, 23, 0x37800000
	s_delay_alu instid0(VALU_DEP_2) | instskip(NEXT) | instid1(VALU_DEP_1)
	v_lshlrev_b32_e32 v8, 21, v8
	v_or3_b32 v9, v9, v12, v8
.LBB6_3398:                             ;   in Loop: Header=BB6_3265 Depth=4
	s_or_b32 exec_lo, exec_lo, s35
	s_delay_alu instid0(VALU_DEP_1) | instskip(SKIP_1) | instid1(VALU_DEP_1)
	v_dual_mul_f32 v8, s34, v9 :: v_dual_mov_b32 v79, 0x80
	s_mov_b32 s35, exec_lo
	v_and_b32_e32 v9, 0x7f800000, v8
	s_delay_alu instid0(VALU_DEP_1)
	v_cmpx_ne_u32_e32 0x7f800000, v9
	s_cbranch_execz .LBB6_3406
; %bb.3399:                             ;   in Loop: Header=BB6_3265 Depth=4
	v_mov_b32_e32 v79, 0
	s_mov_b32 s36, exec_lo
	v_cmpx_ne_u32_e32 0, v8
	s_cbranch_execz .LBB6_3405
; %bb.3400:                             ;   in Loop: Header=BB6_3265 Depth=4
	v_bfe_u32 v9, v8, 23, 8
	s_delay_alu instid0(VALU_DEP_1) | instskip(SKIP_1) | instid1(VALU_DEP_2)
	v_sub_nc_u32_e32 v13, 0x70, v9
	v_cmp_gt_u32_e32 vcc_lo, 0x71, v9
	v_dual_cndmask_b32 v13, 0, v13 :: v_dual_and_b32 v12, 0x7fffff, v8
	s_delay_alu instid0(VALU_DEP_1) | instskip(SKIP_2) | instid1(VALU_DEP_4)
	v_or_b32_e32 v14, 0x800000, v12
	v_cmp_eq_u32_e32 vcc_lo, 0, v9
	v_add_nc_u32_e32 v9, 0xffffff91, v9
	v_cndmask_b32_e64 v13, v13, 0x6f, vcc_lo
	s_delay_alu instid0(VALU_DEP_4) | instskip(NEXT) | instid1(VALU_DEP_3)
	v_cndmask_b32_e32 v12, v14, v12, vcc_lo
	v_cndmask_b32_e64 v9, v9, 0xffffff92, vcc_lo
	s_delay_alu instid0(VALU_DEP_3) | instskip(NEXT) | instid1(VALU_DEP_3)
	v_lshl_add_u32 v14, 0x200000, v13, -1
	v_lshrrev_b32_e32 v15, v13, v12
	v_lshlrev_b32_e64 v17, v13, 0x100000
	s_delay_alu instid0(VALU_DEP_4) | instskip(NEXT) | instid1(VALU_DEP_4)
	v_add_nc_u32_e32 v13, v13, v9
	v_and_b32_e32 v12, v14, v12
	s_delay_alu instid0(VALU_DEP_4) | instskip(NEXT) | instid1(VALU_DEP_2)
	v_bfe_u32 v16, v15, 21, 1
	v_cmp_eq_u32_e64 s13, v12, v17
	s_delay_alu instid0(VALU_DEP_2) | instskip(NEXT) | instid1(VALU_DEP_1)
	v_add_nc_u32_e32 v14, -1, v16
	v_cndmask_b32_e64 v12, 0, v14, s13
	v_lshrrev_b32_e32 v14, 23, v15
	s_mov_b32 s13, exec_lo
	s_delay_alu instid0(VALU_DEP_2) | instskip(NEXT) | instid1(VALU_DEP_2)
	v_add_nc_u32_e32 v12, v12, v15
	v_xor_b32_e32 v14, 1, v14
	s_delay_alu instid0(VALU_DEP_2) | instskip(NEXT) | instid1(VALU_DEP_1)
	v_and_b32_e32 v9, 0x1fffff, v12
	v_add_nc_u32_e32 v12, v9, v15
                                        ; implicit-def: $vgpr9
	s_delay_alu instid0(VALU_DEP_3)
	v_cmpx_ne_u32_e64 v13, v14
	s_xor_b32 s13, exec_lo, s13
; %bb.3401:                             ;   in Loop: Header=BB6_3265 Depth=4
	s_delay_alu instid0(VALU_DEP_2) | instskip(SKIP_2) | instid1(VALU_DEP_2)
	v_cmp_lt_u32_e32 vcc_lo, 0xffffff, v12
	v_sub_nc_u32_e32 v9, v13, v14
	v_cndmask_b32_e64 v13, 0, 1, vcc_lo
	v_add_co_ci_u32_e32 v9, vcc_lo, 0, v9, vcc_lo
	s_delay_alu instid0(VALU_DEP_2)
	v_lshrrev_b32_e32 v12, v13, v12
; %bb.3402:                             ;   in Loop: Header=BB6_3265 Depth=4
	s_and_not1_saveexec_b32 s13, s13
; %bb.3403:                             ;   in Loop: Header=BB6_3265 Depth=4
	s_delay_alu instid0(VALU_DEP_1)
	v_bfe_u32 v9, v12, 23, 1
; %bb.3404:                             ;   in Loop: Header=BB6_3265 Depth=4
	s_or_b32 exec_lo, exec_lo, s13
	v_lshrrev_b32_e32 v12, 21, v12
	s_delay_alu instid0(VALU_DEP_2) | instskip(SKIP_2) | instid1(VALU_DEP_4)
	v_cmp_gt_i32_e32 vcc_lo, 32, v9
	v_lshrrev_b32_e32 v8, 24, v8
	v_min_i32_e32 v13, 31, v9
	v_cndmask_b32_e32 v12, 3, v12, vcc_lo
	s_delay_alu instid0(VALU_DEP_3) | instskip(NEXT) | instid1(VALU_DEP_3)
	v_and_b32_e32 v8, 0x80, v8
	v_lshlrev_b32_e32 v13, 2, v13
	s_delay_alu instid0(VALU_DEP_3) | instskip(SKIP_1) | instid1(VALU_DEP_2)
	v_and_b32_e32 v14, 3, v12
	v_or_b32_e32 v9, v9, v12
	v_or3_b32 v8, v13, v8, v14
	s_delay_alu instid0(VALU_DEP_2) | instskip(NEXT) | instid1(VALU_DEP_2)
	v_cmp_ne_u32_e32 vcc_lo, 0, v9
	v_cndmask_b32_e32 v79, 0, v8, vcc_lo
.LBB6_3405:                             ;   in Loop: Header=BB6_3265 Depth=4
	s_or_b32 exec_lo, exec_lo, s36
.LBB6_3406:                             ;   in Loop: Header=BB6_3265 Depth=4
	s_delay_alu instid0(SALU_CYCLE_1) | instskip(SKIP_3) | instid1(VALU_DEP_1)
	s_or_b32 exec_lo, exec_lo, s35
	v_lshrrev_b32_e32 v8, 24, v10
	s_mov_b32 s13, 0
	s_mov_b32 s36, exec_lo
                                        ; implicit-def: $sgpr35
	v_cmpx_lt_i16_e32 0x7f, v8
	s_xor_b32 s36, exec_lo, s36
	s_cbranch_execnz .LBB6_5108
; %bb.3407:                             ;   in Loop: Header=BB6_3265 Depth=4
	s_or_saveexec_b32 s36, s36
	v_mov_b32_e32 v9, s35
	s_xor_b32 exec_lo, exec_lo, s36
	s_cbranch_execnz .LBB6_5111
.LBB6_3408:                             ;   in Loop: Header=BB6_3265 Depth=4
	s_or_b32 exec_lo, exec_lo, s36
	s_and_saveexec_b32 s35, s13
	s_cbranch_execz .LBB6_3410
.LBB6_3409:                             ;   in Loop: Header=BB6_3265 Depth=4
	v_bfe_u32 v9, v10, 24, 2
	s_delay_alu instid0(VALU_DEP_1) | instskip(NEXT) | instid1(VALU_DEP_1)
	v_clz_i32_u32_e32 v12, v9
	v_min_u32_e32 v12, 32, v12
	s_delay_alu instid0(VALU_DEP_1) | instskip(SKIP_1) | instid1(VALU_DEP_2)
	v_subrev_nc_u32_e32 v13, 29, v12
	v_sub_nc_u32_e32 v12, 30, v12
	v_lshlrev_b32_e32 v8, v13, v8
	v_bfe_u32 v13, v10, 26, 5
	s_delay_alu instid0(VALU_DEP_2) | instskip(NEXT) | instid1(VALU_DEP_2)
	v_and_b32_e32 v8, 3, v8
	v_cmp_eq_u32_e32 vcc_lo, 0, v13
	v_cndmask_b32_e32 v12, v13, v12, vcc_lo
	s_delay_alu instid0(VALU_DEP_3) | instskip(NEXT) | instid1(VALU_DEP_2)
	v_dual_cndmask_b32 v8, v9, v8 :: v_dual_and_b32 v9, 0x80000000, v10
	v_lshl_add_u32 v10, v12, 23, 0x37800000
	s_delay_alu instid0(VALU_DEP_2) | instskip(NEXT) | instid1(VALU_DEP_1)
	v_lshlrev_b32_e32 v8, 21, v8
	v_or3_b32 v9, v9, v10, v8
.LBB6_3410:                             ;   in Loop: Header=BB6_3265 Depth=4
	s_or_b32 exec_lo, exec_lo, s35
	s_delay_alu instid0(VALU_DEP_1) | instskip(SKIP_2) | instid1(VALU_DEP_2)
	v_mul_f32_e32 v8, s34, v9
	v_mov_b32_e32 v106, 0x80
	s_mov_b32 s35, exec_lo
	v_and_b32_e32 v9, 0x7f800000, v8
	s_delay_alu instid0(VALU_DEP_1)
	v_cmpx_ne_u32_e32 0x7f800000, v9
	s_cbranch_execz .LBB6_3418
; %bb.3411:                             ;   in Loop: Header=BB6_3265 Depth=4
	v_mov_b32_e32 v106, 0
	s_mov_b32 s36, exec_lo
	v_cmpx_ne_u32_e32 0, v8
	s_cbranch_execz .LBB6_3417
; %bb.3412:                             ;   in Loop: Header=BB6_3265 Depth=4
	v_bfe_u32 v9, v8, 23, 8
	v_and_b32_e32 v10, 0x7fffff, v8
	s_delay_alu instid0(VALU_DEP_2) | instskip(SKIP_1) | instid1(VALU_DEP_3)
	v_sub_nc_u32_e32 v12, 0x70, v9
	v_cmp_gt_u32_e32 vcc_lo, 0x71, v9
	v_or_b32_e32 v13, 0x800000, v10
	s_delay_alu instid0(VALU_DEP_3) | instskip(SKIP_2) | instid1(VALU_DEP_3)
	v_cndmask_b32_e32 v12, 0, v12, vcc_lo
	v_cmp_eq_u32_e32 vcc_lo, 0, v9
	v_add_nc_u32_e32 v9, 0xffffff91, v9
	v_cndmask_b32_e64 v12, v12, 0x6f, vcc_lo
	v_cndmask_b32_e32 v10, v13, v10, vcc_lo
	s_delay_alu instid0(VALU_DEP_3) | instskip(NEXT) | instid1(VALU_DEP_3)
	v_cndmask_b32_e64 v9, v9, 0xffffff92, vcc_lo
	v_lshl_add_u32 v13, 0x200000, v12, -1
	s_delay_alu instid0(VALU_DEP_3) | instskip(SKIP_1) | instid1(VALU_DEP_4)
	v_lshrrev_b32_e32 v14, v12, v10
	v_lshlrev_b32_e64 v16, v12, 0x100000
	v_add_nc_u32_e32 v12, v12, v9
	s_delay_alu instid0(VALU_DEP_4) | instskip(NEXT) | instid1(VALU_DEP_4)
	v_and_b32_e32 v10, v13, v10
	v_bfe_u32 v15, v14, 21, 1
	s_delay_alu instid0(VALU_DEP_2) | instskip(NEXT) | instid1(VALU_DEP_2)
	v_cmp_eq_u32_e64 s13, v10, v16
	v_add_nc_u32_e32 v13, -1, v15
	s_delay_alu instid0(VALU_DEP_1) | instskip(SKIP_2) | instid1(VALU_DEP_2)
	v_cndmask_b32_e64 v10, 0, v13, s13
	v_lshrrev_b32_e32 v13, 23, v14
	s_mov_b32 s13, exec_lo
	v_add_nc_u32_e32 v10, v10, v14
	s_delay_alu instid0(VALU_DEP_2) | instskip(NEXT) | instid1(VALU_DEP_2)
	v_xor_b32_e32 v13, 1, v13
	v_and_b32_e32 v9, 0x1fffff, v10
	s_delay_alu instid0(VALU_DEP_1) | instskip(NEXT) | instid1(VALU_DEP_3)
	v_add_nc_u32_e32 v10, v9, v14
                                        ; implicit-def: $vgpr9
	v_cmpx_ne_u32_e64 v12, v13
	s_xor_b32 s13, exec_lo, s13
; %bb.3413:                             ;   in Loop: Header=BB6_3265 Depth=4
	s_delay_alu instid0(VALU_DEP_2) | instskip(SKIP_2) | instid1(VALU_DEP_2)
	v_cmp_lt_u32_e32 vcc_lo, 0xffffff, v10
	v_sub_nc_u32_e32 v9, v12, v13
	v_cndmask_b32_e64 v12, 0, 1, vcc_lo
	v_add_co_ci_u32_e32 v9, vcc_lo, 0, v9, vcc_lo
	s_delay_alu instid0(VALU_DEP_2)
	v_lshrrev_b32_e32 v10, v12, v10
; %bb.3414:                             ;   in Loop: Header=BB6_3265 Depth=4
	s_and_not1_saveexec_b32 s13, s13
; %bb.3415:                             ;   in Loop: Header=BB6_3265 Depth=4
	s_delay_alu instid0(VALU_DEP_1)
	v_bfe_u32 v9, v10, 23, 1
; %bb.3416:                             ;   in Loop: Header=BB6_3265 Depth=4
	s_or_b32 exec_lo, exec_lo, s13
	v_lshrrev_b32_e32 v10, 21, v10
	s_delay_alu instid0(VALU_DEP_2) | instskip(SKIP_2) | instid1(VALU_DEP_4)
	v_cmp_gt_i32_e32 vcc_lo, 32, v9
	v_lshrrev_b32_e32 v8, 24, v8
	v_min_i32_e32 v12, 31, v9
	v_cndmask_b32_e32 v10, 3, v10, vcc_lo
	s_delay_alu instid0(VALU_DEP_3) | instskip(NEXT) | instid1(VALU_DEP_3)
	v_and_b32_e32 v8, 0x80, v8
	v_lshlrev_b32_e32 v12, 2, v12
	s_delay_alu instid0(VALU_DEP_3) | instskip(NEXT) | instid1(VALU_DEP_1)
	v_or_b32_e32 v9, v9, v10
	v_cmp_ne_u32_e32 vcc_lo, 0, v9
	v_and_b32_e32 v13, 3, v10
	s_delay_alu instid0(VALU_DEP_1) | instskip(NEXT) | instid1(VALU_DEP_1)
	v_or3_b32 v8, v12, v8, v13
	v_cndmask_b32_e32 v106, 0, v8, vcc_lo
.LBB6_3417:                             ;   in Loop: Header=BB6_3265 Depth=4
	s_or_b32 exec_lo, exec_lo, s36
.LBB6_3418:                             ;   in Loop: Header=BB6_3265 Depth=4
	s_delay_alu instid0(SALU_CYCLE_1) | instskip(SKIP_3) | instid1(VALU_DEP_1)
	s_or_b32 exec_lo, exec_lo, s35
	v_and_b32_e32 v9, 0xff, v11
	s_mov_b32 s13, 0
	s_mov_b32 s36, exec_lo
                                        ; implicit-def: $sgpr35
	v_cmpx_lt_i16_e32 0x7f, v9
	s_xor_b32 s36, exec_lo, s36
	s_cbranch_execnz .LBB6_5112
; %bb.3419:                             ;   in Loop: Header=BB6_3265 Depth=4
	s_or_saveexec_b32 s36, s36
	v_mov_b32_e32 v8, s35
	s_xor_b32 exec_lo, exec_lo, s36
	s_cbranch_execnz .LBB6_5115
.LBB6_3420:                             ;   in Loop: Header=BB6_3265 Depth=4
	s_or_b32 exec_lo, exec_lo, s36
	s_and_saveexec_b32 s35, s13
	s_cbranch_execz .LBB6_3422
.LBB6_3421:                             ;   in Loop: Header=BB6_3265 Depth=4
	v_bfe_u32 v12, v11, 2, 5
	s_delay_alu instid0(VALU_DEP_1) | instskip(SKIP_1) | instid1(VALU_DEP_1)
	v_cmp_eq_u32_e32 vcc_lo, 0, v12
	v_and_b32_e32 v8, 3, v11
	v_clz_i32_u32_e32 v9, v8
	s_delay_alu instid0(VALU_DEP_1) | instskip(NEXT) | instid1(VALU_DEP_1)
	v_min_u32_e32 v9, 32, v9
	v_subrev_nc_u32_e32 v10, 29, v9
	v_sub_nc_u32_e32 v9, 30, v9
	s_delay_alu instid0(VALU_DEP_1) | instskip(NEXT) | instid1(VALU_DEP_1)
	v_dual_cndmask_b32 v9, v12, v9 :: v_dual_lshlrev_b32 v10, v10, v11
	v_and_b32_e32 v10, 3, v10
	v_lshlrev_b32_e32 v13, 24, v11
	s_delay_alu instid0(VALU_DEP_3) | instskip(NEXT) | instid1(VALU_DEP_3)
	v_lshl_add_u32 v9, v9, 23, 0x37800000
	v_cndmask_b32_e32 v8, v8, v10, vcc_lo
	s_delay_alu instid0(VALU_DEP_3) | instskip(NEXT) | instid1(VALU_DEP_2)
	v_and_b32_e32 v10, 0x80000000, v13
	v_lshlrev_b32_e32 v8, 21, v8
	s_delay_alu instid0(VALU_DEP_1)
	v_or3_b32 v8, v10, v9, v8
.LBB6_3422:                             ;   in Loop: Header=BB6_3265 Depth=4
	s_or_b32 exec_lo, exec_lo, s35
	s_delay_alu instid0(VALU_DEP_1) | instskip(SKIP_2) | instid1(VALU_DEP_2)
	v_mul_f32_e32 v8, s34, v8
	v_mov_b32_e32 v104, 0x80
	s_mov_b32 s35, exec_lo
	v_and_b32_e32 v9, 0x7f800000, v8
	s_delay_alu instid0(VALU_DEP_1)
	v_cmpx_ne_u32_e32 0x7f800000, v9
	s_cbranch_execz .LBB6_3430
; %bb.3423:                             ;   in Loop: Header=BB6_3265 Depth=4
	v_mov_b32_e32 v104, 0
	s_mov_b32 s36, exec_lo
	v_cmpx_ne_u32_e32 0, v8
	s_cbranch_execz .LBB6_3429
; %bb.3424:                             ;   in Loop: Header=BB6_3265 Depth=4
	v_bfe_u32 v9, v8, 23, 8
	v_and_b32_e32 v10, 0x7fffff, v8
	s_delay_alu instid0(VALU_DEP_2) | instskip(SKIP_1) | instid1(VALU_DEP_3)
	v_sub_nc_u32_e32 v12, 0x70, v9
	v_cmp_gt_u32_e32 vcc_lo, 0x71, v9
	v_or_b32_e32 v13, 0x800000, v10
	s_delay_alu instid0(VALU_DEP_3) | instskip(SKIP_2) | instid1(VALU_DEP_3)
	v_cndmask_b32_e32 v12, 0, v12, vcc_lo
	v_cmp_eq_u32_e32 vcc_lo, 0, v9
	v_add_nc_u32_e32 v9, 0xffffff91, v9
	v_cndmask_b32_e64 v12, v12, 0x6f, vcc_lo
	v_cndmask_b32_e32 v10, v13, v10, vcc_lo
	s_delay_alu instid0(VALU_DEP_3) | instskip(NEXT) | instid1(VALU_DEP_3)
	v_cndmask_b32_e64 v9, v9, 0xffffff92, vcc_lo
	v_lshl_add_u32 v13, 0x200000, v12, -1
	s_delay_alu instid0(VALU_DEP_3) | instskip(SKIP_1) | instid1(VALU_DEP_4)
	v_lshrrev_b32_e32 v14, v12, v10
	v_lshlrev_b32_e64 v16, v12, 0x100000
	v_add_nc_u32_e32 v12, v12, v9
	s_delay_alu instid0(VALU_DEP_4) | instskip(NEXT) | instid1(VALU_DEP_4)
	v_and_b32_e32 v10, v13, v10
	v_bfe_u32 v15, v14, 21, 1
	s_delay_alu instid0(VALU_DEP_2) | instskip(NEXT) | instid1(VALU_DEP_2)
	v_cmp_eq_u32_e64 s13, v10, v16
	v_add_nc_u32_e32 v13, -1, v15
	s_delay_alu instid0(VALU_DEP_1) | instskip(SKIP_2) | instid1(VALU_DEP_2)
	v_cndmask_b32_e64 v10, 0, v13, s13
	v_lshrrev_b32_e32 v13, 23, v14
	s_mov_b32 s13, exec_lo
	v_add_nc_u32_e32 v10, v10, v14
	s_delay_alu instid0(VALU_DEP_2) | instskip(NEXT) | instid1(VALU_DEP_2)
	v_xor_b32_e32 v13, 1, v13
	v_and_b32_e32 v9, 0x1fffff, v10
	s_delay_alu instid0(VALU_DEP_1) | instskip(NEXT) | instid1(VALU_DEP_3)
	v_add_nc_u32_e32 v10, v9, v14
                                        ; implicit-def: $vgpr9
	v_cmpx_ne_u32_e64 v12, v13
	s_xor_b32 s13, exec_lo, s13
; %bb.3425:                             ;   in Loop: Header=BB6_3265 Depth=4
	s_delay_alu instid0(VALU_DEP_2) | instskip(SKIP_2) | instid1(VALU_DEP_2)
	v_cmp_lt_u32_e32 vcc_lo, 0xffffff, v10
	v_sub_nc_u32_e32 v9, v12, v13
	v_cndmask_b32_e64 v12, 0, 1, vcc_lo
	v_add_co_ci_u32_e32 v9, vcc_lo, 0, v9, vcc_lo
	s_delay_alu instid0(VALU_DEP_2)
	v_lshrrev_b32_e32 v10, v12, v10
; %bb.3426:                             ;   in Loop: Header=BB6_3265 Depth=4
	s_and_not1_saveexec_b32 s13, s13
; %bb.3427:                             ;   in Loop: Header=BB6_3265 Depth=4
	s_delay_alu instid0(VALU_DEP_1)
	v_bfe_u32 v9, v10, 23, 1
; %bb.3428:                             ;   in Loop: Header=BB6_3265 Depth=4
	s_or_b32 exec_lo, exec_lo, s13
	v_lshrrev_b32_e32 v10, 21, v10
	s_delay_alu instid0(VALU_DEP_2) | instskip(SKIP_2) | instid1(VALU_DEP_4)
	v_cmp_gt_i32_e32 vcc_lo, 32, v9
	v_min_i32_e32 v12, 31, v9
	v_lshrrev_b32_e32 v8, 24, v8
	v_cndmask_b32_e32 v10, 3, v10, vcc_lo
	s_delay_alu instid0(VALU_DEP_3) | instskip(NEXT) | instid1(VALU_DEP_3)
	v_lshlrev_b32_e32 v12, 2, v12
	v_and_b32_e32 v8, 0x80, v8
	s_delay_alu instid0(VALU_DEP_3) | instskip(NEXT) | instid1(VALU_DEP_3)
	v_or_b32_e32 v9, v9, v10
	v_and_b32_e32 v12, 0xfc, v12
	s_delay_alu instid0(VALU_DEP_2) | instskip(SKIP_1) | instid1(VALU_DEP_1)
	v_cmp_ne_u32_e32 vcc_lo, 0, v9
	v_and_b32_e32 v13, 3, v10
	v_or3_b32 v8, v12, v8, v13
	s_delay_alu instid0(VALU_DEP_1)
	v_cndmask_b32_e32 v104, 0, v8, vcc_lo
.LBB6_3429:                             ;   in Loop: Header=BB6_3265 Depth=4
	s_or_b32 exec_lo, exec_lo, s36
.LBB6_3430:                             ;   in Loop: Header=BB6_3265 Depth=4
	s_delay_alu instid0(SALU_CYCLE_1) | instskip(SKIP_3) | instid1(VALU_DEP_1)
	s_or_b32 exec_lo, exec_lo, s35
	v_lshrrev_b16 v8, 8, v11
	s_mov_b32 s13, 0
	s_mov_b32 s36, exec_lo
                                        ; implicit-def: $sgpr35
	v_cmpx_lt_i16_e32 0x7f, v8
	s_xor_b32 s36, exec_lo, s36
	s_cbranch_execnz .LBB6_5116
; %bb.3431:                             ;   in Loop: Header=BB6_3265 Depth=4
	s_or_saveexec_b32 s36, s36
	v_mov_b32_e32 v9, s35
	s_xor_b32 exec_lo, exec_lo, s36
	s_cbranch_execnz .LBB6_5119
.LBB6_3432:                             ;   in Loop: Header=BB6_3265 Depth=4
	s_or_b32 exec_lo, exec_lo, s36
	s_and_saveexec_b32 s35, s13
	s_cbranch_execz .LBB6_3434
.LBB6_3433:                             ;   in Loop: Header=BB6_3265 Depth=4
	v_and_b32_e32 v9, 0xffff, v8
	v_lshlrev_b32_e32 v8, 24, v8
	s_delay_alu instid0(VALU_DEP_2) | instskip(NEXT) | instid1(VALU_DEP_2)
	v_and_b32_e32 v10, 3, v9
	v_and_b32_e32 v8, 0x80000000, v8
	s_delay_alu instid0(VALU_DEP_2) | instskip(NEXT) | instid1(VALU_DEP_1)
	v_clz_i32_u32_e32 v12, v10
	v_min_u32_e32 v12, 32, v12
	s_delay_alu instid0(VALU_DEP_1) | instskip(SKIP_1) | instid1(VALU_DEP_2)
	v_subrev_nc_u32_e32 v13, 29, v12
	v_sub_nc_u32_e32 v12, 30, v12
	v_lshlrev_b32_e32 v13, v13, v9
	v_bfe_u32 v9, v9, 2, 5
	s_delay_alu instid0(VALU_DEP_2) | instskip(NEXT) | instid1(VALU_DEP_2)
	v_and_b32_e32 v13, 3, v13
	v_cmp_eq_u32_e32 vcc_lo, 0, v9
	s_delay_alu instid0(VALU_DEP_2) | instskip(NEXT) | instid1(VALU_DEP_1)
	v_dual_cndmask_b32 v9, v9, v12 :: v_dual_cndmask_b32 v10, v10, v13
	v_lshl_add_u32 v9, v9, 23, 0x37800000
	s_delay_alu instid0(VALU_DEP_2) | instskip(NEXT) | instid1(VALU_DEP_1)
	v_lshlrev_b32_e32 v10, 21, v10
	v_or3_b32 v9, v8, v9, v10
.LBB6_3434:                             ;   in Loop: Header=BB6_3265 Depth=4
	s_or_b32 exec_lo, exec_lo, s35
	s_delay_alu instid0(VALU_DEP_1) | instskip(SKIP_2) | instid1(VALU_DEP_2)
	v_mul_f32_e32 v8, s34, v9
	v_mov_b32_e32 v124, 0x8000
	s_mov_b32 s35, exec_lo
	v_and_b32_e32 v9, 0x7f800000, v8
	s_delay_alu instid0(VALU_DEP_1)
	v_cmpx_ne_u32_e32 0x7f800000, v9
	s_cbranch_execz .LBB6_3442
; %bb.3435:                             ;   in Loop: Header=BB6_3265 Depth=4
	v_mov_b32_e32 v124, 0
	s_mov_b32 s36, exec_lo
	v_cmpx_ne_u32_e32 0, v8
	s_cbranch_execz .LBB6_3441
; %bb.3436:                             ;   in Loop: Header=BB6_3265 Depth=4
	v_bfe_u32 v9, v8, 23, 8
	v_and_b32_e32 v10, 0x7fffff, v8
	s_delay_alu instid0(VALU_DEP_2) | instskip(SKIP_1) | instid1(VALU_DEP_3)
	v_sub_nc_u32_e32 v12, 0x70, v9
	v_cmp_gt_u32_e32 vcc_lo, 0x71, v9
	v_or_b32_e32 v13, 0x800000, v10
	s_delay_alu instid0(VALU_DEP_3) | instskip(SKIP_2) | instid1(VALU_DEP_3)
	v_cndmask_b32_e32 v12, 0, v12, vcc_lo
	v_cmp_eq_u32_e32 vcc_lo, 0, v9
	v_add_nc_u32_e32 v9, 0xffffff91, v9
	v_cndmask_b32_e64 v12, v12, 0x6f, vcc_lo
	v_cndmask_b32_e32 v10, v13, v10, vcc_lo
	s_delay_alu instid0(VALU_DEP_3) | instskip(NEXT) | instid1(VALU_DEP_3)
	v_cndmask_b32_e64 v9, v9, 0xffffff92, vcc_lo
	v_lshl_add_u32 v13, 0x200000, v12, -1
	s_delay_alu instid0(VALU_DEP_3) | instskip(SKIP_1) | instid1(VALU_DEP_4)
	v_lshrrev_b32_e32 v14, v12, v10
	v_lshlrev_b32_e64 v16, v12, 0x100000
	v_add_nc_u32_e32 v12, v12, v9
	s_delay_alu instid0(VALU_DEP_4) | instskip(NEXT) | instid1(VALU_DEP_4)
	v_and_b32_e32 v10, v13, v10
	v_bfe_u32 v15, v14, 21, 1
	s_delay_alu instid0(VALU_DEP_2) | instskip(NEXT) | instid1(VALU_DEP_2)
	v_cmp_eq_u32_e64 s13, v10, v16
	v_add_nc_u32_e32 v13, -1, v15
	s_delay_alu instid0(VALU_DEP_1) | instskip(SKIP_2) | instid1(VALU_DEP_2)
	v_cndmask_b32_e64 v10, 0, v13, s13
	v_lshrrev_b32_e32 v13, 23, v14
	s_mov_b32 s13, exec_lo
	v_add_nc_u32_e32 v10, v10, v14
	s_delay_alu instid0(VALU_DEP_2) | instskip(NEXT) | instid1(VALU_DEP_2)
	v_xor_b32_e32 v13, 1, v13
	v_and_b32_e32 v9, 0x1fffff, v10
	s_delay_alu instid0(VALU_DEP_1) | instskip(NEXT) | instid1(VALU_DEP_3)
	v_add_nc_u32_e32 v10, v9, v14
                                        ; implicit-def: $vgpr9
	v_cmpx_ne_u32_e64 v12, v13
	s_xor_b32 s13, exec_lo, s13
; %bb.3437:                             ;   in Loop: Header=BB6_3265 Depth=4
	s_delay_alu instid0(VALU_DEP_2) | instskip(SKIP_2) | instid1(VALU_DEP_2)
	v_cmp_lt_u32_e32 vcc_lo, 0xffffff, v10
	v_sub_nc_u32_e32 v9, v12, v13
	v_cndmask_b32_e64 v12, 0, 1, vcc_lo
	v_add_co_ci_u32_e32 v9, vcc_lo, 0, v9, vcc_lo
	s_delay_alu instid0(VALU_DEP_2)
	v_lshrrev_b32_e32 v10, v12, v10
; %bb.3438:                             ;   in Loop: Header=BB6_3265 Depth=4
	s_and_not1_saveexec_b32 s13, s13
; %bb.3439:                             ;   in Loop: Header=BB6_3265 Depth=4
	s_delay_alu instid0(VALU_DEP_1)
	v_bfe_u32 v9, v10, 23, 1
; %bb.3440:                             ;   in Loop: Header=BB6_3265 Depth=4
	s_or_b32 exec_lo, exec_lo, s13
	v_lshrrev_b32_e32 v10, 21, v10
	s_delay_alu instid0(VALU_DEP_2) | instskip(SKIP_2) | instid1(VALU_DEP_4)
	v_cmp_gt_i32_e32 vcc_lo, 32, v9
	v_min_i32_e32 v12, 31, v9
	v_lshrrev_b32_e32 v8, 24, v8
	v_cndmask_b32_e32 v10, 3, v10, vcc_lo
	s_delay_alu instid0(VALU_DEP_3) | instskip(NEXT) | instid1(VALU_DEP_3)
	v_lshlrev_b32_e32 v12, 2, v12
	v_and_b32_e32 v8, 0x80, v8
	s_delay_alu instid0(VALU_DEP_3) | instskip(NEXT) | instid1(VALU_DEP_3)
	v_or_b32_e32 v9, v9, v10
	v_and_b32_e32 v12, 0xfc, v12
	s_delay_alu instid0(VALU_DEP_2) | instskip(SKIP_1) | instid1(VALU_DEP_1)
	v_cmp_ne_u32_e32 vcc_lo, 0, v9
	v_and_b32_e32 v13, 3, v10
	v_or3_b32 v8, v8, v12, v13
	s_delay_alu instid0(VALU_DEP_1) | instskip(NEXT) | instid1(VALU_DEP_1)
	v_lshlrev_b32_e32 v8, 8, v8
	v_cndmask_b32_e32 v124, 0, v8, vcc_lo
.LBB6_3441:                             ;   in Loop: Header=BB6_3265 Depth=4
	s_or_b32 exec_lo, exec_lo, s36
.LBB6_3442:                             ;   in Loop: Header=BB6_3265 Depth=4
	s_delay_alu instid0(SALU_CYCLE_1) | instskip(SKIP_3) | instid1(VALU_DEP_1)
	s_or_b32 exec_lo, exec_lo, s35
	v_lshrrev_b32_e32 v8, 16, v11
	s_mov_b32 s13, 0
	s_mov_b32 s36, exec_lo
                                        ; implicit-def: $sgpr35
	v_and_b32_e32 v10, 0xff, v8
	s_delay_alu instid0(VALU_DEP_1)
	v_cmpx_lt_i16_e32 0x7f, v10
	s_xor_b32 s36, exec_lo, s36
	s_cbranch_execnz .LBB6_5120
; %bb.3443:                             ;   in Loop: Header=BB6_3265 Depth=4
	s_or_saveexec_b32 s36, s36
	v_mov_b32_e32 v9, s35
	s_xor_b32 exec_lo, exec_lo, s36
	s_cbranch_execnz .LBB6_5123
.LBB6_3444:                             ;   in Loop: Header=BB6_3265 Depth=4
	s_or_b32 exec_lo, exec_lo, s36
	s_and_saveexec_b32 s35, s13
	s_cbranch_execz .LBB6_3446
.LBB6_3445:                             ;   in Loop: Header=BB6_3265 Depth=4
	v_bfe_u32 v9, v11, 16, 2
	s_delay_alu instid0(VALU_DEP_1) | instskip(NEXT) | instid1(VALU_DEP_1)
	v_clz_i32_u32_e32 v10, v9
	v_min_u32_e32 v10, 32, v10
	s_delay_alu instid0(VALU_DEP_1) | instskip(SKIP_1) | instid1(VALU_DEP_2)
	v_subrev_nc_u32_e32 v12, 29, v10
	v_sub_nc_u32_e32 v10, 30, v10
	v_lshlrev_b32_e32 v8, v12, v8
	v_bfe_u32 v12, v11, 18, 5
	s_delay_alu instid0(VALU_DEP_2) | instskip(NEXT) | instid1(VALU_DEP_2)
	v_and_b32_e32 v8, 3, v8
	v_cmp_eq_u32_e32 vcc_lo, 0, v12
	v_dual_cndmask_b32 v10, v12, v10 :: v_dual_lshlrev_b32 v13, 8, v11
	s_delay_alu instid0(VALU_DEP_1) | instskip(NEXT) | instid1(VALU_DEP_2)
	v_dual_cndmask_b32 v8, v9, v8 :: v_dual_and_b32 v9, 0x80000000, v13
	v_lshl_add_u32 v10, v10, 23, 0x37800000
	s_delay_alu instid0(VALU_DEP_2) | instskip(NEXT) | instid1(VALU_DEP_1)
	v_lshlrev_b32_e32 v8, 21, v8
	v_or3_b32 v9, v9, v10, v8
.LBB6_3446:                             ;   in Loop: Header=BB6_3265 Depth=4
	s_or_b32 exec_lo, exec_lo, s35
	s_delay_alu instid0(VALU_DEP_1) | instskip(SKIP_1) | instid1(VALU_DEP_1)
	v_dual_mul_f32 v8, s34, v9 :: v_dual_mov_b32 v121, 0x80
	s_mov_b32 s35, exec_lo
	v_and_b32_e32 v9, 0x7f800000, v8
	s_delay_alu instid0(VALU_DEP_1)
	v_cmpx_ne_u32_e32 0x7f800000, v9
	s_cbranch_execz .LBB6_3454
; %bb.3447:                             ;   in Loop: Header=BB6_3265 Depth=4
	v_mov_b32_e32 v121, 0
	s_mov_b32 s36, exec_lo
	v_cmpx_ne_u32_e32 0, v8
	s_cbranch_execz .LBB6_3453
; %bb.3448:                             ;   in Loop: Header=BB6_3265 Depth=4
	v_bfe_u32 v9, v8, 23, 8
	v_and_b32_e32 v10, 0x7fffff, v8
	s_delay_alu instid0(VALU_DEP_2) | instskip(SKIP_1) | instid1(VALU_DEP_3)
	v_sub_nc_u32_e32 v12, 0x70, v9
	v_cmp_gt_u32_e32 vcc_lo, 0x71, v9
	v_or_b32_e32 v13, 0x800000, v10
	s_delay_alu instid0(VALU_DEP_3) | instskip(SKIP_2) | instid1(VALU_DEP_3)
	v_cndmask_b32_e32 v12, 0, v12, vcc_lo
	v_cmp_eq_u32_e32 vcc_lo, 0, v9
	v_add_nc_u32_e32 v9, 0xffffff91, v9
	v_cndmask_b32_e64 v12, v12, 0x6f, vcc_lo
	v_cndmask_b32_e32 v10, v13, v10, vcc_lo
	s_delay_alu instid0(VALU_DEP_3) | instskip(NEXT) | instid1(VALU_DEP_3)
	v_cndmask_b32_e64 v9, v9, 0xffffff92, vcc_lo
	v_lshl_add_u32 v13, 0x200000, v12, -1
	s_delay_alu instid0(VALU_DEP_3) | instskip(SKIP_1) | instid1(VALU_DEP_4)
	v_lshrrev_b32_e32 v14, v12, v10
	v_lshlrev_b32_e64 v16, v12, 0x100000
	v_add_nc_u32_e32 v12, v12, v9
	s_delay_alu instid0(VALU_DEP_4) | instskip(NEXT) | instid1(VALU_DEP_4)
	v_and_b32_e32 v10, v13, v10
	v_bfe_u32 v15, v14, 21, 1
	s_delay_alu instid0(VALU_DEP_2) | instskip(NEXT) | instid1(VALU_DEP_2)
	v_cmp_eq_u32_e64 s13, v10, v16
	v_add_nc_u32_e32 v13, -1, v15
	s_delay_alu instid0(VALU_DEP_1) | instskip(SKIP_2) | instid1(VALU_DEP_2)
	v_cndmask_b32_e64 v10, 0, v13, s13
	v_lshrrev_b32_e32 v13, 23, v14
	s_mov_b32 s13, exec_lo
	v_add_nc_u32_e32 v10, v10, v14
	s_delay_alu instid0(VALU_DEP_2) | instskip(NEXT) | instid1(VALU_DEP_2)
	v_xor_b32_e32 v13, 1, v13
	v_and_b32_e32 v9, 0x1fffff, v10
	s_delay_alu instid0(VALU_DEP_1) | instskip(NEXT) | instid1(VALU_DEP_3)
	v_add_nc_u32_e32 v10, v9, v14
                                        ; implicit-def: $vgpr9
	v_cmpx_ne_u32_e64 v12, v13
	s_xor_b32 s13, exec_lo, s13
; %bb.3449:                             ;   in Loop: Header=BB6_3265 Depth=4
	s_delay_alu instid0(VALU_DEP_2) | instskip(SKIP_2) | instid1(VALU_DEP_2)
	v_cmp_lt_u32_e32 vcc_lo, 0xffffff, v10
	v_sub_nc_u32_e32 v9, v12, v13
	v_cndmask_b32_e64 v12, 0, 1, vcc_lo
	v_add_co_ci_u32_e32 v9, vcc_lo, 0, v9, vcc_lo
	s_delay_alu instid0(VALU_DEP_2)
	v_lshrrev_b32_e32 v10, v12, v10
; %bb.3450:                             ;   in Loop: Header=BB6_3265 Depth=4
	s_and_not1_saveexec_b32 s13, s13
; %bb.3451:                             ;   in Loop: Header=BB6_3265 Depth=4
	s_delay_alu instid0(VALU_DEP_1)
	v_bfe_u32 v9, v10, 23, 1
; %bb.3452:                             ;   in Loop: Header=BB6_3265 Depth=4
	s_or_b32 exec_lo, exec_lo, s13
	v_lshrrev_b32_e32 v10, 21, v10
	s_delay_alu instid0(VALU_DEP_2) | instskip(SKIP_2) | instid1(VALU_DEP_3)
	v_min_i32_e32 v12, 31, v9
	v_cmp_gt_i32_e32 vcc_lo, 32, v9
	v_lshrrev_b32_e32 v8, 24, v8
	v_lshlrev_b32_e32 v12, 2, v12
	v_cndmask_b32_e32 v10, 3, v10, vcc_lo
	s_delay_alu instid0(VALU_DEP_3) | instskip(NEXT) | instid1(VALU_DEP_3)
	v_and_b32_e32 v8, 0x80, v8
	v_and_b32_e32 v12, 0xfc, v12
	s_delay_alu instid0(VALU_DEP_3) | instskip(SKIP_1) | instid1(VALU_DEP_2)
	v_and_b32_e32 v13, 3, v10
	v_or_b32_e32 v9, v9, v10
	v_or3_b32 v8, v12, v8, v13
	s_delay_alu instid0(VALU_DEP_2) | instskip(NEXT) | instid1(VALU_DEP_2)
	v_cmp_ne_u32_e32 vcc_lo, 0, v9
	v_cndmask_b32_e32 v121, 0, v8, vcc_lo
.LBB6_3453:                             ;   in Loop: Header=BB6_3265 Depth=4
	s_or_b32 exec_lo, exec_lo, s36
.LBB6_3454:                             ;   in Loop: Header=BB6_3265 Depth=4
	s_delay_alu instid0(SALU_CYCLE_1) | instskip(SKIP_3) | instid1(VALU_DEP_1)
	s_or_b32 exec_lo, exec_lo, s35
	v_lshrrev_b32_e32 v8, 24, v11
	s_mov_b32 s13, 0
	s_mov_b32 s36, exec_lo
                                        ; implicit-def: $sgpr35
	v_cmpx_lt_i16_e32 0x7f, v8
	s_xor_b32 s36, exec_lo, s36
	s_cbranch_execnz .LBB6_5124
; %bb.3455:                             ;   in Loop: Header=BB6_3265 Depth=4
	s_or_saveexec_b32 s36, s36
	v_mov_b32_e32 v9, s35
	s_xor_b32 exec_lo, exec_lo, s36
	s_cbranch_execnz .LBB6_5127
.LBB6_3456:                             ;   in Loop: Header=BB6_3265 Depth=4
	s_or_b32 exec_lo, exec_lo, s36
	s_and_saveexec_b32 s35, s13
	s_cbranch_execz .LBB6_3458
.LBB6_3457:                             ;   in Loop: Header=BB6_3265 Depth=4
	v_bfe_u32 v9, v11, 24, 2
	s_delay_alu instid0(VALU_DEP_1) | instskip(NEXT) | instid1(VALU_DEP_1)
	v_clz_i32_u32_e32 v10, v9
	v_min_u32_e32 v10, 32, v10
	s_delay_alu instid0(VALU_DEP_1) | instskip(SKIP_1) | instid1(VALU_DEP_2)
	v_subrev_nc_u32_e32 v12, 29, v10
	v_sub_nc_u32_e32 v10, 30, v10
	v_lshlrev_b32_e32 v8, v12, v8
	v_bfe_u32 v12, v11, 26, 5
	s_delay_alu instid0(VALU_DEP_2) | instskip(NEXT) | instid1(VALU_DEP_2)
	v_and_b32_e32 v8, 3, v8
	v_cmp_eq_u32_e32 vcc_lo, 0, v12
	v_cndmask_b32_e32 v10, v12, v10, vcc_lo
	s_delay_alu instid0(VALU_DEP_3) | instskip(NEXT) | instid1(VALU_DEP_2)
	v_dual_cndmask_b32 v8, v9, v8 :: v_dual_and_b32 v9, 0x80000000, v11
	v_lshl_add_u32 v10, v10, 23, 0x37800000
	s_delay_alu instid0(VALU_DEP_2) | instskip(NEXT) | instid1(VALU_DEP_1)
	v_lshlrev_b32_e32 v8, 21, v8
	v_or3_b32 v9, v9, v10, v8
.LBB6_3458:                             ;   in Loop: Header=BB6_3265 Depth=4
	s_or_b32 exec_lo, exec_lo, s35
	s_delay_alu instid0(VALU_DEP_1) | instskip(SKIP_1) | instid1(VALU_DEP_1)
	v_dual_mul_f32 v8, s34, v9 :: v_dual_mov_b32 v123, 0x8000
	s_mov_b32 s35, exec_lo
	v_and_b32_e32 v9, 0x7f800000, v8
	s_delay_alu instid0(VALU_DEP_1)
	v_cmpx_ne_u32_e32 0x7f800000, v9
	s_cbranch_execz .LBB6_3466
; %bb.3459:                             ;   in Loop: Header=BB6_3265 Depth=4
	v_mov_b32_e32 v123, 0
	s_mov_b32 s36, exec_lo
	v_cmpx_ne_u32_e32 0, v8
	s_cbranch_execz .LBB6_3465
; %bb.3460:                             ;   in Loop: Header=BB6_3265 Depth=4
	v_bfe_u32 v9, v8, 23, 8
	s_delay_alu instid0(VALU_DEP_1) | instskip(SKIP_1) | instid1(VALU_DEP_2)
	v_sub_nc_u32_e32 v11, 0x70, v9
	v_cmp_gt_u32_e32 vcc_lo, 0x71, v9
	v_dual_cndmask_b32 v11, 0, v11 :: v_dual_and_b32 v10, 0x7fffff, v8
	s_delay_alu instid0(VALU_DEP_1) | instskip(SKIP_2) | instid1(VALU_DEP_4)
	v_or_b32_e32 v12, 0x800000, v10
	v_cmp_eq_u32_e32 vcc_lo, 0, v9
	v_add_nc_u32_e32 v9, 0xffffff91, v9
	v_cndmask_b32_e64 v11, v11, 0x6f, vcc_lo
	s_delay_alu instid0(VALU_DEP_4) | instskip(NEXT) | instid1(VALU_DEP_3)
	v_cndmask_b32_e32 v10, v12, v10, vcc_lo
	v_cndmask_b32_e64 v9, v9, 0xffffff92, vcc_lo
	s_delay_alu instid0(VALU_DEP_3) | instskip(NEXT) | instid1(VALU_DEP_3)
	v_lshl_add_u32 v12, 0x200000, v11, -1
	v_lshrrev_b32_e32 v13, v11, v10
	v_lshlrev_b32_e64 v15, v11, 0x100000
	s_delay_alu instid0(VALU_DEP_4) | instskip(NEXT) | instid1(VALU_DEP_4)
	v_add_nc_u32_e32 v11, v11, v9
	v_and_b32_e32 v10, v12, v10
	s_delay_alu instid0(VALU_DEP_4) | instskip(NEXT) | instid1(VALU_DEP_2)
	v_bfe_u32 v14, v13, 21, 1
	v_cmp_eq_u32_e64 s13, v10, v15
	s_delay_alu instid0(VALU_DEP_2) | instskip(NEXT) | instid1(VALU_DEP_1)
	v_add_nc_u32_e32 v12, -1, v14
	v_cndmask_b32_e64 v10, 0, v12, s13
	v_lshrrev_b32_e32 v12, 23, v13
	s_mov_b32 s13, exec_lo
	s_delay_alu instid0(VALU_DEP_2) | instskip(NEXT) | instid1(VALU_DEP_2)
	v_add_nc_u32_e32 v10, v10, v13
	v_xor_b32_e32 v12, 1, v12
	s_delay_alu instid0(VALU_DEP_2) | instskip(NEXT) | instid1(VALU_DEP_1)
	v_and_b32_e32 v9, 0x1fffff, v10
	v_add_nc_u32_e32 v10, v9, v13
                                        ; implicit-def: $vgpr9
	s_delay_alu instid0(VALU_DEP_3)
	v_cmpx_ne_u32_e64 v11, v12
	s_xor_b32 s13, exec_lo, s13
; %bb.3461:                             ;   in Loop: Header=BB6_3265 Depth=4
	s_delay_alu instid0(VALU_DEP_2) | instskip(SKIP_2) | instid1(VALU_DEP_2)
	v_cmp_lt_u32_e32 vcc_lo, 0xffffff, v10
	v_sub_nc_u32_e32 v9, v11, v12
	v_cndmask_b32_e64 v11, 0, 1, vcc_lo
	v_add_co_ci_u32_e32 v9, vcc_lo, 0, v9, vcc_lo
	s_delay_alu instid0(VALU_DEP_2)
	v_lshrrev_b32_e32 v10, v11, v10
; %bb.3462:                             ;   in Loop: Header=BB6_3265 Depth=4
	s_and_not1_saveexec_b32 s13, s13
; %bb.3463:                             ;   in Loop: Header=BB6_3265 Depth=4
	s_delay_alu instid0(VALU_DEP_1)
	v_bfe_u32 v9, v10, 23, 1
; %bb.3464:                             ;   in Loop: Header=BB6_3265 Depth=4
	s_or_b32 exec_lo, exec_lo, s13
	v_lshrrev_b32_e32 v10, 21, v10
	s_delay_alu instid0(VALU_DEP_2) | instskip(SKIP_2) | instid1(VALU_DEP_2)
	v_cmp_gt_i32_e32 vcc_lo, 32, v9
	v_min_i32_e32 v11, 31, v9
	v_lshrrev_b32_e32 v8, 24, v8
	v_dual_cndmask_b32 v10, 3, v10 :: v_dual_lshlrev_b32 v11, 2, v11
	s_delay_alu instid0(VALU_DEP_2) | instskip(NEXT) | instid1(VALU_DEP_2)
	v_and_b32_e32 v8, 0x80, v8
	v_or_b32_e32 v9, v9, v10
	s_delay_alu instid0(VALU_DEP_3) | instskip(NEXT) | instid1(VALU_DEP_2)
	v_and_b32_e32 v11, 0xfc, v11
	v_cmp_ne_u32_e32 vcc_lo, 0, v9
	v_and_b32_e32 v12, 3, v10
	s_delay_alu instid0(VALU_DEP_1) | instskip(NEXT) | instid1(VALU_DEP_1)
	v_or3_b32 v8, v8, v11, v12
	v_lshlrev_b32_e32 v8, 8, v8
	s_delay_alu instid0(VALU_DEP_1)
	v_cndmask_b32_e32 v123, 0, v8, vcc_lo
.LBB6_3465:                             ;   in Loop: Header=BB6_3265 Depth=4
	s_or_b32 exec_lo, exec_lo, s36
.LBB6_3466:                             ;   in Loop: Header=BB6_3265 Depth=4
	s_delay_alu instid0(SALU_CYCLE_1)
	s_or_b32 exec_lo, exec_lo, s35
	global_load_b128 v[8:11], v[80:81], off offset:512 slc dlc
	s_mov_b32 s13, 0
	s_mov_b32 s36, exec_lo
                                        ; implicit-def: $sgpr35
	s_waitcnt vmcnt(0)
	v_and_b32_e32 v13, 0xff, v8
	s_delay_alu instid0(VALU_DEP_1)
	v_cmpx_lt_i16_e32 0x7f, v13
	s_xor_b32 s36, exec_lo, s36
	s_cbranch_execnz .LBB6_5128
; %bb.3467:                             ;   in Loop: Header=BB6_3265 Depth=4
	s_or_saveexec_b32 s36, s36
	v_mov_b32_e32 v12, s35
	s_xor_b32 exec_lo, exec_lo, s36
	s_cbranch_execnz .LBB6_5131
.LBB6_3468:                             ;   in Loop: Header=BB6_3265 Depth=4
	s_or_b32 exec_lo, exec_lo, s36
	s_and_saveexec_b32 s35, s13
	s_cbranch_execz .LBB6_3470
.LBB6_3469:                             ;   in Loop: Header=BB6_3265 Depth=4
	v_bfe_u32 v15, v8, 2, 5
	v_lshlrev_b32_e32 v16, 24, v8
	s_delay_alu instid0(VALU_DEP_2) | instskip(SKIP_1) | instid1(VALU_DEP_1)
	v_cmp_eq_u32_e32 vcc_lo, 0, v15
	v_and_b32_e32 v12, 3, v8
	v_clz_i32_u32_e32 v13, v12
	s_delay_alu instid0(VALU_DEP_1) | instskip(NEXT) | instid1(VALU_DEP_1)
	v_min_u32_e32 v13, 32, v13
	v_subrev_nc_u32_e32 v14, 29, v13
	v_sub_nc_u32_e32 v13, 30, v13
	s_delay_alu instid0(VALU_DEP_1) | instskip(NEXT) | instid1(VALU_DEP_1)
	v_dual_cndmask_b32 v13, v15, v13 :: v_dual_lshlrev_b32 v14, v14, v8
	v_and_b32_e32 v14, 3, v14
	s_delay_alu instid0(VALU_DEP_2) | instskip(NEXT) | instid1(VALU_DEP_2)
	v_lshl_add_u32 v13, v13, 23, 0x37800000
	v_cndmask_b32_e32 v12, v12, v14, vcc_lo
	v_and_b32_e32 v14, 0x80000000, v16
	s_delay_alu instid0(VALU_DEP_2) | instskip(NEXT) | instid1(VALU_DEP_1)
	v_lshlrev_b32_e32 v12, 21, v12
	v_or3_b32 v12, v14, v13, v12
.LBB6_3470:                             ;   in Loop: Header=BB6_3265 Depth=4
	s_or_b32 exec_lo, exec_lo, s35
	s_delay_alu instid0(VALU_DEP_1) | instskip(SKIP_2) | instid1(VALU_DEP_2)
	v_mul_f32_e32 v12, s34, v12
	v_mov_b32_e32 v122, 0x80
	s_mov_b32 s35, exec_lo
	v_and_b32_e32 v13, 0x7f800000, v12
	s_delay_alu instid0(VALU_DEP_1)
	v_cmpx_ne_u32_e32 0x7f800000, v13
	s_cbranch_execz .LBB6_3478
; %bb.3471:                             ;   in Loop: Header=BB6_3265 Depth=4
	v_mov_b32_e32 v122, 0
	s_mov_b32 s36, exec_lo
	v_cmpx_ne_u32_e32 0, v12
	s_cbranch_execz .LBB6_3477
; %bb.3472:                             ;   in Loop: Header=BB6_3265 Depth=4
	v_bfe_u32 v13, v12, 23, 8
	s_delay_alu instid0(VALU_DEP_1) | instskip(SKIP_1) | instid1(VALU_DEP_2)
	v_sub_nc_u32_e32 v15, 0x70, v13
	v_cmp_gt_u32_e32 vcc_lo, 0x71, v13
	v_dual_cndmask_b32 v15, 0, v15 :: v_dual_and_b32 v14, 0x7fffff, v12
	s_delay_alu instid0(VALU_DEP_1) | instskip(SKIP_2) | instid1(VALU_DEP_4)
	v_or_b32_e32 v16, 0x800000, v14
	v_cmp_eq_u32_e32 vcc_lo, 0, v13
	v_add_nc_u32_e32 v13, 0xffffff91, v13
	v_cndmask_b32_e64 v15, v15, 0x6f, vcc_lo
	s_delay_alu instid0(VALU_DEP_4) | instskip(NEXT) | instid1(VALU_DEP_3)
	v_cndmask_b32_e32 v14, v16, v14, vcc_lo
	v_cndmask_b32_e64 v13, v13, 0xffffff92, vcc_lo
	s_delay_alu instid0(VALU_DEP_3) | instskip(NEXT) | instid1(VALU_DEP_3)
	v_lshl_add_u32 v16, 0x200000, v15, -1
	v_lshrrev_b32_e32 v17, v15, v14
	v_lshlrev_b32_e64 v19, v15, 0x100000
	s_delay_alu instid0(VALU_DEP_4) | instskip(NEXT) | instid1(VALU_DEP_4)
	v_add_nc_u32_e32 v15, v15, v13
	v_and_b32_e32 v14, v16, v14
	s_delay_alu instid0(VALU_DEP_4) | instskip(NEXT) | instid1(VALU_DEP_2)
	v_bfe_u32 v18, v17, 21, 1
	v_cmp_eq_u32_e64 s13, v14, v19
	s_delay_alu instid0(VALU_DEP_2) | instskip(NEXT) | instid1(VALU_DEP_1)
	v_add_nc_u32_e32 v16, -1, v18
	v_cndmask_b32_e64 v14, 0, v16, s13
	v_lshrrev_b32_e32 v16, 23, v17
	s_mov_b32 s13, exec_lo
	s_delay_alu instid0(VALU_DEP_2) | instskip(NEXT) | instid1(VALU_DEP_2)
	v_add_nc_u32_e32 v14, v14, v17
	v_xor_b32_e32 v16, 1, v16
	s_delay_alu instid0(VALU_DEP_2) | instskip(NEXT) | instid1(VALU_DEP_1)
	v_and_b32_e32 v13, 0x1fffff, v14
	v_add_nc_u32_e32 v14, v13, v17
                                        ; implicit-def: $vgpr13
	s_delay_alu instid0(VALU_DEP_3)
	v_cmpx_ne_u32_e64 v15, v16
	s_xor_b32 s13, exec_lo, s13
; %bb.3473:                             ;   in Loop: Header=BB6_3265 Depth=4
	s_delay_alu instid0(VALU_DEP_2) | instskip(SKIP_2) | instid1(VALU_DEP_2)
	v_cmp_lt_u32_e32 vcc_lo, 0xffffff, v14
	v_sub_nc_u32_e32 v13, v15, v16
	v_cndmask_b32_e64 v15, 0, 1, vcc_lo
	v_add_co_ci_u32_e32 v13, vcc_lo, 0, v13, vcc_lo
	s_delay_alu instid0(VALU_DEP_2)
	v_lshrrev_b32_e32 v14, v15, v14
; %bb.3474:                             ;   in Loop: Header=BB6_3265 Depth=4
	s_and_not1_saveexec_b32 s13, s13
; %bb.3475:                             ;   in Loop: Header=BB6_3265 Depth=4
	s_delay_alu instid0(VALU_DEP_1)
	v_bfe_u32 v13, v14, 23, 1
; %bb.3476:                             ;   in Loop: Header=BB6_3265 Depth=4
	s_or_b32 exec_lo, exec_lo, s13
	v_lshrrev_b32_e32 v14, 21, v14
	s_delay_alu instid0(VALU_DEP_2) | instskip(SKIP_2) | instid1(VALU_DEP_4)
	v_cmp_gt_i32_e32 vcc_lo, 32, v13
	v_lshrrev_b32_e32 v12, 24, v12
	v_min_i32_e32 v15, 31, v13
	v_cndmask_b32_e32 v14, 3, v14, vcc_lo
	s_delay_alu instid0(VALU_DEP_3) | instskip(NEXT) | instid1(VALU_DEP_3)
	v_and_b32_e32 v12, 0x80, v12
	v_lshlrev_b32_e32 v15, 2, v15
	s_delay_alu instid0(VALU_DEP_3) | instskip(SKIP_1) | instid1(VALU_DEP_2)
	v_and_b32_e32 v16, 3, v14
	v_or_b32_e32 v13, v13, v14
	v_or3_b32 v12, v15, v12, v16
	s_delay_alu instid0(VALU_DEP_2) | instskip(NEXT) | instid1(VALU_DEP_2)
	v_cmp_ne_u32_e32 vcc_lo, 0, v13
	v_cndmask_b32_e32 v122, 0, v12, vcc_lo
.LBB6_3477:                             ;   in Loop: Header=BB6_3265 Depth=4
	s_or_b32 exec_lo, exec_lo, s36
.LBB6_3478:                             ;   in Loop: Header=BB6_3265 Depth=4
	s_delay_alu instid0(SALU_CYCLE_1) | instskip(SKIP_3) | instid1(VALU_DEP_1)
	s_or_b32 exec_lo, exec_lo, s35
	v_lshrrev_b16 v12, 8, v8
	s_mov_b32 s13, 0
	s_mov_b32 s36, exec_lo
                                        ; implicit-def: $sgpr35
	v_cmpx_lt_i16_e32 0x7f, v12
	s_xor_b32 s36, exec_lo, s36
	s_cbranch_execnz .LBB6_5132
; %bb.3479:                             ;   in Loop: Header=BB6_3265 Depth=4
	s_or_saveexec_b32 s36, s36
	v_mov_b32_e32 v13, s35
	s_xor_b32 exec_lo, exec_lo, s36
	s_cbranch_execnz .LBB6_5135
.LBB6_3480:                             ;   in Loop: Header=BB6_3265 Depth=4
	s_or_b32 exec_lo, exec_lo, s36
	s_and_saveexec_b32 s35, s13
	s_cbranch_execz .LBB6_3482
.LBB6_3481:                             ;   in Loop: Header=BB6_3265 Depth=4
	v_and_b32_e32 v13, 0xffff, v12
	v_lshlrev_b32_e32 v12, 24, v12
	s_delay_alu instid0(VALU_DEP_2) | instskip(NEXT) | instid1(VALU_DEP_2)
	v_and_b32_e32 v14, 3, v13
	v_and_b32_e32 v12, 0x80000000, v12
	s_delay_alu instid0(VALU_DEP_2) | instskip(NEXT) | instid1(VALU_DEP_1)
	v_clz_i32_u32_e32 v15, v14
	v_min_u32_e32 v15, 32, v15
	s_delay_alu instid0(VALU_DEP_1) | instskip(SKIP_1) | instid1(VALU_DEP_2)
	v_subrev_nc_u32_e32 v16, 29, v15
	v_sub_nc_u32_e32 v15, 30, v15
	v_lshlrev_b32_e32 v16, v16, v13
	v_bfe_u32 v13, v13, 2, 5
	s_delay_alu instid0(VALU_DEP_2) | instskip(NEXT) | instid1(VALU_DEP_2)
	v_and_b32_e32 v16, 3, v16
	v_cmp_eq_u32_e32 vcc_lo, 0, v13
	s_delay_alu instid0(VALU_DEP_2) | instskip(NEXT) | instid1(VALU_DEP_1)
	v_dual_cndmask_b32 v13, v13, v15 :: v_dual_cndmask_b32 v14, v14, v16
	v_lshl_add_u32 v13, v13, 23, 0x37800000
	s_delay_alu instid0(VALU_DEP_2) | instskip(NEXT) | instid1(VALU_DEP_1)
	v_lshlrev_b32_e32 v14, 21, v14
	v_or3_b32 v13, v12, v13, v14
.LBB6_3482:                             ;   in Loop: Header=BB6_3265 Depth=4
	s_or_b32 exec_lo, exec_lo, s35
	s_delay_alu instid0(VALU_DEP_1) | instskip(SKIP_1) | instid1(VALU_DEP_1)
	v_dual_mul_f32 v12, s34, v13 :: v_dual_mov_b32 v111, 0x80
	s_mov_b32 s35, exec_lo
	v_and_b32_e32 v13, 0x7f800000, v12
	s_delay_alu instid0(VALU_DEP_1)
	v_cmpx_ne_u32_e32 0x7f800000, v13
	s_cbranch_execz .LBB6_3490
; %bb.3483:                             ;   in Loop: Header=BB6_3265 Depth=4
	v_mov_b32_e32 v111, 0
	s_mov_b32 s36, exec_lo
	v_cmpx_ne_u32_e32 0, v12
	s_cbranch_execz .LBB6_3489
; %bb.3484:                             ;   in Loop: Header=BB6_3265 Depth=4
	v_bfe_u32 v13, v12, 23, 8
	s_delay_alu instid0(VALU_DEP_1) | instskip(SKIP_1) | instid1(VALU_DEP_2)
	v_sub_nc_u32_e32 v15, 0x70, v13
	v_cmp_gt_u32_e32 vcc_lo, 0x71, v13
	v_dual_cndmask_b32 v15, 0, v15 :: v_dual_and_b32 v14, 0x7fffff, v12
	s_delay_alu instid0(VALU_DEP_1) | instskip(SKIP_2) | instid1(VALU_DEP_4)
	v_or_b32_e32 v16, 0x800000, v14
	v_cmp_eq_u32_e32 vcc_lo, 0, v13
	v_add_nc_u32_e32 v13, 0xffffff91, v13
	v_cndmask_b32_e64 v15, v15, 0x6f, vcc_lo
	s_delay_alu instid0(VALU_DEP_4) | instskip(NEXT) | instid1(VALU_DEP_3)
	v_cndmask_b32_e32 v14, v16, v14, vcc_lo
	v_cndmask_b32_e64 v13, v13, 0xffffff92, vcc_lo
	s_delay_alu instid0(VALU_DEP_3) | instskip(NEXT) | instid1(VALU_DEP_3)
	v_lshl_add_u32 v16, 0x200000, v15, -1
	v_lshrrev_b32_e32 v17, v15, v14
	v_lshlrev_b32_e64 v19, v15, 0x100000
	s_delay_alu instid0(VALU_DEP_4) | instskip(NEXT) | instid1(VALU_DEP_4)
	v_add_nc_u32_e32 v15, v15, v13
	v_and_b32_e32 v14, v16, v14
	s_delay_alu instid0(VALU_DEP_4) | instskip(NEXT) | instid1(VALU_DEP_2)
	v_bfe_u32 v18, v17, 21, 1
	v_cmp_eq_u32_e64 s13, v14, v19
	s_delay_alu instid0(VALU_DEP_2) | instskip(NEXT) | instid1(VALU_DEP_1)
	v_add_nc_u32_e32 v16, -1, v18
	v_cndmask_b32_e64 v14, 0, v16, s13
	v_lshrrev_b32_e32 v16, 23, v17
	s_mov_b32 s13, exec_lo
	s_delay_alu instid0(VALU_DEP_2) | instskip(NEXT) | instid1(VALU_DEP_2)
	v_add_nc_u32_e32 v14, v14, v17
	v_xor_b32_e32 v16, 1, v16
	s_delay_alu instid0(VALU_DEP_2) | instskip(NEXT) | instid1(VALU_DEP_1)
	v_and_b32_e32 v13, 0x1fffff, v14
	v_add_nc_u32_e32 v14, v13, v17
                                        ; implicit-def: $vgpr13
	s_delay_alu instid0(VALU_DEP_3)
	v_cmpx_ne_u32_e64 v15, v16
	s_xor_b32 s13, exec_lo, s13
; %bb.3485:                             ;   in Loop: Header=BB6_3265 Depth=4
	s_delay_alu instid0(VALU_DEP_2) | instskip(SKIP_2) | instid1(VALU_DEP_2)
	v_cmp_lt_u32_e32 vcc_lo, 0xffffff, v14
	v_sub_nc_u32_e32 v13, v15, v16
	v_cndmask_b32_e64 v15, 0, 1, vcc_lo
	v_add_co_ci_u32_e32 v13, vcc_lo, 0, v13, vcc_lo
	s_delay_alu instid0(VALU_DEP_2)
	v_lshrrev_b32_e32 v14, v15, v14
; %bb.3486:                             ;   in Loop: Header=BB6_3265 Depth=4
	s_and_not1_saveexec_b32 s13, s13
; %bb.3487:                             ;   in Loop: Header=BB6_3265 Depth=4
	s_delay_alu instid0(VALU_DEP_1)
	v_bfe_u32 v13, v14, 23, 1
; %bb.3488:                             ;   in Loop: Header=BB6_3265 Depth=4
	s_or_b32 exec_lo, exec_lo, s13
	v_lshrrev_b32_e32 v14, 21, v14
	s_delay_alu instid0(VALU_DEP_2) | instskip(SKIP_2) | instid1(VALU_DEP_2)
	v_cmp_gt_i32_e32 vcc_lo, 32, v13
	v_min_i32_e32 v15, 31, v13
	v_lshrrev_b32_e32 v12, 24, v12
	v_dual_cndmask_b32 v14, 3, v14 :: v_dual_lshlrev_b32 v15, 2, v15
	s_delay_alu instid0(VALU_DEP_2) | instskip(NEXT) | instid1(VALU_DEP_2)
	v_and_b32_e32 v12, 0x80, v12
	v_or_b32_e32 v13, v13, v14
	s_delay_alu instid0(VALU_DEP_1) | instskip(SKIP_1) | instid1(VALU_DEP_1)
	v_cmp_ne_u32_e32 vcc_lo, 0, v13
	v_and_b32_e32 v16, 3, v14
	v_or3_b32 v12, v15, v12, v16
	s_delay_alu instid0(VALU_DEP_1)
	v_cndmask_b32_e32 v111, 0, v12, vcc_lo
.LBB6_3489:                             ;   in Loop: Header=BB6_3265 Depth=4
	s_or_b32 exec_lo, exec_lo, s36
.LBB6_3490:                             ;   in Loop: Header=BB6_3265 Depth=4
	s_delay_alu instid0(SALU_CYCLE_1) | instskip(SKIP_3) | instid1(VALU_DEP_1)
	s_or_b32 exec_lo, exec_lo, s35
	v_lshrrev_b32_e32 v12, 16, v8
	s_mov_b32 s13, 0
	s_mov_b32 s36, exec_lo
                                        ; implicit-def: $sgpr35
	v_and_b32_e32 v14, 0xff, v12
	s_delay_alu instid0(VALU_DEP_1)
	v_cmpx_lt_i16_e32 0x7f, v14
	s_xor_b32 s36, exec_lo, s36
	s_cbranch_execnz .LBB6_5136
; %bb.3491:                             ;   in Loop: Header=BB6_3265 Depth=4
	s_or_saveexec_b32 s36, s36
	v_mov_b32_e32 v13, s35
	s_xor_b32 exec_lo, exec_lo, s36
	s_cbranch_execnz .LBB6_5139
.LBB6_3492:                             ;   in Loop: Header=BB6_3265 Depth=4
	s_or_b32 exec_lo, exec_lo, s36
	s_and_saveexec_b32 s35, s13
	s_cbranch_execz .LBB6_3494
.LBB6_3493:                             ;   in Loop: Header=BB6_3265 Depth=4
	v_bfe_u32 v13, v8, 16, 2
	v_lshlrev_b32_e32 v16, 8, v8
	s_delay_alu instid0(VALU_DEP_2) | instskip(NEXT) | instid1(VALU_DEP_1)
	v_clz_i32_u32_e32 v14, v13
	v_min_u32_e32 v14, 32, v14
	s_delay_alu instid0(VALU_DEP_1) | instskip(SKIP_1) | instid1(VALU_DEP_2)
	v_subrev_nc_u32_e32 v15, 29, v14
	v_sub_nc_u32_e32 v14, 30, v14
	v_lshlrev_b32_e32 v12, v15, v12
	v_bfe_u32 v15, v8, 18, 5
	s_delay_alu instid0(VALU_DEP_2) | instskip(NEXT) | instid1(VALU_DEP_2)
	v_and_b32_e32 v12, 3, v12
	v_cmp_eq_u32_e32 vcc_lo, 0, v15
	v_cndmask_b32_e32 v14, v15, v14, vcc_lo
	s_delay_alu instid0(VALU_DEP_3) | instskip(SKIP_1) | instid1(VALU_DEP_3)
	v_cndmask_b32_e32 v12, v13, v12, vcc_lo
	v_and_b32_e32 v13, 0x80000000, v16
	v_lshl_add_u32 v14, v14, 23, 0x37800000
	s_delay_alu instid0(VALU_DEP_3) | instskip(NEXT) | instid1(VALU_DEP_1)
	v_lshlrev_b32_e32 v12, 21, v12
	v_or3_b32 v13, v13, v14, v12
.LBB6_3494:                             ;   in Loop: Header=BB6_3265 Depth=4
	s_or_b32 exec_lo, exec_lo, s35
	s_delay_alu instid0(VALU_DEP_1) | instskip(SKIP_2) | instid1(VALU_DEP_2)
	v_mul_f32_e32 v12, s34, v13
	v_mov_b32_e32 v110, 0x80
	s_mov_b32 s35, exec_lo
	v_and_b32_e32 v13, 0x7f800000, v12
	s_delay_alu instid0(VALU_DEP_1)
	v_cmpx_ne_u32_e32 0x7f800000, v13
	s_cbranch_execz .LBB6_3502
; %bb.3495:                             ;   in Loop: Header=BB6_3265 Depth=4
	v_mov_b32_e32 v110, 0
	s_mov_b32 s36, exec_lo
	v_cmpx_ne_u32_e32 0, v12
	s_cbranch_execz .LBB6_3501
; %bb.3496:                             ;   in Loop: Header=BB6_3265 Depth=4
	v_bfe_u32 v13, v12, 23, 8
	s_delay_alu instid0(VALU_DEP_1) | instskip(SKIP_1) | instid1(VALU_DEP_2)
	v_sub_nc_u32_e32 v15, 0x70, v13
	v_cmp_gt_u32_e32 vcc_lo, 0x71, v13
	v_dual_cndmask_b32 v15, 0, v15 :: v_dual_and_b32 v14, 0x7fffff, v12
	s_delay_alu instid0(VALU_DEP_1) | instskip(SKIP_2) | instid1(VALU_DEP_4)
	v_or_b32_e32 v16, 0x800000, v14
	v_cmp_eq_u32_e32 vcc_lo, 0, v13
	v_add_nc_u32_e32 v13, 0xffffff91, v13
	v_cndmask_b32_e64 v15, v15, 0x6f, vcc_lo
	s_delay_alu instid0(VALU_DEP_4) | instskip(NEXT) | instid1(VALU_DEP_3)
	v_cndmask_b32_e32 v14, v16, v14, vcc_lo
	v_cndmask_b32_e64 v13, v13, 0xffffff92, vcc_lo
	s_delay_alu instid0(VALU_DEP_3) | instskip(NEXT) | instid1(VALU_DEP_3)
	v_lshl_add_u32 v16, 0x200000, v15, -1
	v_lshrrev_b32_e32 v17, v15, v14
	v_lshlrev_b32_e64 v19, v15, 0x100000
	s_delay_alu instid0(VALU_DEP_4) | instskip(NEXT) | instid1(VALU_DEP_4)
	v_add_nc_u32_e32 v15, v15, v13
	v_and_b32_e32 v14, v16, v14
	s_delay_alu instid0(VALU_DEP_4) | instskip(NEXT) | instid1(VALU_DEP_2)
	v_bfe_u32 v18, v17, 21, 1
	v_cmp_eq_u32_e64 s13, v14, v19
	s_delay_alu instid0(VALU_DEP_2) | instskip(NEXT) | instid1(VALU_DEP_1)
	v_add_nc_u32_e32 v16, -1, v18
	v_cndmask_b32_e64 v14, 0, v16, s13
	v_lshrrev_b32_e32 v16, 23, v17
	s_mov_b32 s13, exec_lo
	s_delay_alu instid0(VALU_DEP_2) | instskip(NEXT) | instid1(VALU_DEP_2)
	v_add_nc_u32_e32 v14, v14, v17
	v_xor_b32_e32 v16, 1, v16
	s_delay_alu instid0(VALU_DEP_2) | instskip(NEXT) | instid1(VALU_DEP_1)
	v_and_b32_e32 v13, 0x1fffff, v14
	v_add_nc_u32_e32 v14, v13, v17
                                        ; implicit-def: $vgpr13
	s_delay_alu instid0(VALU_DEP_3)
	v_cmpx_ne_u32_e64 v15, v16
	s_xor_b32 s13, exec_lo, s13
; %bb.3497:                             ;   in Loop: Header=BB6_3265 Depth=4
	s_delay_alu instid0(VALU_DEP_2) | instskip(SKIP_2) | instid1(VALU_DEP_2)
	v_cmp_lt_u32_e32 vcc_lo, 0xffffff, v14
	v_sub_nc_u32_e32 v13, v15, v16
	v_cndmask_b32_e64 v15, 0, 1, vcc_lo
	v_add_co_ci_u32_e32 v13, vcc_lo, 0, v13, vcc_lo
	s_delay_alu instid0(VALU_DEP_2)
	v_lshrrev_b32_e32 v14, v15, v14
; %bb.3498:                             ;   in Loop: Header=BB6_3265 Depth=4
	s_and_not1_saveexec_b32 s13, s13
; %bb.3499:                             ;   in Loop: Header=BB6_3265 Depth=4
	s_delay_alu instid0(VALU_DEP_1)
	v_bfe_u32 v13, v14, 23, 1
; %bb.3500:                             ;   in Loop: Header=BB6_3265 Depth=4
	s_or_b32 exec_lo, exec_lo, s13
	v_lshrrev_b32_e32 v14, 21, v14
	s_delay_alu instid0(VALU_DEP_2) | instskip(SKIP_2) | instid1(VALU_DEP_4)
	v_cmp_gt_i32_e32 vcc_lo, 32, v13
	v_lshrrev_b32_e32 v12, 24, v12
	v_min_i32_e32 v15, 31, v13
	v_cndmask_b32_e32 v14, 3, v14, vcc_lo
	s_delay_alu instid0(VALU_DEP_3) | instskip(NEXT) | instid1(VALU_DEP_3)
	v_and_b32_e32 v12, 0x80, v12
	v_lshlrev_b32_e32 v15, 2, v15
	s_delay_alu instid0(VALU_DEP_3) | instskip(SKIP_1) | instid1(VALU_DEP_2)
	v_and_b32_e32 v16, 3, v14
	v_or_b32_e32 v13, v13, v14
	v_or3_b32 v12, v15, v12, v16
	s_delay_alu instid0(VALU_DEP_2) | instskip(NEXT) | instid1(VALU_DEP_2)
	v_cmp_ne_u32_e32 vcc_lo, 0, v13
	v_cndmask_b32_e32 v110, 0, v12, vcc_lo
.LBB6_3501:                             ;   in Loop: Header=BB6_3265 Depth=4
	s_or_b32 exec_lo, exec_lo, s36
.LBB6_3502:                             ;   in Loop: Header=BB6_3265 Depth=4
	s_delay_alu instid0(SALU_CYCLE_1) | instskip(SKIP_3) | instid1(VALU_DEP_1)
	s_or_b32 exec_lo, exec_lo, s35
	v_lshrrev_b32_e32 v12, 24, v8
	s_mov_b32 s13, 0
	s_mov_b32 s36, exec_lo
                                        ; implicit-def: $sgpr35
	v_cmpx_lt_i16_e32 0x7f, v12
	s_xor_b32 s36, exec_lo, s36
	s_cbranch_execnz .LBB6_5140
; %bb.3503:                             ;   in Loop: Header=BB6_3265 Depth=4
	s_or_saveexec_b32 s36, s36
	v_mov_b32_e32 v13, s35
	s_xor_b32 exec_lo, exec_lo, s36
	s_cbranch_execnz .LBB6_5143
.LBB6_3504:                             ;   in Loop: Header=BB6_3265 Depth=4
	s_or_b32 exec_lo, exec_lo, s36
	s_and_saveexec_b32 s35, s13
	s_cbranch_execz .LBB6_3506
.LBB6_3505:                             ;   in Loop: Header=BB6_3265 Depth=4
	v_bfe_u32 v13, v8, 24, 2
	s_delay_alu instid0(VALU_DEP_1) | instskip(NEXT) | instid1(VALU_DEP_1)
	v_clz_i32_u32_e32 v14, v13
	v_min_u32_e32 v14, 32, v14
	s_delay_alu instid0(VALU_DEP_1) | instskip(SKIP_1) | instid1(VALU_DEP_2)
	v_subrev_nc_u32_e32 v15, 29, v14
	v_sub_nc_u32_e32 v14, 30, v14
	v_lshlrev_b32_e32 v12, v15, v12
	v_bfe_u32 v15, v8, 26, 5
	v_and_b32_e32 v8, 0x80000000, v8
	s_delay_alu instid0(VALU_DEP_3) | instskip(NEXT) | instid1(VALU_DEP_3)
	v_and_b32_e32 v12, 3, v12
	v_cmp_eq_u32_e32 vcc_lo, 0, v15
	v_cndmask_b32_e32 v14, v15, v14, vcc_lo
	s_delay_alu instid0(VALU_DEP_3) | instskip(NEXT) | instid1(VALU_DEP_2)
	v_cndmask_b32_e32 v12, v13, v12, vcc_lo
	v_lshl_add_u32 v13, v14, 23, 0x37800000
	s_delay_alu instid0(VALU_DEP_2) | instskip(NEXT) | instid1(VALU_DEP_1)
	v_lshlrev_b32_e32 v12, 21, v12
	v_or3_b32 v13, v8, v13, v12
.LBB6_3506:                             ;   in Loop: Header=BB6_3265 Depth=4
	s_or_b32 exec_lo, exec_lo, s35
	s_delay_alu instid0(VALU_DEP_1) | instskip(SKIP_2) | instid1(VALU_DEP_2)
	v_mul_f32_e32 v8, s34, v13
	v_mov_b32_e32 v108, 0x80
	s_mov_b32 s35, exec_lo
	v_and_b32_e32 v12, 0x7f800000, v8
	s_delay_alu instid0(VALU_DEP_1)
	v_cmpx_ne_u32_e32 0x7f800000, v12
	s_cbranch_execz .LBB6_3514
; %bb.3507:                             ;   in Loop: Header=BB6_3265 Depth=4
	v_mov_b32_e32 v108, 0
	s_mov_b32 s36, exec_lo
	v_cmpx_ne_u32_e32 0, v8
	s_cbranch_execz .LBB6_3513
; %bb.3508:                             ;   in Loop: Header=BB6_3265 Depth=4
	v_bfe_u32 v12, v8, 23, 8
	s_delay_alu instid0(VALU_DEP_1) | instskip(SKIP_1) | instid1(VALU_DEP_2)
	v_sub_nc_u32_e32 v14, 0x70, v12
	v_cmp_gt_u32_e32 vcc_lo, 0x71, v12
	v_dual_cndmask_b32 v14, 0, v14 :: v_dual_and_b32 v13, 0x7fffff, v8
	s_delay_alu instid0(VALU_DEP_1) | instskip(SKIP_2) | instid1(VALU_DEP_4)
	v_or_b32_e32 v15, 0x800000, v13
	v_cmp_eq_u32_e32 vcc_lo, 0, v12
	v_add_nc_u32_e32 v12, 0xffffff91, v12
	v_cndmask_b32_e64 v14, v14, 0x6f, vcc_lo
	s_delay_alu instid0(VALU_DEP_4) | instskip(NEXT) | instid1(VALU_DEP_3)
	v_cndmask_b32_e32 v13, v15, v13, vcc_lo
	v_cndmask_b32_e64 v12, v12, 0xffffff92, vcc_lo
	s_delay_alu instid0(VALU_DEP_3) | instskip(NEXT) | instid1(VALU_DEP_3)
	v_lshl_add_u32 v15, 0x200000, v14, -1
	v_lshrrev_b32_e32 v16, v14, v13
	v_lshlrev_b32_e64 v18, v14, 0x100000
	s_delay_alu instid0(VALU_DEP_4) | instskip(NEXT) | instid1(VALU_DEP_4)
	v_add_nc_u32_e32 v14, v14, v12
	v_and_b32_e32 v13, v15, v13
	s_delay_alu instid0(VALU_DEP_4) | instskip(NEXT) | instid1(VALU_DEP_2)
	v_bfe_u32 v17, v16, 21, 1
	v_cmp_eq_u32_e64 s13, v13, v18
	s_delay_alu instid0(VALU_DEP_2) | instskip(NEXT) | instid1(VALU_DEP_1)
	v_add_nc_u32_e32 v15, -1, v17
	v_cndmask_b32_e64 v13, 0, v15, s13
	v_lshrrev_b32_e32 v15, 23, v16
	s_mov_b32 s13, exec_lo
	s_delay_alu instid0(VALU_DEP_2) | instskip(NEXT) | instid1(VALU_DEP_2)
	v_add_nc_u32_e32 v13, v13, v16
	v_xor_b32_e32 v15, 1, v15
	s_delay_alu instid0(VALU_DEP_2) | instskip(NEXT) | instid1(VALU_DEP_1)
	v_and_b32_e32 v12, 0x1fffff, v13
	v_add_nc_u32_e32 v13, v12, v16
                                        ; implicit-def: $vgpr12
	s_delay_alu instid0(VALU_DEP_3)
	v_cmpx_ne_u32_e64 v14, v15
	s_xor_b32 s13, exec_lo, s13
; %bb.3509:                             ;   in Loop: Header=BB6_3265 Depth=4
	s_delay_alu instid0(VALU_DEP_2) | instskip(SKIP_2) | instid1(VALU_DEP_2)
	v_cmp_lt_u32_e32 vcc_lo, 0xffffff, v13
	v_sub_nc_u32_e32 v12, v14, v15
	v_cndmask_b32_e64 v14, 0, 1, vcc_lo
	v_add_co_ci_u32_e32 v12, vcc_lo, 0, v12, vcc_lo
	s_delay_alu instid0(VALU_DEP_2)
	v_lshrrev_b32_e32 v13, v14, v13
; %bb.3510:                             ;   in Loop: Header=BB6_3265 Depth=4
	s_and_not1_saveexec_b32 s13, s13
; %bb.3511:                             ;   in Loop: Header=BB6_3265 Depth=4
	s_delay_alu instid0(VALU_DEP_1)
	v_bfe_u32 v12, v13, 23, 1
; %bb.3512:                             ;   in Loop: Header=BB6_3265 Depth=4
	s_or_b32 exec_lo, exec_lo, s13
	v_lshrrev_b32_e32 v13, 21, v13
	s_delay_alu instid0(VALU_DEP_2) | instskip(SKIP_2) | instid1(VALU_DEP_2)
	v_cmp_gt_i32_e32 vcc_lo, 32, v12
	v_lshrrev_b32_e32 v8, 24, v8
	v_min_i32_e32 v14, 31, v12
	v_dual_cndmask_b32 v13, 3, v13 :: v_dual_and_b32 v8, 0x80, v8
	s_delay_alu instid0(VALU_DEP_2) | instskip(NEXT) | instid1(VALU_DEP_2)
	v_lshlrev_b32_e32 v14, 2, v14
	v_or_b32_e32 v12, v12, v13
	s_delay_alu instid0(VALU_DEP_1) | instskip(SKIP_1) | instid1(VALU_DEP_1)
	v_cmp_ne_u32_e32 vcc_lo, 0, v12
	v_and_b32_e32 v15, 3, v13
	v_or3_b32 v8, v14, v8, v15
	s_delay_alu instid0(VALU_DEP_1)
	v_cndmask_b32_e32 v108, 0, v8, vcc_lo
.LBB6_3513:                             ;   in Loop: Header=BB6_3265 Depth=4
	s_or_b32 exec_lo, exec_lo, s36
.LBB6_3514:                             ;   in Loop: Header=BB6_3265 Depth=4
	s_delay_alu instid0(SALU_CYCLE_1) | instskip(SKIP_3) | instid1(VALU_DEP_1)
	s_or_b32 exec_lo, exec_lo, s35
	v_and_b32_e32 v12, 0xff, v9
	s_mov_b32 s13, 0
	s_mov_b32 s36, exec_lo
                                        ; implicit-def: $sgpr35
	v_cmpx_lt_i16_e32 0x7f, v12
	s_xor_b32 s36, exec_lo, s36
	s_cbranch_execnz .LBB6_5144
; %bb.3515:                             ;   in Loop: Header=BB6_3265 Depth=4
	s_or_saveexec_b32 s36, s36
	v_mov_b32_e32 v8, s35
	s_xor_b32 exec_lo, exec_lo, s36
	s_cbranch_execnz .LBB6_5147
.LBB6_3516:                             ;   in Loop: Header=BB6_3265 Depth=4
	s_or_b32 exec_lo, exec_lo, s36
	s_and_saveexec_b32 s35, s13
	s_cbranch_execz .LBB6_3518
.LBB6_3517:                             ;   in Loop: Header=BB6_3265 Depth=4
	v_and_b32_e32 v8, 3, v9
	v_bfe_u32 v14, v9, 2, 5
	v_lshlrev_b32_e32 v15, 24, v9
	s_delay_alu instid0(VALU_DEP_3) | instskip(NEXT) | instid1(VALU_DEP_3)
	v_clz_i32_u32_e32 v12, v8
	v_cmp_eq_u32_e32 vcc_lo, 0, v14
	s_delay_alu instid0(VALU_DEP_2) | instskip(NEXT) | instid1(VALU_DEP_1)
	v_min_u32_e32 v12, 32, v12
	v_subrev_nc_u32_e32 v13, 29, v12
	v_sub_nc_u32_e32 v12, 30, v12
	s_delay_alu instid0(VALU_DEP_1) | instskip(NEXT) | instid1(VALU_DEP_1)
	v_dual_cndmask_b32 v12, v14, v12 :: v_dual_lshlrev_b32 v13, v13, v9
	v_and_b32_e32 v13, 3, v13
	s_delay_alu instid0(VALU_DEP_2) | instskip(NEXT) | instid1(VALU_DEP_2)
	v_lshl_add_u32 v12, v12, 23, 0x37800000
	v_dual_cndmask_b32 v8, v8, v13 :: v_dual_and_b32 v13, 0x80000000, v15
	s_delay_alu instid0(VALU_DEP_1) | instskip(NEXT) | instid1(VALU_DEP_1)
	v_lshlrev_b32_e32 v8, 21, v8
	v_or3_b32 v8, v13, v12, v8
.LBB6_3518:                             ;   in Loop: Header=BB6_3265 Depth=4
	s_or_b32 exec_lo, exec_lo, s35
	s_delay_alu instid0(VALU_DEP_1) | instskip(SKIP_1) | instid1(VALU_DEP_1)
	v_dual_mul_f32 v8, s34, v8 :: v_dual_mov_b32 v107, 0x80
	s_mov_b32 s35, exec_lo
	v_and_b32_e32 v12, 0x7f800000, v8
	s_delay_alu instid0(VALU_DEP_1)
	v_cmpx_ne_u32_e32 0x7f800000, v12
	s_cbranch_execz .LBB6_3526
; %bb.3519:                             ;   in Loop: Header=BB6_3265 Depth=4
	v_mov_b32_e32 v107, 0
	s_mov_b32 s36, exec_lo
	v_cmpx_ne_u32_e32 0, v8
	s_cbranch_execz .LBB6_3525
; %bb.3520:                             ;   in Loop: Header=BB6_3265 Depth=4
	v_bfe_u32 v12, v8, 23, 8
	s_delay_alu instid0(VALU_DEP_1) | instskip(SKIP_1) | instid1(VALU_DEP_2)
	v_sub_nc_u32_e32 v14, 0x70, v12
	v_cmp_gt_u32_e32 vcc_lo, 0x71, v12
	v_dual_cndmask_b32 v14, 0, v14 :: v_dual_and_b32 v13, 0x7fffff, v8
	s_delay_alu instid0(VALU_DEP_1) | instskip(SKIP_2) | instid1(VALU_DEP_4)
	v_or_b32_e32 v15, 0x800000, v13
	v_cmp_eq_u32_e32 vcc_lo, 0, v12
	v_add_nc_u32_e32 v12, 0xffffff91, v12
	v_cndmask_b32_e64 v14, v14, 0x6f, vcc_lo
	s_delay_alu instid0(VALU_DEP_4) | instskip(NEXT) | instid1(VALU_DEP_3)
	v_cndmask_b32_e32 v13, v15, v13, vcc_lo
	v_cndmask_b32_e64 v12, v12, 0xffffff92, vcc_lo
	s_delay_alu instid0(VALU_DEP_3) | instskip(NEXT) | instid1(VALU_DEP_3)
	v_lshl_add_u32 v15, 0x200000, v14, -1
	v_lshrrev_b32_e32 v16, v14, v13
	v_lshlrev_b32_e64 v18, v14, 0x100000
	s_delay_alu instid0(VALU_DEP_4) | instskip(NEXT) | instid1(VALU_DEP_4)
	v_add_nc_u32_e32 v14, v14, v12
	v_and_b32_e32 v13, v15, v13
	s_delay_alu instid0(VALU_DEP_4) | instskip(NEXT) | instid1(VALU_DEP_2)
	v_bfe_u32 v17, v16, 21, 1
	v_cmp_eq_u32_e64 s13, v13, v18
	s_delay_alu instid0(VALU_DEP_2) | instskip(NEXT) | instid1(VALU_DEP_1)
	v_add_nc_u32_e32 v15, -1, v17
	v_cndmask_b32_e64 v13, 0, v15, s13
	v_lshrrev_b32_e32 v15, 23, v16
	s_mov_b32 s13, exec_lo
	s_delay_alu instid0(VALU_DEP_2) | instskip(NEXT) | instid1(VALU_DEP_2)
	v_add_nc_u32_e32 v13, v13, v16
	v_xor_b32_e32 v15, 1, v15
	s_delay_alu instid0(VALU_DEP_2) | instskip(NEXT) | instid1(VALU_DEP_1)
	v_and_b32_e32 v12, 0x1fffff, v13
	v_add_nc_u32_e32 v13, v12, v16
                                        ; implicit-def: $vgpr12
	s_delay_alu instid0(VALU_DEP_3)
	v_cmpx_ne_u32_e64 v14, v15
	s_xor_b32 s13, exec_lo, s13
; %bb.3521:                             ;   in Loop: Header=BB6_3265 Depth=4
	s_delay_alu instid0(VALU_DEP_2) | instskip(SKIP_2) | instid1(VALU_DEP_2)
	v_cmp_lt_u32_e32 vcc_lo, 0xffffff, v13
	v_sub_nc_u32_e32 v12, v14, v15
	v_cndmask_b32_e64 v14, 0, 1, vcc_lo
	v_add_co_ci_u32_e32 v12, vcc_lo, 0, v12, vcc_lo
	s_delay_alu instid0(VALU_DEP_2)
	v_lshrrev_b32_e32 v13, v14, v13
; %bb.3522:                             ;   in Loop: Header=BB6_3265 Depth=4
	s_and_not1_saveexec_b32 s13, s13
; %bb.3523:                             ;   in Loop: Header=BB6_3265 Depth=4
	s_delay_alu instid0(VALU_DEP_1)
	v_bfe_u32 v12, v13, 23, 1
; %bb.3524:                             ;   in Loop: Header=BB6_3265 Depth=4
	s_or_b32 exec_lo, exec_lo, s13
	v_lshrrev_b32_e32 v13, 21, v13
	s_delay_alu instid0(VALU_DEP_2) | instskip(SKIP_2) | instid1(VALU_DEP_2)
	v_cmp_gt_i32_e32 vcc_lo, 32, v12
	v_min_i32_e32 v14, 31, v12
	v_lshrrev_b32_e32 v8, 24, v8
	v_dual_cndmask_b32 v13, 3, v13 :: v_dual_lshlrev_b32 v14, 2, v14
	s_delay_alu instid0(VALU_DEP_2) | instskip(NEXT) | instid1(VALU_DEP_2)
	v_and_b32_e32 v8, 0x80, v8
	v_or_b32_e32 v12, v12, v13
	v_and_b32_e32 v15, 3, v13
	s_delay_alu instid0(VALU_DEP_2) | instskip(SKIP_1) | instid1(VALU_DEP_1)
	v_cmp_ne_u32_e32 vcc_lo, 0, v12
	v_and_b32_e32 v14, 0xfc, v14
	v_or3_b32 v8, v14, v8, v15
	s_delay_alu instid0(VALU_DEP_1)
	v_cndmask_b32_e32 v107, 0, v8, vcc_lo
.LBB6_3525:                             ;   in Loop: Header=BB6_3265 Depth=4
	s_or_b32 exec_lo, exec_lo, s36
.LBB6_3526:                             ;   in Loop: Header=BB6_3265 Depth=4
	s_delay_alu instid0(SALU_CYCLE_1) | instskip(SKIP_3) | instid1(VALU_DEP_1)
	s_or_b32 exec_lo, exec_lo, s35
	v_lshrrev_b16 v8, 8, v9
	s_mov_b32 s13, 0
	s_mov_b32 s36, exec_lo
                                        ; implicit-def: $sgpr35
	v_cmpx_lt_i16_e32 0x7f, v8
	s_xor_b32 s36, exec_lo, s36
	s_cbranch_execnz .LBB6_5148
; %bb.3527:                             ;   in Loop: Header=BB6_3265 Depth=4
	s_or_saveexec_b32 s36, s36
	v_mov_b32_e32 v12, s35
	s_xor_b32 exec_lo, exec_lo, s36
	s_cbranch_execnz .LBB6_5151
.LBB6_3528:                             ;   in Loop: Header=BB6_3265 Depth=4
	s_or_b32 exec_lo, exec_lo, s36
	s_and_saveexec_b32 s35, s13
	s_cbranch_execz .LBB6_3530
.LBB6_3529:                             ;   in Loop: Header=BB6_3265 Depth=4
	v_and_b32_e32 v12, 0xffff, v8
	v_lshlrev_b32_e32 v8, 24, v8
	s_delay_alu instid0(VALU_DEP_2) | instskip(NEXT) | instid1(VALU_DEP_2)
	v_and_b32_e32 v13, 3, v12
	v_and_b32_e32 v8, 0x80000000, v8
	s_delay_alu instid0(VALU_DEP_2) | instskip(NEXT) | instid1(VALU_DEP_1)
	v_clz_i32_u32_e32 v14, v13
	v_min_u32_e32 v14, 32, v14
	s_delay_alu instid0(VALU_DEP_1) | instskip(SKIP_1) | instid1(VALU_DEP_2)
	v_subrev_nc_u32_e32 v15, 29, v14
	v_sub_nc_u32_e32 v14, 30, v14
	v_lshlrev_b32_e32 v15, v15, v12
	v_bfe_u32 v12, v12, 2, 5
	s_delay_alu instid0(VALU_DEP_2) | instskip(NEXT) | instid1(VALU_DEP_2)
	v_and_b32_e32 v15, 3, v15
	v_cmp_eq_u32_e32 vcc_lo, 0, v12
	s_delay_alu instid0(VALU_DEP_2) | instskip(NEXT) | instid1(VALU_DEP_1)
	v_dual_cndmask_b32 v12, v12, v14 :: v_dual_cndmask_b32 v13, v13, v15
	v_lshl_add_u32 v12, v12, 23, 0x37800000
	s_delay_alu instid0(VALU_DEP_2) | instskip(NEXT) | instid1(VALU_DEP_1)
	v_lshlrev_b32_e32 v13, 21, v13
	v_or3_b32 v12, v8, v12, v13
.LBB6_3530:                             ;   in Loop: Header=BB6_3265 Depth=4
	s_or_b32 exec_lo, exec_lo, s35
	s_delay_alu instid0(VALU_DEP_1) | instskip(SKIP_2) | instid1(VALU_DEP_2)
	v_mul_f32_e32 v8, s34, v12
	v_mov_b32_e32 v120, 0x8000
	s_mov_b32 s35, exec_lo
	v_and_b32_e32 v12, 0x7f800000, v8
	s_delay_alu instid0(VALU_DEP_1)
	v_cmpx_ne_u32_e32 0x7f800000, v12
	s_cbranch_execz .LBB6_3538
; %bb.3531:                             ;   in Loop: Header=BB6_3265 Depth=4
	v_mov_b32_e32 v120, 0
	s_mov_b32 s36, exec_lo
	v_cmpx_ne_u32_e32 0, v8
	s_cbranch_execz .LBB6_3537
; %bb.3532:                             ;   in Loop: Header=BB6_3265 Depth=4
	v_bfe_u32 v12, v8, 23, 8
	s_delay_alu instid0(VALU_DEP_1) | instskip(SKIP_1) | instid1(VALU_DEP_2)
	v_sub_nc_u32_e32 v14, 0x70, v12
	v_cmp_gt_u32_e32 vcc_lo, 0x71, v12
	v_dual_cndmask_b32 v14, 0, v14 :: v_dual_and_b32 v13, 0x7fffff, v8
	s_delay_alu instid0(VALU_DEP_1) | instskip(SKIP_2) | instid1(VALU_DEP_4)
	v_or_b32_e32 v15, 0x800000, v13
	v_cmp_eq_u32_e32 vcc_lo, 0, v12
	v_add_nc_u32_e32 v12, 0xffffff91, v12
	v_cndmask_b32_e64 v14, v14, 0x6f, vcc_lo
	s_delay_alu instid0(VALU_DEP_4) | instskip(NEXT) | instid1(VALU_DEP_3)
	v_cndmask_b32_e32 v13, v15, v13, vcc_lo
	v_cndmask_b32_e64 v12, v12, 0xffffff92, vcc_lo
	s_delay_alu instid0(VALU_DEP_3) | instskip(NEXT) | instid1(VALU_DEP_3)
	v_lshl_add_u32 v15, 0x200000, v14, -1
	v_lshrrev_b32_e32 v16, v14, v13
	v_lshlrev_b32_e64 v18, v14, 0x100000
	s_delay_alu instid0(VALU_DEP_4) | instskip(NEXT) | instid1(VALU_DEP_4)
	v_add_nc_u32_e32 v14, v14, v12
	v_and_b32_e32 v13, v15, v13
	s_delay_alu instid0(VALU_DEP_4) | instskip(NEXT) | instid1(VALU_DEP_2)
	v_bfe_u32 v17, v16, 21, 1
	v_cmp_eq_u32_e64 s13, v13, v18
	s_delay_alu instid0(VALU_DEP_2) | instskip(NEXT) | instid1(VALU_DEP_1)
	v_add_nc_u32_e32 v15, -1, v17
	v_cndmask_b32_e64 v13, 0, v15, s13
	v_lshrrev_b32_e32 v15, 23, v16
	s_mov_b32 s13, exec_lo
	s_delay_alu instid0(VALU_DEP_2) | instskip(NEXT) | instid1(VALU_DEP_2)
	v_add_nc_u32_e32 v13, v13, v16
	v_xor_b32_e32 v15, 1, v15
	s_delay_alu instid0(VALU_DEP_2) | instskip(NEXT) | instid1(VALU_DEP_1)
	v_and_b32_e32 v12, 0x1fffff, v13
	v_add_nc_u32_e32 v13, v12, v16
                                        ; implicit-def: $vgpr12
	s_delay_alu instid0(VALU_DEP_3)
	v_cmpx_ne_u32_e64 v14, v15
	s_xor_b32 s13, exec_lo, s13
; %bb.3533:                             ;   in Loop: Header=BB6_3265 Depth=4
	s_delay_alu instid0(VALU_DEP_2) | instskip(SKIP_2) | instid1(VALU_DEP_2)
	v_cmp_lt_u32_e32 vcc_lo, 0xffffff, v13
	v_sub_nc_u32_e32 v12, v14, v15
	v_cndmask_b32_e64 v14, 0, 1, vcc_lo
	v_add_co_ci_u32_e32 v12, vcc_lo, 0, v12, vcc_lo
	s_delay_alu instid0(VALU_DEP_2)
	v_lshrrev_b32_e32 v13, v14, v13
; %bb.3534:                             ;   in Loop: Header=BB6_3265 Depth=4
	s_and_not1_saveexec_b32 s13, s13
; %bb.3535:                             ;   in Loop: Header=BB6_3265 Depth=4
	s_delay_alu instid0(VALU_DEP_1)
	v_bfe_u32 v12, v13, 23, 1
; %bb.3536:                             ;   in Loop: Header=BB6_3265 Depth=4
	s_or_b32 exec_lo, exec_lo, s13
	v_lshrrev_b32_e32 v13, 21, v13
	s_delay_alu instid0(VALU_DEP_2) | instskip(SKIP_2) | instid1(VALU_DEP_2)
	v_cmp_gt_i32_e32 vcc_lo, 32, v12
	v_min_i32_e32 v14, 31, v12
	v_lshrrev_b32_e32 v8, 24, v8
	v_dual_cndmask_b32 v13, 3, v13 :: v_dual_lshlrev_b32 v14, 2, v14
	s_delay_alu instid0(VALU_DEP_2) | instskip(NEXT) | instid1(VALU_DEP_2)
	v_and_b32_e32 v8, 0x80, v8
	v_or_b32_e32 v12, v12, v13
	s_delay_alu instid0(VALU_DEP_3) | instskip(NEXT) | instid1(VALU_DEP_2)
	v_and_b32_e32 v14, 0xfc, v14
	v_cmp_ne_u32_e32 vcc_lo, 0, v12
	v_and_b32_e32 v15, 3, v13
	s_delay_alu instid0(VALU_DEP_1) | instskip(NEXT) | instid1(VALU_DEP_1)
	v_or3_b32 v8, v8, v14, v15
	v_lshlrev_b32_e32 v8, 8, v8
	s_delay_alu instid0(VALU_DEP_1)
	v_cndmask_b32_e32 v120, 0, v8, vcc_lo
.LBB6_3537:                             ;   in Loop: Header=BB6_3265 Depth=4
	s_or_b32 exec_lo, exec_lo, s36
.LBB6_3538:                             ;   in Loop: Header=BB6_3265 Depth=4
	s_delay_alu instid0(SALU_CYCLE_1) | instskip(SKIP_3) | instid1(VALU_DEP_1)
	s_or_b32 exec_lo, exec_lo, s35
	v_lshrrev_b32_e32 v8, 16, v9
	s_mov_b32 s13, 0
	s_mov_b32 s36, exec_lo
                                        ; implicit-def: $sgpr35
	v_and_b32_e32 v13, 0xff, v8
	s_delay_alu instid0(VALU_DEP_1)
	v_cmpx_lt_i16_e32 0x7f, v13
	s_xor_b32 s36, exec_lo, s36
	s_cbranch_execnz .LBB6_5152
; %bb.3539:                             ;   in Loop: Header=BB6_3265 Depth=4
	s_or_saveexec_b32 s36, s36
	v_mov_b32_e32 v12, s35
	s_xor_b32 exec_lo, exec_lo, s36
	s_cbranch_execnz .LBB6_5155
.LBB6_3540:                             ;   in Loop: Header=BB6_3265 Depth=4
	s_or_b32 exec_lo, exec_lo, s36
	s_and_saveexec_b32 s35, s13
	s_cbranch_execz .LBB6_3542
.LBB6_3541:                             ;   in Loop: Header=BB6_3265 Depth=4
	v_bfe_u32 v12, v9, 16, 2
	s_delay_alu instid0(VALU_DEP_1) | instskip(NEXT) | instid1(VALU_DEP_1)
	v_clz_i32_u32_e32 v13, v12
	v_min_u32_e32 v13, 32, v13
	s_delay_alu instid0(VALU_DEP_1) | instskip(SKIP_1) | instid1(VALU_DEP_2)
	v_subrev_nc_u32_e32 v14, 29, v13
	v_sub_nc_u32_e32 v13, 30, v13
	v_lshlrev_b32_e32 v8, v14, v8
	v_bfe_u32 v14, v9, 18, 5
	s_delay_alu instid0(VALU_DEP_1) | instskip(NEXT) | instid1(VALU_DEP_3)
	v_cmp_eq_u32_e32 vcc_lo, 0, v14
	v_dual_cndmask_b32 v13, v14, v13 :: v_dual_and_b32 v8, 3, v8
	s_delay_alu instid0(VALU_DEP_1) | instskip(NEXT) | instid1(VALU_DEP_2)
	v_dual_cndmask_b32 v8, v12, v8 :: v_dual_lshlrev_b32 v15, 8, v9
	v_lshl_add_u32 v13, v13, 23, 0x37800000
	s_delay_alu instid0(VALU_DEP_2) | instskip(NEXT) | instid1(VALU_DEP_3)
	v_and_b32_e32 v12, 0x80000000, v15
	v_lshlrev_b32_e32 v8, 21, v8
	s_delay_alu instid0(VALU_DEP_1)
	v_or3_b32 v12, v12, v13, v8
.LBB6_3542:                             ;   in Loop: Header=BB6_3265 Depth=4
	s_or_b32 exec_lo, exec_lo, s35
	s_delay_alu instid0(VALU_DEP_1) | instskip(SKIP_1) | instid1(VALU_DEP_1)
	v_dual_mul_f32 v8, s34, v12 :: v_dual_mov_b32 v105, 0x80
	s_mov_b32 s35, exec_lo
	v_and_b32_e32 v12, 0x7f800000, v8
	s_delay_alu instid0(VALU_DEP_1)
	v_cmpx_ne_u32_e32 0x7f800000, v12
	s_cbranch_execz .LBB6_3550
; %bb.3543:                             ;   in Loop: Header=BB6_3265 Depth=4
	v_mov_b32_e32 v105, 0
	s_mov_b32 s36, exec_lo
	v_cmpx_ne_u32_e32 0, v8
	s_cbranch_execz .LBB6_3549
; %bb.3544:                             ;   in Loop: Header=BB6_3265 Depth=4
	v_bfe_u32 v12, v8, 23, 8
	s_delay_alu instid0(VALU_DEP_1) | instskip(SKIP_1) | instid1(VALU_DEP_2)
	v_sub_nc_u32_e32 v14, 0x70, v12
	v_cmp_gt_u32_e32 vcc_lo, 0x71, v12
	v_dual_cndmask_b32 v14, 0, v14 :: v_dual_and_b32 v13, 0x7fffff, v8
	s_delay_alu instid0(VALU_DEP_1) | instskip(SKIP_2) | instid1(VALU_DEP_4)
	v_or_b32_e32 v15, 0x800000, v13
	v_cmp_eq_u32_e32 vcc_lo, 0, v12
	v_add_nc_u32_e32 v12, 0xffffff91, v12
	v_cndmask_b32_e64 v14, v14, 0x6f, vcc_lo
	s_delay_alu instid0(VALU_DEP_4) | instskip(NEXT) | instid1(VALU_DEP_3)
	v_cndmask_b32_e32 v13, v15, v13, vcc_lo
	v_cndmask_b32_e64 v12, v12, 0xffffff92, vcc_lo
	s_delay_alu instid0(VALU_DEP_3) | instskip(NEXT) | instid1(VALU_DEP_3)
	v_lshl_add_u32 v15, 0x200000, v14, -1
	v_lshrrev_b32_e32 v16, v14, v13
	v_lshlrev_b32_e64 v18, v14, 0x100000
	s_delay_alu instid0(VALU_DEP_4) | instskip(NEXT) | instid1(VALU_DEP_4)
	v_add_nc_u32_e32 v14, v14, v12
	v_and_b32_e32 v13, v15, v13
	s_delay_alu instid0(VALU_DEP_4) | instskip(NEXT) | instid1(VALU_DEP_2)
	v_bfe_u32 v17, v16, 21, 1
	v_cmp_eq_u32_e64 s13, v13, v18
	s_delay_alu instid0(VALU_DEP_2) | instskip(NEXT) | instid1(VALU_DEP_1)
	v_add_nc_u32_e32 v15, -1, v17
	v_cndmask_b32_e64 v13, 0, v15, s13
	v_lshrrev_b32_e32 v15, 23, v16
	s_mov_b32 s13, exec_lo
	s_delay_alu instid0(VALU_DEP_2) | instskip(NEXT) | instid1(VALU_DEP_2)
	v_add_nc_u32_e32 v13, v13, v16
	v_xor_b32_e32 v15, 1, v15
	s_delay_alu instid0(VALU_DEP_2) | instskip(NEXT) | instid1(VALU_DEP_1)
	v_and_b32_e32 v12, 0x1fffff, v13
	v_add_nc_u32_e32 v13, v12, v16
                                        ; implicit-def: $vgpr12
	s_delay_alu instid0(VALU_DEP_3)
	v_cmpx_ne_u32_e64 v14, v15
	s_xor_b32 s13, exec_lo, s13
; %bb.3545:                             ;   in Loop: Header=BB6_3265 Depth=4
	s_delay_alu instid0(VALU_DEP_2) | instskip(SKIP_2) | instid1(VALU_DEP_2)
	v_cmp_lt_u32_e32 vcc_lo, 0xffffff, v13
	v_sub_nc_u32_e32 v12, v14, v15
	v_cndmask_b32_e64 v14, 0, 1, vcc_lo
	v_add_co_ci_u32_e32 v12, vcc_lo, 0, v12, vcc_lo
	s_delay_alu instid0(VALU_DEP_2)
	v_lshrrev_b32_e32 v13, v14, v13
; %bb.3546:                             ;   in Loop: Header=BB6_3265 Depth=4
	s_and_not1_saveexec_b32 s13, s13
; %bb.3547:                             ;   in Loop: Header=BB6_3265 Depth=4
	s_delay_alu instid0(VALU_DEP_1)
	v_bfe_u32 v12, v13, 23, 1
; %bb.3548:                             ;   in Loop: Header=BB6_3265 Depth=4
	s_or_b32 exec_lo, exec_lo, s13
	v_lshrrev_b32_e32 v13, 21, v13
	s_delay_alu instid0(VALU_DEP_2) | instskip(SKIP_2) | instid1(VALU_DEP_2)
	v_cmp_gt_i32_e32 vcc_lo, 32, v12
	v_min_i32_e32 v14, 31, v12
	v_lshrrev_b32_e32 v8, 24, v8
	v_dual_cndmask_b32 v13, 3, v13 :: v_dual_lshlrev_b32 v14, 2, v14
	s_delay_alu instid0(VALU_DEP_2) | instskip(NEXT) | instid1(VALU_DEP_2)
	v_and_b32_e32 v8, 0x80, v8
	v_or_b32_e32 v12, v12, v13
	v_and_b32_e32 v15, 3, v13
	s_delay_alu instid0(VALU_DEP_2) | instskip(SKIP_1) | instid1(VALU_DEP_1)
	v_cmp_ne_u32_e32 vcc_lo, 0, v12
	v_and_b32_e32 v14, 0xfc, v14
	v_or3_b32 v8, v14, v8, v15
	s_delay_alu instid0(VALU_DEP_1)
	v_cndmask_b32_e32 v105, 0, v8, vcc_lo
.LBB6_3549:                             ;   in Loop: Header=BB6_3265 Depth=4
	s_or_b32 exec_lo, exec_lo, s36
.LBB6_3550:                             ;   in Loop: Header=BB6_3265 Depth=4
	s_delay_alu instid0(SALU_CYCLE_1) | instskip(SKIP_3) | instid1(VALU_DEP_1)
	s_or_b32 exec_lo, exec_lo, s35
	v_lshrrev_b32_e32 v8, 24, v9
	s_mov_b32 s13, 0
	s_mov_b32 s36, exec_lo
                                        ; implicit-def: $sgpr35
	v_cmpx_lt_i16_e32 0x7f, v8
	s_xor_b32 s36, exec_lo, s36
	s_cbranch_execnz .LBB6_5156
; %bb.3551:                             ;   in Loop: Header=BB6_3265 Depth=4
	s_or_saveexec_b32 s36, s36
	v_mov_b32_e32 v12, s35
	s_xor_b32 exec_lo, exec_lo, s36
	s_cbranch_execnz .LBB6_5159
.LBB6_3552:                             ;   in Loop: Header=BB6_3265 Depth=4
	s_or_b32 exec_lo, exec_lo, s36
	s_and_saveexec_b32 s35, s13
	s_cbranch_execz .LBB6_3554
.LBB6_3553:                             ;   in Loop: Header=BB6_3265 Depth=4
	v_bfe_u32 v12, v9, 24, 2
	s_delay_alu instid0(VALU_DEP_1) | instskip(NEXT) | instid1(VALU_DEP_1)
	v_clz_i32_u32_e32 v13, v12
	v_min_u32_e32 v13, 32, v13
	s_delay_alu instid0(VALU_DEP_1) | instskip(SKIP_1) | instid1(VALU_DEP_2)
	v_subrev_nc_u32_e32 v14, 29, v13
	v_sub_nc_u32_e32 v13, 30, v13
	v_lshlrev_b32_e32 v8, v14, v8
	v_bfe_u32 v14, v9, 26, 5
	v_and_b32_e32 v9, 0x80000000, v9
	s_delay_alu instid0(VALU_DEP_2) | instskip(NEXT) | instid1(VALU_DEP_4)
	v_cmp_eq_u32_e32 vcc_lo, 0, v14
	v_dual_cndmask_b32 v13, v14, v13 :: v_dual_and_b32 v8, 3, v8
	s_delay_alu instid0(VALU_DEP_1) | instskip(NEXT) | instid1(VALU_DEP_2)
	v_cndmask_b32_e32 v8, v12, v8, vcc_lo
	v_lshl_add_u32 v12, v13, 23, 0x37800000
	s_delay_alu instid0(VALU_DEP_2) | instskip(NEXT) | instid1(VALU_DEP_1)
	v_lshlrev_b32_e32 v8, 21, v8
	v_or3_b32 v12, v9, v12, v8
.LBB6_3554:                             ;   in Loop: Header=BB6_3265 Depth=4
	s_or_b32 exec_lo, exec_lo, s35
	s_delay_alu instid0(VALU_DEP_1) | instskip(SKIP_1) | instid1(VALU_DEP_1)
	v_dual_mul_f32 v8, s34, v12 :: v_dual_mov_b32 v109, 0x8000
	s_mov_b32 s35, exec_lo
	v_and_b32_e32 v9, 0x7f800000, v8
	s_delay_alu instid0(VALU_DEP_1)
	v_cmpx_ne_u32_e32 0x7f800000, v9
	s_cbranch_execz .LBB6_3562
; %bb.3555:                             ;   in Loop: Header=BB6_3265 Depth=4
	v_mov_b32_e32 v109, 0
	s_mov_b32 s36, exec_lo
	v_cmpx_ne_u32_e32 0, v8
	s_cbranch_execz .LBB6_3561
; %bb.3556:                             ;   in Loop: Header=BB6_3265 Depth=4
	v_bfe_u32 v9, v8, 23, 8
	s_delay_alu instid0(VALU_DEP_1) | instskip(SKIP_1) | instid1(VALU_DEP_2)
	v_sub_nc_u32_e32 v13, 0x70, v9
	v_cmp_gt_u32_e32 vcc_lo, 0x71, v9
	v_dual_cndmask_b32 v13, 0, v13 :: v_dual_and_b32 v12, 0x7fffff, v8
	s_delay_alu instid0(VALU_DEP_1) | instskip(SKIP_2) | instid1(VALU_DEP_4)
	v_or_b32_e32 v14, 0x800000, v12
	v_cmp_eq_u32_e32 vcc_lo, 0, v9
	v_add_nc_u32_e32 v9, 0xffffff91, v9
	v_cndmask_b32_e64 v13, v13, 0x6f, vcc_lo
	s_delay_alu instid0(VALU_DEP_4) | instskip(NEXT) | instid1(VALU_DEP_3)
	v_cndmask_b32_e32 v12, v14, v12, vcc_lo
	v_cndmask_b32_e64 v9, v9, 0xffffff92, vcc_lo
	s_delay_alu instid0(VALU_DEP_3) | instskip(NEXT) | instid1(VALU_DEP_3)
	v_lshl_add_u32 v14, 0x200000, v13, -1
	v_lshrrev_b32_e32 v15, v13, v12
	v_lshlrev_b32_e64 v17, v13, 0x100000
	s_delay_alu instid0(VALU_DEP_4) | instskip(NEXT) | instid1(VALU_DEP_4)
	v_add_nc_u32_e32 v13, v13, v9
	v_and_b32_e32 v12, v14, v12
	s_delay_alu instid0(VALU_DEP_4) | instskip(NEXT) | instid1(VALU_DEP_2)
	v_bfe_u32 v16, v15, 21, 1
	v_cmp_eq_u32_e64 s13, v12, v17
	s_delay_alu instid0(VALU_DEP_2) | instskip(NEXT) | instid1(VALU_DEP_1)
	v_add_nc_u32_e32 v14, -1, v16
	v_cndmask_b32_e64 v12, 0, v14, s13
	v_lshrrev_b32_e32 v14, 23, v15
	s_mov_b32 s13, exec_lo
	s_delay_alu instid0(VALU_DEP_2) | instskip(NEXT) | instid1(VALU_DEP_2)
	v_add_nc_u32_e32 v12, v12, v15
	v_xor_b32_e32 v14, 1, v14
	s_delay_alu instid0(VALU_DEP_2) | instskip(NEXT) | instid1(VALU_DEP_1)
	v_and_b32_e32 v9, 0x1fffff, v12
	v_add_nc_u32_e32 v12, v9, v15
                                        ; implicit-def: $vgpr9
	s_delay_alu instid0(VALU_DEP_3)
	v_cmpx_ne_u32_e64 v13, v14
	s_xor_b32 s13, exec_lo, s13
; %bb.3557:                             ;   in Loop: Header=BB6_3265 Depth=4
	s_delay_alu instid0(VALU_DEP_2) | instskip(SKIP_2) | instid1(VALU_DEP_2)
	v_cmp_lt_u32_e32 vcc_lo, 0xffffff, v12
	v_sub_nc_u32_e32 v9, v13, v14
	v_cndmask_b32_e64 v13, 0, 1, vcc_lo
	v_add_co_ci_u32_e32 v9, vcc_lo, 0, v9, vcc_lo
	s_delay_alu instid0(VALU_DEP_2)
	v_lshrrev_b32_e32 v12, v13, v12
; %bb.3558:                             ;   in Loop: Header=BB6_3265 Depth=4
	s_and_not1_saveexec_b32 s13, s13
; %bb.3559:                             ;   in Loop: Header=BB6_3265 Depth=4
	s_delay_alu instid0(VALU_DEP_1)
	v_bfe_u32 v9, v12, 23, 1
; %bb.3560:                             ;   in Loop: Header=BB6_3265 Depth=4
	s_or_b32 exec_lo, exec_lo, s13
	v_lshrrev_b32_e32 v12, 21, v12
	s_delay_alu instid0(VALU_DEP_2) | instskip(SKIP_2) | instid1(VALU_DEP_3)
	v_min_i32_e32 v13, 31, v9
	v_cmp_gt_i32_e32 vcc_lo, 32, v9
	v_lshrrev_b32_e32 v8, 24, v8
	v_dual_cndmask_b32 v12, 3, v12 :: v_dual_lshlrev_b32 v13, 2, v13
	s_delay_alu instid0(VALU_DEP_2) | instskip(NEXT) | instid1(VALU_DEP_2)
	v_and_b32_e32 v8, 0x80, v8
	v_and_b32_e32 v13, 0xfc, v13
	s_delay_alu instid0(VALU_DEP_3) | instskip(SKIP_1) | instid1(VALU_DEP_2)
	v_and_b32_e32 v14, 3, v12
	v_or_b32_e32 v9, v9, v12
	v_or3_b32 v8, v8, v13, v14
	s_delay_alu instid0(VALU_DEP_2) | instskip(NEXT) | instid1(VALU_DEP_2)
	v_cmp_ne_u32_e32 vcc_lo, 0, v9
	v_lshlrev_b32_e32 v8, 8, v8
	s_delay_alu instid0(VALU_DEP_1)
	v_cndmask_b32_e32 v109, 0, v8, vcc_lo
.LBB6_3561:                             ;   in Loop: Header=BB6_3265 Depth=4
	s_or_b32 exec_lo, exec_lo, s36
.LBB6_3562:                             ;   in Loop: Header=BB6_3265 Depth=4
	s_delay_alu instid0(SALU_CYCLE_1) | instskip(SKIP_3) | instid1(VALU_DEP_1)
	s_or_b32 exec_lo, exec_lo, s35
	v_and_b32_e32 v9, 0xff, v10
	s_mov_b32 s13, 0
	s_mov_b32 s36, exec_lo
                                        ; implicit-def: $sgpr35
	v_cmpx_lt_i16_e32 0x7f, v9
	s_xor_b32 s36, exec_lo, s36
	s_cbranch_execnz .LBB6_5160
; %bb.3563:                             ;   in Loop: Header=BB6_3265 Depth=4
	s_or_saveexec_b32 s36, s36
	v_mov_b32_e32 v8, s35
	s_xor_b32 exec_lo, exec_lo, s36
	s_cbranch_execnz .LBB6_5163
.LBB6_3564:                             ;   in Loop: Header=BB6_3265 Depth=4
	s_or_b32 exec_lo, exec_lo, s36
	s_and_saveexec_b32 s35, s13
	s_cbranch_execz .LBB6_3566
.LBB6_3565:                             ;   in Loop: Header=BB6_3265 Depth=4
	v_bfe_u32 v13, v10, 2, 5
	v_lshlrev_b32_e32 v14, 24, v10
	s_delay_alu instid0(VALU_DEP_2) | instskip(SKIP_1) | instid1(VALU_DEP_1)
	v_cmp_eq_u32_e32 vcc_lo, 0, v13
	v_and_b32_e32 v8, 3, v10
	v_clz_i32_u32_e32 v9, v8
	s_delay_alu instid0(VALU_DEP_1) | instskip(NEXT) | instid1(VALU_DEP_1)
	v_min_u32_e32 v9, 32, v9
	v_subrev_nc_u32_e32 v12, 29, v9
	v_sub_nc_u32_e32 v9, 30, v9
	s_delay_alu instid0(VALU_DEP_1) | instskip(NEXT) | instid1(VALU_DEP_1)
	v_dual_cndmask_b32 v9, v13, v9 :: v_dual_lshlrev_b32 v12, v12, v10
	v_and_b32_e32 v12, 3, v12
	s_delay_alu instid0(VALU_DEP_2) | instskip(NEXT) | instid1(VALU_DEP_2)
	v_lshl_add_u32 v9, v9, 23, 0x37800000
	v_cndmask_b32_e32 v8, v8, v12, vcc_lo
	v_and_b32_e32 v12, 0x80000000, v14
	s_delay_alu instid0(VALU_DEP_2) | instskip(NEXT) | instid1(VALU_DEP_1)
	v_lshlrev_b32_e32 v8, 21, v8
	v_or3_b32 v8, v12, v9, v8
.LBB6_3566:                             ;   in Loop: Header=BB6_3265 Depth=4
	s_or_b32 exec_lo, exec_lo, s35
	s_delay_alu instid0(VALU_DEP_1) | instskip(SKIP_1) | instid1(VALU_DEP_1)
	v_dual_mul_f32 v8, s34, v8 :: v_dual_mov_b32 v95, 0x80
	s_mov_b32 s35, exec_lo
	v_and_b32_e32 v9, 0x7f800000, v8
	s_delay_alu instid0(VALU_DEP_1)
	v_cmpx_ne_u32_e32 0x7f800000, v9
	s_cbranch_execz .LBB6_3574
; %bb.3567:                             ;   in Loop: Header=BB6_3265 Depth=4
	v_mov_b32_e32 v95, 0
	s_mov_b32 s36, exec_lo
	v_cmpx_ne_u32_e32 0, v8
	s_cbranch_execz .LBB6_3573
; %bb.3568:                             ;   in Loop: Header=BB6_3265 Depth=4
	v_bfe_u32 v9, v8, 23, 8
	s_delay_alu instid0(VALU_DEP_1) | instskip(SKIP_1) | instid1(VALU_DEP_2)
	v_sub_nc_u32_e32 v13, 0x70, v9
	v_cmp_gt_u32_e32 vcc_lo, 0x71, v9
	v_dual_cndmask_b32 v13, 0, v13 :: v_dual_and_b32 v12, 0x7fffff, v8
	s_delay_alu instid0(VALU_DEP_1) | instskip(SKIP_2) | instid1(VALU_DEP_4)
	v_or_b32_e32 v14, 0x800000, v12
	v_cmp_eq_u32_e32 vcc_lo, 0, v9
	v_add_nc_u32_e32 v9, 0xffffff91, v9
	v_cndmask_b32_e64 v13, v13, 0x6f, vcc_lo
	s_delay_alu instid0(VALU_DEP_4) | instskip(NEXT) | instid1(VALU_DEP_3)
	v_cndmask_b32_e32 v12, v14, v12, vcc_lo
	v_cndmask_b32_e64 v9, v9, 0xffffff92, vcc_lo
	s_delay_alu instid0(VALU_DEP_3) | instskip(NEXT) | instid1(VALU_DEP_3)
	v_lshl_add_u32 v14, 0x200000, v13, -1
	v_lshrrev_b32_e32 v15, v13, v12
	v_lshlrev_b32_e64 v17, v13, 0x100000
	s_delay_alu instid0(VALU_DEP_4) | instskip(NEXT) | instid1(VALU_DEP_4)
	v_add_nc_u32_e32 v13, v13, v9
	v_and_b32_e32 v12, v14, v12
	s_delay_alu instid0(VALU_DEP_4) | instskip(NEXT) | instid1(VALU_DEP_2)
	v_bfe_u32 v16, v15, 21, 1
	v_cmp_eq_u32_e64 s13, v12, v17
	s_delay_alu instid0(VALU_DEP_2) | instskip(NEXT) | instid1(VALU_DEP_1)
	v_add_nc_u32_e32 v14, -1, v16
	v_cndmask_b32_e64 v12, 0, v14, s13
	v_lshrrev_b32_e32 v14, 23, v15
	s_mov_b32 s13, exec_lo
	s_delay_alu instid0(VALU_DEP_2) | instskip(NEXT) | instid1(VALU_DEP_2)
	v_add_nc_u32_e32 v12, v12, v15
	v_xor_b32_e32 v14, 1, v14
	s_delay_alu instid0(VALU_DEP_2) | instskip(NEXT) | instid1(VALU_DEP_1)
	v_and_b32_e32 v9, 0x1fffff, v12
	v_add_nc_u32_e32 v12, v9, v15
                                        ; implicit-def: $vgpr9
	s_delay_alu instid0(VALU_DEP_3)
	v_cmpx_ne_u32_e64 v13, v14
	s_xor_b32 s13, exec_lo, s13
; %bb.3569:                             ;   in Loop: Header=BB6_3265 Depth=4
	s_delay_alu instid0(VALU_DEP_2) | instskip(SKIP_2) | instid1(VALU_DEP_2)
	v_cmp_lt_u32_e32 vcc_lo, 0xffffff, v12
	v_sub_nc_u32_e32 v9, v13, v14
	v_cndmask_b32_e64 v13, 0, 1, vcc_lo
	v_add_co_ci_u32_e32 v9, vcc_lo, 0, v9, vcc_lo
	s_delay_alu instid0(VALU_DEP_2)
	v_lshrrev_b32_e32 v12, v13, v12
; %bb.3570:                             ;   in Loop: Header=BB6_3265 Depth=4
	s_and_not1_saveexec_b32 s13, s13
; %bb.3571:                             ;   in Loop: Header=BB6_3265 Depth=4
	s_delay_alu instid0(VALU_DEP_1)
	v_bfe_u32 v9, v12, 23, 1
; %bb.3572:                             ;   in Loop: Header=BB6_3265 Depth=4
	s_or_b32 exec_lo, exec_lo, s13
	v_lshrrev_b32_e32 v12, 21, v12
	s_delay_alu instid0(VALU_DEP_2) | instskip(SKIP_2) | instid1(VALU_DEP_4)
	v_cmp_gt_i32_e32 vcc_lo, 32, v9
	v_lshrrev_b32_e32 v8, 24, v8
	v_min_i32_e32 v13, 31, v9
	v_cndmask_b32_e32 v12, 3, v12, vcc_lo
	s_delay_alu instid0(VALU_DEP_3) | instskip(NEXT) | instid1(VALU_DEP_3)
	v_and_b32_e32 v8, 0x80, v8
	v_lshlrev_b32_e32 v13, 2, v13
	s_delay_alu instid0(VALU_DEP_3) | instskip(SKIP_1) | instid1(VALU_DEP_2)
	v_and_b32_e32 v14, 3, v12
	v_or_b32_e32 v9, v9, v12
	v_or3_b32 v8, v13, v8, v14
	s_delay_alu instid0(VALU_DEP_2) | instskip(NEXT) | instid1(VALU_DEP_2)
	v_cmp_ne_u32_e32 vcc_lo, 0, v9
	v_cndmask_b32_e32 v95, 0, v8, vcc_lo
.LBB6_3573:                             ;   in Loop: Header=BB6_3265 Depth=4
	s_or_b32 exec_lo, exec_lo, s36
.LBB6_3574:                             ;   in Loop: Header=BB6_3265 Depth=4
	s_delay_alu instid0(SALU_CYCLE_1) | instskip(SKIP_3) | instid1(VALU_DEP_1)
	s_or_b32 exec_lo, exec_lo, s35
	v_lshrrev_b16 v8, 8, v10
	s_mov_b32 s13, 0
	s_mov_b32 s36, exec_lo
                                        ; implicit-def: $sgpr35
	v_cmpx_lt_i16_e32 0x7f, v8
	s_xor_b32 s36, exec_lo, s36
	s_cbranch_execnz .LBB6_5164
; %bb.3575:                             ;   in Loop: Header=BB6_3265 Depth=4
	s_or_saveexec_b32 s36, s36
	v_mov_b32_e32 v9, s35
	s_xor_b32 exec_lo, exec_lo, s36
	s_cbranch_execnz .LBB6_5167
.LBB6_3576:                             ;   in Loop: Header=BB6_3265 Depth=4
	s_or_b32 exec_lo, exec_lo, s36
	s_and_saveexec_b32 s35, s13
	s_cbranch_execz .LBB6_3578
.LBB6_3577:                             ;   in Loop: Header=BB6_3265 Depth=4
	v_and_b32_e32 v9, 0xffff, v8
	v_lshlrev_b32_e32 v8, 24, v8
	s_delay_alu instid0(VALU_DEP_2) | instskip(NEXT) | instid1(VALU_DEP_2)
	v_and_b32_e32 v12, 3, v9
	v_and_b32_e32 v8, 0x80000000, v8
	s_delay_alu instid0(VALU_DEP_2) | instskip(NEXT) | instid1(VALU_DEP_1)
	v_clz_i32_u32_e32 v13, v12
	v_min_u32_e32 v13, 32, v13
	s_delay_alu instid0(VALU_DEP_1) | instskip(SKIP_1) | instid1(VALU_DEP_2)
	v_subrev_nc_u32_e32 v14, 29, v13
	v_sub_nc_u32_e32 v13, 30, v13
	v_lshlrev_b32_e32 v14, v14, v9
	v_bfe_u32 v9, v9, 2, 5
	s_delay_alu instid0(VALU_DEP_1) | instskip(NEXT) | instid1(VALU_DEP_3)
	v_cmp_eq_u32_e32 vcc_lo, 0, v9
	v_dual_cndmask_b32 v9, v9, v13 :: v_dual_and_b32 v14, 3, v14
	s_delay_alu instid0(VALU_DEP_1) | instskip(NEXT) | instid1(VALU_DEP_2)
	v_cndmask_b32_e32 v12, v12, v14, vcc_lo
	v_lshl_add_u32 v9, v9, 23, 0x37800000
	s_delay_alu instid0(VALU_DEP_2) | instskip(NEXT) | instid1(VALU_DEP_1)
	v_lshlrev_b32_e32 v12, 21, v12
	v_or3_b32 v9, v8, v9, v12
.LBB6_3578:                             ;   in Loop: Header=BB6_3265 Depth=4
	s_or_b32 exec_lo, exec_lo, s35
	s_delay_alu instid0(VALU_DEP_1) | instskip(SKIP_1) | instid1(VALU_DEP_1)
	v_dual_mul_f32 v8, s34, v9 :: v_dual_mov_b32 v93, 0x80
	s_mov_b32 s35, exec_lo
	v_and_b32_e32 v9, 0x7f800000, v8
	s_delay_alu instid0(VALU_DEP_1)
	v_cmpx_ne_u32_e32 0x7f800000, v9
	s_cbranch_execz .LBB6_3586
; %bb.3579:                             ;   in Loop: Header=BB6_3265 Depth=4
	v_mov_b32_e32 v93, 0
	s_mov_b32 s36, exec_lo
	v_cmpx_ne_u32_e32 0, v8
	s_cbranch_execz .LBB6_3585
; %bb.3580:                             ;   in Loop: Header=BB6_3265 Depth=4
	v_bfe_u32 v9, v8, 23, 8
	s_delay_alu instid0(VALU_DEP_1) | instskip(SKIP_1) | instid1(VALU_DEP_2)
	v_sub_nc_u32_e32 v13, 0x70, v9
	v_cmp_gt_u32_e32 vcc_lo, 0x71, v9
	v_dual_cndmask_b32 v13, 0, v13 :: v_dual_and_b32 v12, 0x7fffff, v8
	s_delay_alu instid0(VALU_DEP_1) | instskip(SKIP_2) | instid1(VALU_DEP_4)
	v_or_b32_e32 v14, 0x800000, v12
	v_cmp_eq_u32_e32 vcc_lo, 0, v9
	v_add_nc_u32_e32 v9, 0xffffff91, v9
	v_cndmask_b32_e64 v13, v13, 0x6f, vcc_lo
	s_delay_alu instid0(VALU_DEP_4) | instskip(NEXT) | instid1(VALU_DEP_3)
	v_cndmask_b32_e32 v12, v14, v12, vcc_lo
	v_cndmask_b32_e64 v9, v9, 0xffffff92, vcc_lo
	s_delay_alu instid0(VALU_DEP_3) | instskip(NEXT) | instid1(VALU_DEP_3)
	v_lshl_add_u32 v14, 0x200000, v13, -1
	v_lshrrev_b32_e32 v15, v13, v12
	v_lshlrev_b32_e64 v17, v13, 0x100000
	s_delay_alu instid0(VALU_DEP_4) | instskip(NEXT) | instid1(VALU_DEP_4)
	v_add_nc_u32_e32 v13, v13, v9
	v_and_b32_e32 v12, v14, v12
	s_delay_alu instid0(VALU_DEP_4) | instskip(NEXT) | instid1(VALU_DEP_2)
	v_bfe_u32 v16, v15, 21, 1
	v_cmp_eq_u32_e64 s13, v12, v17
	s_delay_alu instid0(VALU_DEP_2) | instskip(NEXT) | instid1(VALU_DEP_1)
	v_add_nc_u32_e32 v14, -1, v16
	v_cndmask_b32_e64 v12, 0, v14, s13
	v_lshrrev_b32_e32 v14, 23, v15
	s_mov_b32 s13, exec_lo
	s_delay_alu instid0(VALU_DEP_2) | instskip(NEXT) | instid1(VALU_DEP_2)
	v_add_nc_u32_e32 v12, v12, v15
	v_xor_b32_e32 v14, 1, v14
	s_delay_alu instid0(VALU_DEP_2) | instskip(NEXT) | instid1(VALU_DEP_1)
	v_and_b32_e32 v9, 0x1fffff, v12
	v_add_nc_u32_e32 v12, v9, v15
                                        ; implicit-def: $vgpr9
	s_delay_alu instid0(VALU_DEP_3)
	v_cmpx_ne_u32_e64 v13, v14
	s_xor_b32 s13, exec_lo, s13
; %bb.3581:                             ;   in Loop: Header=BB6_3265 Depth=4
	s_delay_alu instid0(VALU_DEP_2) | instskip(SKIP_2) | instid1(VALU_DEP_2)
	v_cmp_lt_u32_e32 vcc_lo, 0xffffff, v12
	v_sub_nc_u32_e32 v9, v13, v14
	v_cndmask_b32_e64 v13, 0, 1, vcc_lo
	v_add_co_ci_u32_e32 v9, vcc_lo, 0, v9, vcc_lo
	s_delay_alu instid0(VALU_DEP_2)
	v_lshrrev_b32_e32 v12, v13, v12
; %bb.3582:                             ;   in Loop: Header=BB6_3265 Depth=4
	s_and_not1_saveexec_b32 s13, s13
; %bb.3583:                             ;   in Loop: Header=BB6_3265 Depth=4
	s_delay_alu instid0(VALU_DEP_1)
	v_bfe_u32 v9, v12, 23, 1
; %bb.3584:                             ;   in Loop: Header=BB6_3265 Depth=4
	s_or_b32 exec_lo, exec_lo, s13
	v_lshrrev_b32_e32 v12, 21, v12
	s_delay_alu instid0(VALU_DEP_2) | instskip(SKIP_2) | instid1(VALU_DEP_4)
	v_cmp_gt_i32_e32 vcc_lo, 32, v9
	v_lshrrev_b32_e32 v8, 24, v8
	v_min_i32_e32 v13, 31, v9
	v_cndmask_b32_e32 v12, 3, v12, vcc_lo
	s_delay_alu instid0(VALU_DEP_3) | instskip(NEXT) | instid1(VALU_DEP_3)
	v_and_b32_e32 v8, 0x80, v8
	v_lshlrev_b32_e32 v13, 2, v13
	s_delay_alu instid0(VALU_DEP_3) | instskip(SKIP_1) | instid1(VALU_DEP_2)
	v_and_b32_e32 v14, 3, v12
	v_or_b32_e32 v9, v9, v12
	v_or3_b32 v8, v13, v8, v14
	s_delay_alu instid0(VALU_DEP_2) | instskip(NEXT) | instid1(VALU_DEP_2)
	v_cmp_ne_u32_e32 vcc_lo, 0, v9
	v_cndmask_b32_e32 v93, 0, v8, vcc_lo
.LBB6_3585:                             ;   in Loop: Header=BB6_3265 Depth=4
	s_or_b32 exec_lo, exec_lo, s36
.LBB6_3586:                             ;   in Loop: Header=BB6_3265 Depth=4
	s_delay_alu instid0(SALU_CYCLE_1) | instskip(SKIP_3) | instid1(VALU_DEP_1)
	s_or_b32 exec_lo, exec_lo, s35
	v_lshrrev_b32_e32 v8, 16, v10
	s_mov_b32 s13, 0
	s_mov_b32 s36, exec_lo
                                        ; implicit-def: $sgpr35
	v_and_b32_e32 v12, 0xff, v8
	s_delay_alu instid0(VALU_DEP_1)
	v_cmpx_lt_i16_e32 0x7f, v12
	s_xor_b32 s36, exec_lo, s36
	s_cbranch_execnz .LBB6_5168
; %bb.3587:                             ;   in Loop: Header=BB6_3265 Depth=4
	s_or_saveexec_b32 s36, s36
	v_mov_b32_e32 v9, s35
	s_xor_b32 exec_lo, exec_lo, s36
	s_cbranch_execnz .LBB6_5171
.LBB6_3588:                             ;   in Loop: Header=BB6_3265 Depth=4
	s_or_b32 exec_lo, exec_lo, s36
	s_and_saveexec_b32 s35, s13
	s_cbranch_execz .LBB6_3590
.LBB6_3589:                             ;   in Loop: Header=BB6_3265 Depth=4
	v_bfe_u32 v9, v10, 16, 2
	v_lshlrev_b32_e32 v14, 8, v10
	s_delay_alu instid0(VALU_DEP_2) | instskip(NEXT) | instid1(VALU_DEP_1)
	v_clz_i32_u32_e32 v12, v9
	v_min_u32_e32 v12, 32, v12
	s_delay_alu instid0(VALU_DEP_1) | instskip(SKIP_1) | instid1(VALU_DEP_2)
	v_subrev_nc_u32_e32 v13, 29, v12
	v_sub_nc_u32_e32 v12, 30, v12
	v_lshlrev_b32_e32 v8, v13, v8
	v_bfe_u32 v13, v10, 18, 5
	s_delay_alu instid0(VALU_DEP_2) | instskip(NEXT) | instid1(VALU_DEP_2)
	v_and_b32_e32 v8, 3, v8
	v_cmp_eq_u32_e32 vcc_lo, 0, v13
	v_cndmask_b32_e32 v12, v13, v12, vcc_lo
	s_delay_alu instid0(VALU_DEP_3) | instskip(NEXT) | instid1(VALU_DEP_2)
	v_dual_cndmask_b32 v8, v9, v8 :: v_dual_and_b32 v9, 0x80000000, v14
	v_lshl_add_u32 v12, v12, 23, 0x37800000
	s_delay_alu instid0(VALU_DEP_2) | instskip(NEXT) | instid1(VALU_DEP_1)
	v_lshlrev_b32_e32 v8, 21, v8
	v_or3_b32 v9, v9, v12, v8
.LBB6_3590:                             ;   in Loop: Header=BB6_3265 Depth=4
	s_or_b32 exec_lo, exec_lo, s35
	s_delay_alu instid0(VALU_DEP_1) | instskip(SKIP_2) | instid1(VALU_DEP_2)
	v_mul_f32_e32 v8, s34, v9
	v_mov_b32_e32 v92, 0x80
	s_mov_b32 s35, exec_lo
	v_and_b32_e32 v9, 0x7f800000, v8
	s_delay_alu instid0(VALU_DEP_1)
	v_cmpx_ne_u32_e32 0x7f800000, v9
	s_cbranch_execz .LBB6_3598
; %bb.3591:                             ;   in Loop: Header=BB6_3265 Depth=4
	v_mov_b32_e32 v92, 0
	s_mov_b32 s36, exec_lo
	v_cmpx_ne_u32_e32 0, v8
	s_cbranch_execz .LBB6_3597
; %bb.3592:                             ;   in Loop: Header=BB6_3265 Depth=4
	v_bfe_u32 v9, v8, 23, 8
	s_delay_alu instid0(VALU_DEP_1) | instskip(SKIP_1) | instid1(VALU_DEP_2)
	v_sub_nc_u32_e32 v13, 0x70, v9
	v_cmp_gt_u32_e32 vcc_lo, 0x71, v9
	v_dual_cndmask_b32 v13, 0, v13 :: v_dual_and_b32 v12, 0x7fffff, v8
	s_delay_alu instid0(VALU_DEP_1) | instskip(SKIP_2) | instid1(VALU_DEP_4)
	v_or_b32_e32 v14, 0x800000, v12
	v_cmp_eq_u32_e32 vcc_lo, 0, v9
	v_add_nc_u32_e32 v9, 0xffffff91, v9
	v_cndmask_b32_e64 v13, v13, 0x6f, vcc_lo
	s_delay_alu instid0(VALU_DEP_4) | instskip(NEXT) | instid1(VALU_DEP_3)
	v_cndmask_b32_e32 v12, v14, v12, vcc_lo
	v_cndmask_b32_e64 v9, v9, 0xffffff92, vcc_lo
	s_delay_alu instid0(VALU_DEP_3) | instskip(NEXT) | instid1(VALU_DEP_3)
	v_lshl_add_u32 v14, 0x200000, v13, -1
	v_lshrrev_b32_e32 v15, v13, v12
	v_lshlrev_b32_e64 v17, v13, 0x100000
	s_delay_alu instid0(VALU_DEP_4) | instskip(NEXT) | instid1(VALU_DEP_4)
	v_add_nc_u32_e32 v13, v13, v9
	v_and_b32_e32 v12, v14, v12
	s_delay_alu instid0(VALU_DEP_4) | instskip(NEXT) | instid1(VALU_DEP_2)
	v_bfe_u32 v16, v15, 21, 1
	v_cmp_eq_u32_e64 s13, v12, v17
	s_delay_alu instid0(VALU_DEP_2) | instskip(NEXT) | instid1(VALU_DEP_1)
	v_add_nc_u32_e32 v14, -1, v16
	v_cndmask_b32_e64 v12, 0, v14, s13
	v_lshrrev_b32_e32 v14, 23, v15
	s_mov_b32 s13, exec_lo
	s_delay_alu instid0(VALU_DEP_2) | instskip(NEXT) | instid1(VALU_DEP_2)
	v_add_nc_u32_e32 v12, v12, v15
	v_xor_b32_e32 v14, 1, v14
	s_delay_alu instid0(VALU_DEP_2) | instskip(NEXT) | instid1(VALU_DEP_1)
	v_and_b32_e32 v9, 0x1fffff, v12
	v_add_nc_u32_e32 v12, v9, v15
                                        ; implicit-def: $vgpr9
	s_delay_alu instid0(VALU_DEP_3)
	v_cmpx_ne_u32_e64 v13, v14
	s_xor_b32 s13, exec_lo, s13
; %bb.3593:                             ;   in Loop: Header=BB6_3265 Depth=4
	s_delay_alu instid0(VALU_DEP_2) | instskip(SKIP_2) | instid1(VALU_DEP_2)
	v_cmp_lt_u32_e32 vcc_lo, 0xffffff, v12
	v_sub_nc_u32_e32 v9, v13, v14
	v_cndmask_b32_e64 v13, 0, 1, vcc_lo
	v_add_co_ci_u32_e32 v9, vcc_lo, 0, v9, vcc_lo
	s_delay_alu instid0(VALU_DEP_2)
	v_lshrrev_b32_e32 v12, v13, v12
; %bb.3594:                             ;   in Loop: Header=BB6_3265 Depth=4
	s_and_not1_saveexec_b32 s13, s13
; %bb.3595:                             ;   in Loop: Header=BB6_3265 Depth=4
	s_delay_alu instid0(VALU_DEP_1)
	v_bfe_u32 v9, v12, 23, 1
; %bb.3596:                             ;   in Loop: Header=BB6_3265 Depth=4
	s_or_b32 exec_lo, exec_lo, s13
	v_lshrrev_b32_e32 v12, 21, v12
	s_delay_alu instid0(VALU_DEP_2) | instskip(SKIP_2) | instid1(VALU_DEP_4)
	v_cmp_gt_i32_e32 vcc_lo, 32, v9
	v_lshrrev_b32_e32 v8, 24, v8
	v_min_i32_e32 v13, 31, v9
	v_cndmask_b32_e32 v12, 3, v12, vcc_lo
	s_delay_alu instid0(VALU_DEP_3) | instskip(NEXT) | instid1(VALU_DEP_3)
	v_and_b32_e32 v8, 0x80, v8
	v_lshlrev_b32_e32 v13, 2, v13
	s_delay_alu instid0(VALU_DEP_3) | instskip(SKIP_1) | instid1(VALU_DEP_2)
	v_and_b32_e32 v14, 3, v12
	v_or_b32_e32 v9, v9, v12
	v_or3_b32 v8, v13, v8, v14
	s_delay_alu instid0(VALU_DEP_2) | instskip(NEXT) | instid1(VALU_DEP_2)
	v_cmp_ne_u32_e32 vcc_lo, 0, v9
	v_cndmask_b32_e32 v92, 0, v8, vcc_lo
.LBB6_3597:                             ;   in Loop: Header=BB6_3265 Depth=4
	s_or_b32 exec_lo, exec_lo, s36
.LBB6_3598:                             ;   in Loop: Header=BB6_3265 Depth=4
	s_delay_alu instid0(SALU_CYCLE_1) | instskip(SKIP_3) | instid1(VALU_DEP_1)
	s_or_b32 exec_lo, exec_lo, s35
	v_lshrrev_b32_e32 v8, 24, v10
	s_mov_b32 s13, 0
	s_mov_b32 s36, exec_lo
                                        ; implicit-def: $sgpr35
	v_cmpx_lt_i16_e32 0x7f, v8
	s_xor_b32 s36, exec_lo, s36
	s_cbranch_execnz .LBB6_5172
; %bb.3599:                             ;   in Loop: Header=BB6_3265 Depth=4
	s_or_saveexec_b32 s36, s36
	v_mov_b32_e32 v9, s35
	s_xor_b32 exec_lo, exec_lo, s36
	s_cbranch_execnz .LBB6_5175
.LBB6_3600:                             ;   in Loop: Header=BB6_3265 Depth=4
	s_or_b32 exec_lo, exec_lo, s36
	s_and_saveexec_b32 s35, s13
	s_cbranch_execz .LBB6_3602
.LBB6_3601:                             ;   in Loop: Header=BB6_3265 Depth=4
	v_bfe_u32 v9, v10, 24, 2
	s_delay_alu instid0(VALU_DEP_1) | instskip(NEXT) | instid1(VALU_DEP_1)
	v_clz_i32_u32_e32 v12, v9
	v_min_u32_e32 v12, 32, v12
	s_delay_alu instid0(VALU_DEP_1) | instskip(SKIP_1) | instid1(VALU_DEP_2)
	v_subrev_nc_u32_e32 v13, 29, v12
	v_sub_nc_u32_e32 v12, 30, v12
	v_lshlrev_b32_e32 v8, v13, v8
	v_bfe_u32 v13, v10, 26, 5
	s_delay_alu instid0(VALU_DEP_2) | instskip(NEXT) | instid1(VALU_DEP_2)
	v_and_b32_e32 v8, 3, v8
	v_cmp_eq_u32_e32 vcc_lo, 0, v13
	v_cndmask_b32_e32 v12, v13, v12, vcc_lo
	s_delay_alu instid0(VALU_DEP_3) | instskip(NEXT) | instid1(VALU_DEP_2)
	v_dual_cndmask_b32 v8, v9, v8 :: v_dual_and_b32 v9, 0x80000000, v10
	v_lshl_add_u32 v10, v12, 23, 0x37800000
	s_delay_alu instid0(VALU_DEP_2) | instskip(NEXT) | instid1(VALU_DEP_1)
	v_lshlrev_b32_e32 v8, 21, v8
	v_or3_b32 v9, v9, v10, v8
.LBB6_3602:                             ;   in Loop: Header=BB6_3265 Depth=4
	s_or_b32 exec_lo, exec_lo, s35
	s_delay_alu instid0(VALU_DEP_1) | instskip(SKIP_2) | instid1(VALU_DEP_2)
	v_mul_f32_e32 v8, s34, v9
	v_mov_b32_e32 v90, 0x80
	s_mov_b32 s35, exec_lo
	v_and_b32_e32 v9, 0x7f800000, v8
	s_delay_alu instid0(VALU_DEP_1)
	v_cmpx_ne_u32_e32 0x7f800000, v9
	s_cbranch_execz .LBB6_3610
; %bb.3603:                             ;   in Loop: Header=BB6_3265 Depth=4
	v_mov_b32_e32 v90, 0
	s_mov_b32 s36, exec_lo
	v_cmpx_ne_u32_e32 0, v8
	s_cbranch_execz .LBB6_3609
; %bb.3604:                             ;   in Loop: Header=BB6_3265 Depth=4
	v_bfe_u32 v9, v8, 23, 8
	v_and_b32_e32 v10, 0x7fffff, v8
	s_delay_alu instid0(VALU_DEP_2) | instskip(SKIP_1) | instid1(VALU_DEP_3)
	v_sub_nc_u32_e32 v12, 0x70, v9
	v_cmp_gt_u32_e32 vcc_lo, 0x71, v9
	v_or_b32_e32 v13, 0x800000, v10
	s_delay_alu instid0(VALU_DEP_3) | instskip(SKIP_2) | instid1(VALU_DEP_3)
	v_cndmask_b32_e32 v12, 0, v12, vcc_lo
	v_cmp_eq_u32_e32 vcc_lo, 0, v9
	v_add_nc_u32_e32 v9, 0xffffff91, v9
	v_cndmask_b32_e64 v12, v12, 0x6f, vcc_lo
	v_cndmask_b32_e32 v10, v13, v10, vcc_lo
	s_delay_alu instid0(VALU_DEP_3) | instskip(NEXT) | instid1(VALU_DEP_3)
	v_cndmask_b32_e64 v9, v9, 0xffffff92, vcc_lo
	v_lshl_add_u32 v13, 0x200000, v12, -1
	s_delay_alu instid0(VALU_DEP_3) | instskip(SKIP_1) | instid1(VALU_DEP_4)
	v_lshrrev_b32_e32 v14, v12, v10
	v_lshlrev_b32_e64 v16, v12, 0x100000
	v_add_nc_u32_e32 v12, v12, v9
	s_delay_alu instid0(VALU_DEP_4) | instskip(NEXT) | instid1(VALU_DEP_4)
	v_and_b32_e32 v10, v13, v10
	v_bfe_u32 v15, v14, 21, 1
	s_delay_alu instid0(VALU_DEP_2) | instskip(NEXT) | instid1(VALU_DEP_2)
	v_cmp_eq_u32_e64 s13, v10, v16
	v_add_nc_u32_e32 v13, -1, v15
	s_delay_alu instid0(VALU_DEP_1) | instskip(SKIP_2) | instid1(VALU_DEP_2)
	v_cndmask_b32_e64 v10, 0, v13, s13
	v_lshrrev_b32_e32 v13, 23, v14
	s_mov_b32 s13, exec_lo
	v_add_nc_u32_e32 v10, v10, v14
	s_delay_alu instid0(VALU_DEP_2) | instskip(NEXT) | instid1(VALU_DEP_2)
	v_xor_b32_e32 v13, 1, v13
	v_and_b32_e32 v9, 0x1fffff, v10
	s_delay_alu instid0(VALU_DEP_1) | instskip(NEXT) | instid1(VALU_DEP_3)
	v_add_nc_u32_e32 v10, v9, v14
                                        ; implicit-def: $vgpr9
	v_cmpx_ne_u32_e64 v12, v13
	s_xor_b32 s13, exec_lo, s13
; %bb.3605:                             ;   in Loop: Header=BB6_3265 Depth=4
	s_delay_alu instid0(VALU_DEP_2) | instskip(SKIP_2) | instid1(VALU_DEP_2)
	v_cmp_lt_u32_e32 vcc_lo, 0xffffff, v10
	v_sub_nc_u32_e32 v9, v12, v13
	v_cndmask_b32_e64 v12, 0, 1, vcc_lo
	v_add_co_ci_u32_e32 v9, vcc_lo, 0, v9, vcc_lo
	s_delay_alu instid0(VALU_DEP_2)
	v_lshrrev_b32_e32 v10, v12, v10
; %bb.3606:                             ;   in Loop: Header=BB6_3265 Depth=4
	s_and_not1_saveexec_b32 s13, s13
; %bb.3607:                             ;   in Loop: Header=BB6_3265 Depth=4
	s_delay_alu instid0(VALU_DEP_1)
	v_bfe_u32 v9, v10, 23, 1
; %bb.3608:                             ;   in Loop: Header=BB6_3265 Depth=4
	s_or_b32 exec_lo, exec_lo, s13
	v_lshrrev_b32_e32 v10, 21, v10
	s_delay_alu instid0(VALU_DEP_2) | instskip(SKIP_2) | instid1(VALU_DEP_4)
	v_cmp_gt_i32_e32 vcc_lo, 32, v9
	v_lshrrev_b32_e32 v8, 24, v8
	v_min_i32_e32 v12, 31, v9
	v_cndmask_b32_e32 v10, 3, v10, vcc_lo
	s_delay_alu instid0(VALU_DEP_3) | instskip(NEXT) | instid1(VALU_DEP_3)
	v_and_b32_e32 v8, 0x80, v8
	v_lshlrev_b32_e32 v12, 2, v12
	s_delay_alu instid0(VALU_DEP_3) | instskip(NEXT) | instid1(VALU_DEP_1)
	v_or_b32_e32 v9, v9, v10
	v_cmp_ne_u32_e32 vcc_lo, 0, v9
	v_and_b32_e32 v13, 3, v10
	s_delay_alu instid0(VALU_DEP_1) | instskip(NEXT) | instid1(VALU_DEP_1)
	v_or3_b32 v8, v12, v8, v13
	v_cndmask_b32_e32 v90, 0, v8, vcc_lo
.LBB6_3609:                             ;   in Loop: Header=BB6_3265 Depth=4
	s_or_b32 exec_lo, exec_lo, s36
.LBB6_3610:                             ;   in Loop: Header=BB6_3265 Depth=4
	s_delay_alu instid0(SALU_CYCLE_1) | instskip(SKIP_3) | instid1(VALU_DEP_1)
	s_or_b32 exec_lo, exec_lo, s35
	v_and_b32_e32 v9, 0xff, v11
	s_mov_b32 s13, 0
	s_mov_b32 s36, exec_lo
                                        ; implicit-def: $sgpr35
	v_cmpx_lt_i16_e32 0x7f, v9
	s_xor_b32 s36, exec_lo, s36
	s_cbranch_execnz .LBB6_5176
; %bb.3611:                             ;   in Loop: Header=BB6_3265 Depth=4
	s_or_saveexec_b32 s36, s36
	v_mov_b32_e32 v8, s35
	s_xor_b32 exec_lo, exec_lo, s36
	s_cbranch_execnz .LBB6_5179
.LBB6_3612:                             ;   in Loop: Header=BB6_3265 Depth=4
	s_or_b32 exec_lo, exec_lo, s36
	s_and_saveexec_b32 s35, s13
	s_cbranch_execz .LBB6_3614
.LBB6_3613:                             ;   in Loop: Header=BB6_3265 Depth=4
	v_bfe_u32 v12, v11, 2, 5
	s_delay_alu instid0(VALU_DEP_1) | instskip(SKIP_1) | instid1(VALU_DEP_1)
	v_cmp_eq_u32_e32 vcc_lo, 0, v12
	v_and_b32_e32 v8, 3, v11
	v_clz_i32_u32_e32 v9, v8
	s_delay_alu instid0(VALU_DEP_1) | instskip(NEXT) | instid1(VALU_DEP_1)
	v_min_u32_e32 v9, 32, v9
	v_subrev_nc_u32_e32 v10, 29, v9
	v_sub_nc_u32_e32 v9, 30, v9
	s_delay_alu instid0(VALU_DEP_1) | instskip(NEXT) | instid1(VALU_DEP_1)
	v_dual_cndmask_b32 v9, v12, v9 :: v_dual_lshlrev_b32 v10, v10, v11
	v_and_b32_e32 v10, 3, v10
	v_lshlrev_b32_e32 v13, 24, v11
	s_delay_alu instid0(VALU_DEP_3) | instskip(NEXT) | instid1(VALU_DEP_3)
	v_lshl_add_u32 v9, v9, 23, 0x37800000
	v_cndmask_b32_e32 v8, v8, v10, vcc_lo
	s_delay_alu instid0(VALU_DEP_3) | instskip(NEXT) | instid1(VALU_DEP_2)
	v_and_b32_e32 v10, 0x80000000, v13
	v_lshlrev_b32_e32 v8, 21, v8
	s_delay_alu instid0(VALU_DEP_1)
	v_or3_b32 v8, v10, v9, v8
.LBB6_3614:                             ;   in Loop: Header=BB6_3265 Depth=4
	s_or_b32 exec_lo, exec_lo, s35
	s_delay_alu instid0(VALU_DEP_1) | instskip(SKIP_1) | instid1(VALU_DEP_1)
	v_dual_mul_f32 v8, s34, v8 :: v_dual_mov_b32 v89, 0x80
	s_mov_b32 s35, exec_lo
	v_and_b32_e32 v9, 0x7f800000, v8
	s_delay_alu instid0(VALU_DEP_1)
	v_cmpx_ne_u32_e32 0x7f800000, v9
	s_cbranch_execz .LBB6_3622
; %bb.3615:                             ;   in Loop: Header=BB6_3265 Depth=4
	v_mov_b32_e32 v89, 0
	s_mov_b32 s36, exec_lo
	v_cmpx_ne_u32_e32 0, v8
	s_cbranch_execz .LBB6_3621
; %bb.3616:                             ;   in Loop: Header=BB6_3265 Depth=4
	v_bfe_u32 v9, v8, 23, 8
	v_and_b32_e32 v10, 0x7fffff, v8
	s_delay_alu instid0(VALU_DEP_2) | instskip(SKIP_1) | instid1(VALU_DEP_3)
	v_sub_nc_u32_e32 v12, 0x70, v9
	v_cmp_gt_u32_e32 vcc_lo, 0x71, v9
	v_or_b32_e32 v13, 0x800000, v10
	s_delay_alu instid0(VALU_DEP_3) | instskip(SKIP_2) | instid1(VALU_DEP_3)
	v_cndmask_b32_e32 v12, 0, v12, vcc_lo
	v_cmp_eq_u32_e32 vcc_lo, 0, v9
	v_add_nc_u32_e32 v9, 0xffffff91, v9
	v_cndmask_b32_e64 v12, v12, 0x6f, vcc_lo
	v_cndmask_b32_e32 v10, v13, v10, vcc_lo
	s_delay_alu instid0(VALU_DEP_3) | instskip(NEXT) | instid1(VALU_DEP_3)
	v_cndmask_b32_e64 v9, v9, 0xffffff92, vcc_lo
	v_lshl_add_u32 v13, 0x200000, v12, -1
	s_delay_alu instid0(VALU_DEP_3) | instskip(SKIP_1) | instid1(VALU_DEP_4)
	v_lshrrev_b32_e32 v14, v12, v10
	v_lshlrev_b32_e64 v16, v12, 0x100000
	v_add_nc_u32_e32 v12, v12, v9
	s_delay_alu instid0(VALU_DEP_4) | instskip(NEXT) | instid1(VALU_DEP_4)
	v_and_b32_e32 v10, v13, v10
	v_bfe_u32 v15, v14, 21, 1
	s_delay_alu instid0(VALU_DEP_2) | instskip(NEXT) | instid1(VALU_DEP_2)
	v_cmp_eq_u32_e64 s13, v10, v16
	v_add_nc_u32_e32 v13, -1, v15
	s_delay_alu instid0(VALU_DEP_1) | instskip(SKIP_2) | instid1(VALU_DEP_2)
	v_cndmask_b32_e64 v10, 0, v13, s13
	v_lshrrev_b32_e32 v13, 23, v14
	s_mov_b32 s13, exec_lo
	v_add_nc_u32_e32 v10, v10, v14
	s_delay_alu instid0(VALU_DEP_2) | instskip(NEXT) | instid1(VALU_DEP_2)
	v_xor_b32_e32 v13, 1, v13
	v_and_b32_e32 v9, 0x1fffff, v10
	s_delay_alu instid0(VALU_DEP_1) | instskip(NEXT) | instid1(VALU_DEP_3)
	v_add_nc_u32_e32 v10, v9, v14
                                        ; implicit-def: $vgpr9
	v_cmpx_ne_u32_e64 v12, v13
	s_xor_b32 s13, exec_lo, s13
; %bb.3617:                             ;   in Loop: Header=BB6_3265 Depth=4
	s_delay_alu instid0(VALU_DEP_2) | instskip(SKIP_2) | instid1(VALU_DEP_2)
	v_cmp_lt_u32_e32 vcc_lo, 0xffffff, v10
	v_sub_nc_u32_e32 v9, v12, v13
	v_cndmask_b32_e64 v12, 0, 1, vcc_lo
	v_add_co_ci_u32_e32 v9, vcc_lo, 0, v9, vcc_lo
	s_delay_alu instid0(VALU_DEP_2)
	v_lshrrev_b32_e32 v10, v12, v10
; %bb.3618:                             ;   in Loop: Header=BB6_3265 Depth=4
	s_and_not1_saveexec_b32 s13, s13
; %bb.3619:                             ;   in Loop: Header=BB6_3265 Depth=4
	s_delay_alu instid0(VALU_DEP_1)
	v_bfe_u32 v9, v10, 23, 1
; %bb.3620:                             ;   in Loop: Header=BB6_3265 Depth=4
	s_or_b32 exec_lo, exec_lo, s13
	v_lshrrev_b32_e32 v10, 21, v10
	s_delay_alu instid0(VALU_DEP_2) | instskip(SKIP_2) | instid1(VALU_DEP_3)
	v_min_i32_e32 v12, 31, v9
	v_cmp_gt_i32_e32 vcc_lo, 32, v9
	v_lshrrev_b32_e32 v8, 24, v8
	v_lshlrev_b32_e32 v12, 2, v12
	v_cndmask_b32_e32 v10, 3, v10, vcc_lo
	s_delay_alu instid0(VALU_DEP_3) | instskip(NEXT) | instid1(VALU_DEP_3)
	v_and_b32_e32 v8, 0x80, v8
	v_and_b32_e32 v12, 0xfc, v12
	s_delay_alu instid0(VALU_DEP_3) | instskip(SKIP_1) | instid1(VALU_DEP_2)
	v_and_b32_e32 v13, 3, v10
	v_or_b32_e32 v9, v9, v10
	v_or3_b32 v8, v12, v8, v13
	s_delay_alu instid0(VALU_DEP_2) | instskip(NEXT) | instid1(VALU_DEP_2)
	v_cmp_ne_u32_e32 vcc_lo, 0, v9
	v_cndmask_b32_e32 v89, 0, v8, vcc_lo
.LBB6_3621:                             ;   in Loop: Header=BB6_3265 Depth=4
	s_or_b32 exec_lo, exec_lo, s36
.LBB6_3622:                             ;   in Loop: Header=BB6_3265 Depth=4
	s_delay_alu instid0(SALU_CYCLE_1) | instskip(SKIP_3) | instid1(VALU_DEP_1)
	s_or_b32 exec_lo, exec_lo, s35
	v_lshrrev_b16 v8, 8, v11
	s_mov_b32 s13, 0
	s_mov_b32 s36, exec_lo
                                        ; implicit-def: $sgpr35
	v_cmpx_lt_i16_e32 0x7f, v8
	s_xor_b32 s36, exec_lo, s36
	s_cbranch_execnz .LBB6_5180
; %bb.3623:                             ;   in Loop: Header=BB6_3265 Depth=4
	s_or_saveexec_b32 s36, s36
	v_mov_b32_e32 v9, s35
	s_xor_b32 exec_lo, exec_lo, s36
	s_cbranch_execnz .LBB6_5183
.LBB6_3624:                             ;   in Loop: Header=BB6_3265 Depth=4
	s_or_b32 exec_lo, exec_lo, s36
	s_and_saveexec_b32 s35, s13
	s_cbranch_execz .LBB6_3626
.LBB6_3625:                             ;   in Loop: Header=BB6_3265 Depth=4
	v_and_b32_e32 v9, 0xffff, v8
	v_lshlrev_b32_e32 v8, 24, v8
	s_delay_alu instid0(VALU_DEP_2) | instskip(NEXT) | instid1(VALU_DEP_2)
	v_and_b32_e32 v10, 3, v9
	v_and_b32_e32 v8, 0x80000000, v8
	s_delay_alu instid0(VALU_DEP_2) | instskip(NEXT) | instid1(VALU_DEP_1)
	v_clz_i32_u32_e32 v12, v10
	v_min_u32_e32 v12, 32, v12
	s_delay_alu instid0(VALU_DEP_1) | instskip(SKIP_1) | instid1(VALU_DEP_2)
	v_subrev_nc_u32_e32 v13, 29, v12
	v_sub_nc_u32_e32 v12, 30, v12
	v_lshlrev_b32_e32 v13, v13, v9
	v_bfe_u32 v9, v9, 2, 5
	s_delay_alu instid0(VALU_DEP_2) | instskip(NEXT) | instid1(VALU_DEP_2)
	v_and_b32_e32 v13, 3, v13
	v_cmp_eq_u32_e32 vcc_lo, 0, v9
	s_delay_alu instid0(VALU_DEP_2) | instskip(NEXT) | instid1(VALU_DEP_1)
	v_dual_cndmask_b32 v9, v9, v12 :: v_dual_cndmask_b32 v10, v10, v13
	v_lshl_add_u32 v9, v9, 23, 0x37800000
	s_delay_alu instid0(VALU_DEP_2) | instskip(NEXT) | instid1(VALU_DEP_1)
	v_lshlrev_b32_e32 v10, 21, v10
	v_or3_b32 v9, v8, v9, v10
.LBB6_3626:                             ;   in Loop: Header=BB6_3265 Depth=4
	s_or_b32 exec_lo, exec_lo, s35
	s_delay_alu instid0(VALU_DEP_1) | instskip(SKIP_2) | instid1(VALU_DEP_2)
	v_mul_f32_e32 v8, s34, v9
	v_mov_b32_e32 v94, 0x8000
	s_mov_b32 s35, exec_lo
	v_and_b32_e32 v9, 0x7f800000, v8
	s_delay_alu instid0(VALU_DEP_1)
	v_cmpx_ne_u32_e32 0x7f800000, v9
	s_cbranch_execz .LBB6_3634
; %bb.3627:                             ;   in Loop: Header=BB6_3265 Depth=4
	v_mov_b32_e32 v94, 0
	s_mov_b32 s36, exec_lo
	v_cmpx_ne_u32_e32 0, v8
	s_cbranch_execz .LBB6_3633
; %bb.3628:                             ;   in Loop: Header=BB6_3265 Depth=4
	v_bfe_u32 v9, v8, 23, 8
	v_and_b32_e32 v10, 0x7fffff, v8
	s_delay_alu instid0(VALU_DEP_2) | instskip(SKIP_1) | instid1(VALU_DEP_3)
	v_sub_nc_u32_e32 v12, 0x70, v9
	v_cmp_gt_u32_e32 vcc_lo, 0x71, v9
	v_or_b32_e32 v13, 0x800000, v10
	s_delay_alu instid0(VALU_DEP_3) | instskip(SKIP_2) | instid1(VALU_DEP_3)
	v_cndmask_b32_e32 v12, 0, v12, vcc_lo
	v_cmp_eq_u32_e32 vcc_lo, 0, v9
	v_add_nc_u32_e32 v9, 0xffffff91, v9
	v_cndmask_b32_e64 v12, v12, 0x6f, vcc_lo
	v_cndmask_b32_e32 v10, v13, v10, vcc_lo
	s_delay_alu instid0(VALU_DEP_3) | instskip(NEXT) | instid1(VALU_DEP_3)
	v_cndmask_b32_e64 v9, v9, 0xffffff92, vcc_lo
	v_lshl_add_u32 v13, 0x200000, v12, -1
	s_delay_alu instid0(VALU_DEP_3) | instskip(SKIP_1) | instid1(VALU_DEP_4)
	v_lshrrev_b32_e32 v14, v12, v10
	v_lshlrev_b32_e64 v16, v12, 0x100000
	v_add_nc_u32_e32 v12, v12, v9
	s_delay_alu instid0(VALU_DEP_4) | instskip(NEXT) | instid1(VALU_DEP_4)
	v_and_b32_e32 v10, v13, v10
	v_bfe_u32 v15, v14, 21, 1
	s_delay_alu instid0(VALU_DEP_2) | instskip(NEXT) | instid1(VALU_DEP_2)
	v_cmp_eq_u32_e64 s13, v10, v16
	v_add_nc_u32_e32 v13, -1, v15
	s_delay_alu instid0(VALU_DEP_1) | instskip(SKIP_2) | instid1(VALU_DEP_2)
	v_cndmask_b32_e64 v10, 0, v13, s13
	v_lshrrev_b32_e32 v13, 23, v14
	s_mov_b32 s13, exec_lo
	v_add_nc_u32_e32 v10, v10, v14
	s_delay_alu instid0(VALU_DEP_2) | instskip(NEXT) | instid1(VALU_DEP_2)
	v_xor_b32_e32 v13, 1, v13
	v_and_b32_e32 v9, 0x1fffff, v10
	s_delay_alu instid0(VALU_DEP_1) | instskip(NEXT) | instid1(VALU_DEP_3)
	v_add_nc_u32_e32 v10, v9, v14
                                        ; implicit-def: $vgpr9
	v_cmpx_ne_u32_e64 v12, v13
	s_xor_b32 s13, exec_lo, s13
; %bb.3629:                             ;   in Loop: Header=BB6_3265 Depth=4
	s_delay_alu instid0(VALU_DEP_2) | instskip(SKIP_2) | instid1(VALU_DEP_2)
	v_cmp_lt_u32_e32 vcc_lo, 0xffffff, v10
	v_sub_nc_u32_e32 v9, v12, v13
	v_cndmask_b32_e64 v12, 0, 1, vcc_lo
	v_add_co_ci_u32_e32 v9, vcc_lo, 0, v9, vcc_lo
	s_delay_alu instid0(VALU_DEP_2)
	v_lshrrev_b32_e32 v10, v12, v10
; %bb.3630:                             ;   in Loop: Header=BB6_3265 Depth=4
	s_and_not1_saveexec_b32 s13, s13
; %bb.3631:                             ;   in Loop: Header=BB6_3265 Depth=4
	s_delay_alu instid0(VALU_DEP_1)
	v_bfe_u32 v9, v10, 23, 1
; %bb.3632:                             ;   in Loop: Header=BB6_3265 Depth=4
	s_or_b32 exec_lo, exec_lo, s13
	v_lshrrev_b32_e32 v10, 21, v10
	s_delay_alu instid0(VALU_DEP_2) | instskip(SKIP_2) | instid1(VALU_DEP_4)
	v_cmp_gt_i32_e32 vcc_lo, 32, v9
	v_min_i32_e32 v12, 31, v9
	v_lshrrev_b32_e32 v8, 24, v8
	v_cndmask_b32_e32 v10, 3, v10, vcc_lo
	s_delay_alu instid0(VALU_DEP_3) | instskip(NEXT) | instid1(VALU_DEP_3)
	v_lshlrev_b32_e32 v12, 2, v12
	v_and_b32_e32 v8, 0x80, v8
	s_delay_alu instid0(VALU_DEP_3) | instskip(NEXT) | instid1(VALU_DEP_3)
	v_or_b32_e32 v9, v9, v10
	v_and_b32_e32 v12, 0xfc, v12
	s_delay_alu instid0(VALU_DEP_2) | instskip(SKIP_1) | instid1(VALU_DEP_1)
	v_cmp_ne_u32_e32 vcc_lo, 0, v9
	v_and_b32_e32 v13, 3, v10
	v_or3_b32 v8, v8, v12, v13
	s_delay_alu instid0(VALU_DEP_1) | instskip(NEXT) | instid1(VALU_DEP_1)
	v_lshlrev_b32_e32 v8, 8, v8
	v_cndmask_b32_e32 v94, 0, v8, vcc_lo
.LBB6_3633:                             ;   in Loop: Header=BB6_3265 Depth=4
	s_or_b32 exec_lo, exec_lo, s36
.LBB6_3634:                             ;   in Loop: Header=BB6_3265 Depth=4
	s_delay_alu instid0(SALU_CYCLE_1) | instskip(SKIP_3) | instid1(VALU_DEP_1)
	s_or_b32 exec_lo, exec_lo, s35
	v_lshrrev_b32_e32 v8, 16, v11
	s_mov_b32 s13, 0
	s_mov_b32 s36, exec_lo
                                        ; implicit-def: $sgpr35
	v_and_b32_e32 v10, 0xff, v8
	s_delay_alu instid0(VALU_DEP_1)
	v_cmpx_lt_i16_e32 0x7f, v10
	s_xor_b32 s36, exec_lo, s36
	s_cbranch_execnz .LBB6_5184
; %bb.3635:                             ;   in Loop: Header=BB6_3265 Depth=4
	s_or_saveexec_b32 s36, s36
	v_mov_b32_e32 v9, s35
	s_xor_b32 exec_lo, exec_lo, s36
	s_cbranch_execnz .LBB6_5187
.LBB6_3636:                             ;   in Loop: Header=BB6_3265 Depth=4
	s_or_b32 exec_lo, exec_lo, s36
	s_and_saveexec_b32 s35, s13
	s_cbranch_execz .LBB6_3638
.LBB6_3637:                             ;   in Loop: Header=BB6_3265 Depth=4
	v_bfe_u32 v9, v11, 16, 2
	s_delay_alu instid0(VALU_DEP_1) | instskip(NEXT) | instid1(VALU_DEP_1)
	v_clz_i32_u32_e32 v10, v9
	v_min_u32_e32 v10, 32, v10
	s_delay_alu instid0(VALU_DEP_1) | instskip(SKIP_1) | instid1(VALU_DEP_2)
	v_subrev_nc_u32_e32 v12, 29, v10
	v_sub_nc_u32_e32 v10, 30, v10
	v_lshlrev_b32_e32 v8, v12, v8
	v_bfe_u32 v12, v11, 18, 5
	s_delay_alu instid0(VALU_DEP_2) | instskip(NEXT) | instid1(VALU_DEP_2)
	v_and_b32_e32 v8, 3, v8
	v_cmp_eq_u32_e32 vcc_lo, 0, v12
	v_dual_cndmask_b32 v10, v12, v10 :: v_dual_lshlrev_b32 v13, 8, v11
	s_delay_alu instid0(VALU_DEP_1) | instskip(NEXT) | instid1(VALU_DEP_2)
	v_dual_cndmask_b32 v8, v9, v8 :: v_dual_and_b32 v9, 0x80000000, v13
	v_lshl_add_u32 v10, v10, 23, 0x37800000
	s_delay_alu instid0(VALU_DEP_2) | instskip(NEXT) | instid1(VALU_DEP_1)
	v_lshlrev_b32_e32 v8, 21, v8
	v_or3_b32 v9, v9, v10, v8
.LBB6_3638:                             ;   in Loop: Header=BB6_3265 Depth=4
	s_or_b32 exec_lo, exec_lo, s35
	s_delay_alu instid0(VALU_DEP_1) | instskip(SKIP_2) | instid1(VALU_DEP_2)
	v_mul_f32_e32 v8, s34, v9
	v_mov_b32_e32 v88, 0x80
	s_mov_b32 s35, exec_lo
	v_and_b32_e32 v9, 0x7f800000, v8
	s_delay_alu instid0(VALU_DEP_1)
	v_cmpx_ne_u32_e32 0x7f800000, v9
	s_cbranch_execz .LBB6_3646
; %bb.3639:                             ;   in Loop: Header=BB6_3265 Depth=4
	v_mov_b32_e32 v88, 0
	s_mov_b32 s36, exec_lo
	v_cmpx_ne_u32_e32 0, v8
	s_cbranch_execz .LBB6_3645
; %bb.3640:                             ;   in Loop: Header=BB6_3265 Depth=4
	v_bfe_u32 v9, v8, 23, 8
	v_and_b32_e32 v10, 0x7fffff, v8
	s_delay_alu instid0(VALU_DEP_2) | instskip(SKIP_1) | instid1(VALU_DEP_3)
	v_sub_nc_u32_e32 v12, 0x70, v9
	v_cmp_gt_u32_e32 vcc_lo, 0x71, v9
	v_or_b32_e32 v13, 0x800000, v10
	s_delay_alu instid0(VALU_DEP_3) | instskip(SKIP_2) | instid1(VALU_DEP_3)
	v_cndmask_b32_e32 v12, 0, v12, vcc_lo
	v_cmp_eq_u32_e32 vcc_lo, 0, v9
	v_add_nc_u32_e32 v9, 0xffffff91, v9
	v_cndmask_b32_e64 v12, v12, 0x6f, vcc_lo
	v_cndmask_b32_e32 v10, v13, v10, vcc_lo
	s_delay_alu instid0(VALU_DEP_3) | instskip(NEXT) | instid1(VALU_DEP_3)
	v_cndmask_b32_e64 v9, v9, 0xffffff92, vcc_lo
	v_lshl_add_u32 v13, 0x200000, v12, -1
	s_delay_alu instid0(VALU_DEP_3) | instskip(SKIP_1) | instid1(VALU_DEP_4)
	v_lshrrev_b32_e32 v14, v12, v10
	v_lshlrev_b32_e64 v16, v12, 0x100000
	v_add_nc_u32_e32 v12, v12, v9
	s_delay_alu instid0(VALU_DEP_4) | instskip(NEXT) | instid1(VALU_DEP_4)
	v_and_b32_e32 v10, v13, v10
	v_bfe_u32 v15, v14, 21, 1
	s_delay_alu instid0(VALU_DEP_2) | instskip(NEXT) | instid1(VALU_DEP_2)
	v_cmp_eq_u32_e64 s13, v10, v16
	v_add_nc_u32_e32 v13, -1, v15
	s_delay_alu instid0(VALU_DEP_1) | instskip(SKIP_2) | instid1(VALU_DEP_2)
	v_cndmask_b32_e64 v10, 0, v13, s13
	v_lshrrev_b32_e32 v13, 23, v14
	s_mov_b32 s13, exec_lo
	v_add_nc_u32_e32 v10, v10, v14
	s_delay_alu instid0(VALU_DEP_2) | instskip(NEXT) | instid1(VALU_DEP_2)
	v_xor_b32_e32 v13, 1, v13
	v_and_b32_e32 v9, 0x1fffff, v10
	s_delay_alu instid0(VALU_DEP_1) | instskip(NEXT) | instid1(VALU_DEP_3)
	v_add_nc_u32_e32 v10, v9, v14
                                        ; implicit-def: $vgpr9
	v_cmpx_ne_u32_e64 v12, v13
	s_xor_b32 s13, exec_lo, s13
; %bb.3641:                             ;   in Loop: Header=BB6_3265 Depth=4
	s_delay_alu instid0(VALU_DEP_2) | instskip(SKIP_2) | instid1(VALU_DEP_2)
	v_cmp_lt_u32_e32 vcc_lo, 0xffffff, v10
	v_sub_nc_u32_e32 v9, v12, v13
	v_cndmask_b32_e64 v12, 0, 1, vcc_lo
	v_add_co_ci_u32_e32 v9, vcc_lo, 0, v9, vcc_lo
	s_delay_alu instid0(VALU_DEP_2)
	v_lshrrev_b32_e32 v10, v12, v10
; %bb.3642:                             ;   in Loop: Header=BB6_3265 Depth=4
	s_and_not1_saveexec_b32 s13, s13
; %bb.3643:                             ;   in Loop: Header=BB6_3265 Depth=4
	s_delay_alu instid0(VALU_DEP_1)
	v_bfe_u32 v9, v10, 23, 1
; %bb.3644:                             ;   in Loop: Header=BB6_3265 Depth=4
	s_or_b32 exec_lo, exec_lo, s13
	v_lshrrev_b32_e32 v10, 21, v10
	s_delay_alu instid0(VALU_DEP_2) | instskip(SKIP_2) | instid1(VALU_DEP_4)
	v_cmp_gt_i32_e32 vcc_lo, 32, v9
	v_min_i32_e32 v12, 31, v9
	v_lshrrev_b32_e32 v8, 24, v8
	v_cndmask_b32_e32 v10, 3, v10, vcc_lo
	s_delay_alu instid0(VALU_DEP_3) | instskip(NEXT) | instid1(VALU_DEP_3)
	v_lshlrev_b32_e32 v12, 2, v12
	v_and_b32_e32 v8, 0x80, v8
	s_delay_alu instid0(VALU_DEP_3) | instskip(NEXT) | instid1(VALU_DEP_3)
	v_or_b32_e32 v9, v9, v10
	v_and_b32_e32 v12, 0xfc, v12
	s_delay_alu instid0(VALU_DEP_2) | instskip(SKIP_1) | instid1(VALU_DEP_1)
	v_cmp_ne_u32_e32 vcc_lo, 0, v9
	v_and_b32_e32 v13, 3, v10
	v_or3_b32 v8, v12, v8, v13
	s_delay_alu instid0(VALU_DEP_1)
	v_cndmask_b32_e32 v88, 0, v8, vcc_lo
.LBB6_3645:                             ;   in Loop: Header=BB6_3265 Depth=4
	s_or_b32 exec_lo, exec_lo, s36
.LBB6_3646:                             ;   in Loop: Header=BB6_3265 Depth=4
	s_delay_alu instid0(SALU_CYCLE_1) | instskip(SKIP_3) | instid1(VALU_DEP_1)
	s_or_b32 exec_lo, exec_lo, s35
	v_lshrrev_b32_e32 v8, 24, v11
	s_mov_b32 s13, 0
	s_mov_b32 s36, exec_lo
                                        ; implicit-def: $sgpr35
	v_cmpx_lt_i16_e32 0x7f, v8
	s_xor_b32 s36, exec_lo, s36
	s_cbranch_execnz .LBB6_5188
; %bb.3647:                             ;   in Loop: Header=BB6_3265 Depth=4
	s_or_saveexec_b32 s36, s36
	v_mov_b32_e32 v9, s35
	s_xor_b32 exec_lo, exec_lo, s36
	s_cbranch_execnz .LBB6_5191
.LBB6_3648:                             ;   in Loop: Header=BB6_3265 Depth=4
	s_or_b32 exec_lo, exec_lo, s36
	s_and_saveexec_b32 s35, s13
	s_cbranch_execz .LBB6_3650
.LBB6_3649:                             ;   in Loop: Header=BB6_3265 Depth=4
	v_bfe_u32 v9, v11, 24, 2
	s_delay_alu instid0(VALU_DEP_1) | instskip(NEXT) | instid1(VALU_DEP_1)
	v_clz_i32_u32_e32 v10, v9
	v_min_u32_e32 v10, 32, v10
	s_delay_alu instid0(VALU_DEP_1) | instskip(SKIP_1) | instid1(VALU_DEP_2)
	v_subrev_nc_u32_e32 v12, 29, v10
	v_sub_nc_u32_e32 v10, 30, v10
	v_lshlrev_b32_e32 v8, v12, v8
	v_bfe_u32 v12, v11, 26, 5
	s_delay_alu instid0(VALU_DEP_2) | instskip(NEXT) | instid1(VALU_DEP_2)
	v_and_b32_e32 v8, 3, v8
	v_cmp_eq_u32_e32 vcc_lo, 0, v12
	v_cndmask_b32_e32 v10, v12, v10, vcc_lo
	s_delay_alu instid0(VALU_DEP_3) | instskip(NEXT) | instid1(VALU_DEP_2)
	v_dual_cndmask_b32 v8, v9, v8 :: v_dual_and_b32 v9, 0x80000000, v11
	v_lshl_add_u32 v10, v10, 23, 0x37800000
	s_delay_alu instid0(VALU_DEP_2) | instskip(NEXT) | instid1(VALU_DEP_1)
	v_lshlrev_b32_e32 v8, 21, v8
	v_or3_b32 v9, v9, v10, v8
.LBB6_3650:                             ;   in Loop: Header=BB6_3265 Depth=4
	s_or_b32 exec_lo, exec_lo, s35
	s_delay_alu instid0(VALU_DEP_1) | instskip(SKIP_1) | instid1(VALU_DEP_1)
	v_dual_mul_f32 v8, s34, v9 :: v_dual_mov_b32 v91, 0x8000
	s_mov_b32 s35, exec_lo
	v_and_b32_e32 v9, 0x7f800000, v8
	s_delay_alu instid0(VALU_DEP_1)
	v_cmpx_ne_u32_e32 0x7f800000, v9
	s_cbranch_execz .LBB6_3658
; %bb.3651:                             ;   in Loop: Header=BB6_3265 Depth=4
	v_mov_b32_e32 v91, 0
	s_mov_b32 s36, exec_lo
	v_cmpx_ne_u32_e32 0, v8
	s_cbranch_execz .LBB6_3657
; %bb.3652:                             ;   in Loop: Header=BB6_3265 Depth=4
	v_bfe_u32 v9, v8, 23, 8
	s_delay_alu instid0(VALU_DEP_1) | instskip(SKIP_1) | instid1(VALU_DEP_2)
	v_sub_nc_u32_e32 v11, 0x70, v9
	v_cmp_gt_u32_e32 vcc_lo, 0x71, v9
	v_dual_cndmask_b32 v11, 0, v11 :: v_dual_and_b32 v10, 0x7fffff, v8
	s_delay_alu instid0(VALU_DEP_1) | instskip(SKIP_2) | instid1(VALU_DEP_4)
	v_or_b32_e32 v12, 0x800000, v10
	v_cmp_eq_u32_e32 vcc_lo, 0, v9
	v_add_nc_u32_e32 v9, 0xffffff91, v9
	v_cndmask_b32_e64 v11, v11, 0x6f, vcc_lo
	s_delay_alu instid0(VALU_DEP_4) | instskip(NEXT) | instid1(VALU_DEP_3)
	v_cndmask_b32_e32 v10, v12, v10, vcc_lo
	v_cndmask_b32_e64 v9, v9, 0xffffff92, vcc_lo
	s_delay_alu instid0(VALU_DEP_3) | instskip(NEXT) | instid1(VALU_DEP_3)
	v_lshl_add_u32 v12, 0x200000, v11, -1
	v_lshrrev_b32_e32 v13, v11, v10
	v_lshlrev_b32_e64 v15, v11, 0x100000
	s_delay_alu instid0(VALU_DEP_4) | instskip(NEXT) | instid1(VALU_DEP_4)
	v_add_nc_u32_e32 v11, v11, v9
	v_and_b32_e32 v10, v12, v10
	s_delay_alu instid0(VALU_DEP_4) | instskip(NEXT) | instid1(VALU_DEP_2)
	v_bfe_u32 v14, v13, 21, 1
	v_cmp_eq_u32_e64 s13, v10, v15
	s_delay_alu instid0(VALU_DEP_2) | instskip(NEXT) | instid1(VALU_DEP_1)
	v_add_nc_u32_e32 v12, -1, v14
	v_cndmask_b32_e64 v10, 0, v12, s13
	v_lshrrev_b32_e32 v12, 23, v13
	s_mov_b32 s13, exec_lo
	s_delay_alu instid0(VALU_DEP_2) | instskip(NEXT) | instid1(VALU_DEP_2)
	v_add_nc_u32_e32 v10, v10, v13
	v_xor_b32_e32 v12, 1, v12
	s_delay_alu instid0(VALU_DEP_2) | instskip(NEXT) | instid1(VALU_DEP_1)
	v_and_b32_e32 v9, 0x1fffff, v10
	v_add_nc_u32_e32 v10, v9, v13
                                        ; implicit-def: $vgpr9
	s_delay_alu instid0(VALU_DEP_3)
	v_cmpx_ne_u32_e64 v11, v12
	s_xor_b32 s13, exec_lo, s13
; %bb.3653:                             ;   in Loop: Header=BB6_3265 Depth=4
	s_delay_alu instid0(VALU_DEP_2) | instskip(SKIP_2) | instid1(VALU_DEP_2)
	v_cmp_lt_u32_e32 vcc_lo, 0xffffff, v10
	v_sub_nc_u32_e32 v9, v11, v12
	v_cndmask_b32_e64 v11, 0, 1, vcc_lo
	v_add_co_ci_u32_e32 v9, vcc_lo, 0, v9, vcc_lo
	s_delay_alu instid0(VALU_DEP_2)
	v_lshrrev_b32_e32 v10, v11, v10
; %bb.3654:                             ;   in Loop: Header=BB6_3265 Depth=4
	s_and_not1_saveexec_b32 s13, s13
; %bb.3655:                             ;   in Loop: Header=BB6_3265 Depth=4
	s_delay_alu instid0(VALU_DEP_1)
	v_bfe_u32 v9, v10, 23, 1
; %bb.3656:                             ;   in Loop: Header=BB6_3265 Depth=4
	s_or_b32 exec_lo, exec_lo, s13
	v_lshrrev_b32_e32 v10, 21, v10
	s_delay_alu instid0(VALU_DEP_2) | instskip(SKIP_2) | instid1(VALU_DEP_2)
	v_cmp_gt_i32_e32 vcc_lo, 32, v9
	v_min_i32_e32 v11, 31, v9
	v_lshrrev_b32_e32 v8, 24, v8
	v_dual_cndmask_b32 v10, 3, v10 :: v_dual_lshlrev_b32 v11, 2, v11
	s_delay_alu instid0(VALU_DEP_2) | instskip(NEXT) | instid1(VALU_DEP_2)
	v_and_b32_e32 v8, 0x80, v8
	v_or_b32_e32 v9, v9, v10
	s_delay_alu instid0(VALU_DEP_3) | instskip(NEXT) | instid1(VALU_DEP_2)
	v_and_b32_e32 v11, 0xfc, v11
	v_cmp_ne_u32_e32 vcc_lo, 0, v9
	v_and_b32_e32 v12, 3, v10
	s_delay_alu instid0(VALU_DEP_1) | instskip(NEXT) | instid1(VALU_DEP_1)
	v_or3_b32 v8, v8, v11, v12
	v_lshlrev_b32_e32 v8, 8, v8
	s_delay_alu instid0(VALU_DEP_1)
	v_cndmask_b32_e32 v91, 0, v8, vcc_lo
.LBB6_3657:                             ;   in Loop: Header=BB6_3265 Depth=4
	s_or_b32 exec_lo, exec_lo, s36
.LBB6_3658:                             ;   in Loop: Header=BB6_3265 Depth=4
	s_delay_alu instid0(SALU_CYCLE_1)
	s_or_b32 exec_lo, exec_lo, s35
	global_load_b128 v[8:11], v[80:81], off offset:1024 slc dlc
	s_mov_b32 s13, 0
	s_mov_b32 s36, exec_lo
                                        ; implicit-def: $sgpr35
	s_waitcnt vmcnt(0)
	v_and_b32_e32 v13, 0xff, v8
	s_delay_alu instid0(VALU_DEP_1)
	v_cmpx_lt_i16_e32 0x7f, v13
	s_xor_b32 s36, exec_lo, s36
	s_cbranch_execnz .LBB6_5192
; %bb.3659:                             ;   in Loop: Header=BB6_3265 Depth=4
	s_or_saveexec_b32 s36, s36
	v_mov_b32_e32 v12, s35
	s_xor_b32 exec_lo, exec_lo, s36
	s_cbranch_execnz .LBB6_5195
.LBB6_3660:                             ;   in Loop: Header=BB6_3265 Depth=4
	s_or_b32 exec_lo, exec_lo, s36
	s_and_saveexec_b32 s35, s13
	s_cbranch_execz .LBB6_3662
.LBB6_3661:                             ;   in Loop: Header=BB6_3265 Depth=4
	v_bfe_u32 v15, v8, 2, 5
	v_lshlrev_b32_e32 v16, 24, v8
	s_delay_alu instid0(VALU_DEP_2) | instskip(SKIP_1) | instid1(VALU_DEP_1)
	v_cmp_eq_u32_e32 vcc_lo, 0, v15
	v_and_b32_e32 v12, 3, v8
	v_clz_i32_u32_e32 v13, v12
	s_delay_alu instid0(VALU_DEP_1) | instskip(NEXT) | instid1(VALU_DEP_1)
	v_min_u32_e32 v13, 32, v13
	v_subrev_nc_u32_e32 v14, 29, v13
	v_sub_nc_u32_e32 v13, 30, v13
	s_delay_alu instid0(VALU_DEP_1) | instskip(NEXT) | instid1(VALU_DEP_1)
	v_dual_cndmask_b32 v13, v15, v13 :: v_dual_lshlrev_b32 v14, v14, v8
	v_and_b32_e32 v14, 3, v14
	s_delay_alu instid0(VALU_DEP_2) | instskip(NEXT) | instid1(VALU_DEP_2)
	v_lshl_add_u32 v13, v13, 23, 0x37800000
	v_cndmask_b32_e32 v12, v12, v14, vcc_lo
	v_and_b32_e32 v14, 0x80000000, v16
	s_delay_alu instid0(VALU_DEP_2) | instskip(NEXT) | instid1(VALU_DEP_1)
	v_lshlrev_b32_e32 v12, 21, v12
	v_or3_b32 v12, v14, v13, v12
.LBB6_3662:                             ;   in Loop: Header=BB6_3265 Depth=4
	s_or_b32 exec_lo, exec_lo, s35
	s_delay_alu instid0(VALU_DEP_1) | instskip(SKIP_2) | instid1(VALU_DEP_2)
	v_mul_f32_e32 v12, s34, v12
	v_mov_b32_e32 v78, 0x80
	s_mov_b32 s35, exec_lo
	v_and_b32_e32 v13, 0x7f800000, v12
	s_delay_alu instid0(VALU_DEP_1)
	v_cmpx_ne_u32_e32 0x7f800000, v13
	s_cbranch_execz .LBB6_3670
; %bb.3663:                             ;   in Loop: Header=BB6_3265 Depth=4
	v_mov_b32_e32 v78, 0
	s_mov_b32 s36, exec_lo
	v_cmpx_ne_u32_e32 0, v12
	s_cbranch_execz .LBB6_3669
; %bb.3664:                             ;   in Loop: Header=BB6_3265 Depth=4
	v_bfe_u32 v13, v12, 23, 8
	s_delay_alu instid0(VALU_DEP_1) | instskip(SKIP_1) | instid1(VALU_DEP_2)
	v_sub_nc_u32_e32 v15, 0x70, v13
	v_cmp_gt_u32_e32 vcc_lo, 0x71, v13
	v_dual_cndmask_b32 v15, 0, v15 :: v_dual_and_b32 v14, 0x7fffff, v12
	s_delay_alu instid0(VALU_DEP_1) | instskip(SKIP_2) | instid1(VALU_DEP_4)
	v_or_b32_e32 v16, 0x800000, v14
	v_cmp_eq_u32_e32 vcc_lo, 0, v13
	v_add_nc_u32_e32 v13, 0xffffff91, v13
	v_cndmask_b32_e64 v15, v15, 0x6f, vcc_lo
	s_delay_alu instid0(VALU_DEP_4) | instskip(NEXT) | instid1(VALU_DEP_3)
	v_cndmask_b32_e32 v14, v16, v14, vcc_lo
	v_cndmask_b32_e64 v13, v13, 0xffffff92, vcc_lo
	s_delay_alu instid0(VALU_DEP_3) | instskip(NEXT) | instid1(VALU_DEP_3)
	v_lshl_add_u32 v16, 0x200000, v15, -1
	v_lshrrev_b32_e32 v17, v15, v14
	v_lshlrev_b32_e64 v19, v15, 0x100000
	s_delay_alu instid0(VALU_DEP_4) | instskip(NEXT) | instid1(VALU_DEP_4)
	v_add_nc_u32_e32 v15, v15, v13
	v_and_b32_e32 v14, v16, v14
	s_delay_alu instid0(VALU_DEP_4) | instskip(NEXT) | instid1(VALU_DEP_2)
	v_bfe_u32 v18, v17, 21, 1
	v_cmp_eq_u32_e64 s13, v14, v19
	s_delay_alu instid0(VALU_DEP_2) | instskip(NEXT) | instid1(VALU_DEP_1)
	v_add_nc_u32_e32 v16, -1, v18
	v_cndmask_b32_e64 v14, 0, v16, s13
	v_lshrrev_b32_e32 v16, 23, v17
	s_mov_b32 s13, exec_lo
	s_delay_alu instid0(VALU_DEP_2) | instskip(NEXT) | instid1(VALU_DEP_2)
	v_add_nc_u32_e32 v14, v14, v17
	v_xor_b32_e32 v16, 1, v16
	s_delay_alu instid0(VALU_DEP_2) | instskip(NEXT) | instid1(VALU_DEP_1)
	v_and_b32_e32 v13, 0x1fffff, v14
	v_add_nc_u32_e32 v14, v13, v17
                                        ; implicit-def: $vgpr13
	s_delay_alu instid0(VALU_DEP_3)
	v_cmpx_ne_u32_e64 v15, v16
	s_xor_b32 s13, exec_lo, s13
; %bb.3665:                             ;   in Loop: Header=BB6_3265 Depth=4
	s_delay_alu instid0(VALU_DEP_2) | instskip(SKIP_2) | instid1(VALU_DEP_2)
	v_cmp_lt_u32_e32 vcc_lo, 0xffffff, v14
	v_sub_nc_u32_e32 v13, v15, v16
	v_cndmask_b32_e64 v15, 0, 1, vcc_lo
	v_add_co_ci_u32_e32 v13, vcc_lo, 0, v13, vcc_lo
	s_delay_alu instid0(VALU_DEP_2)
	v_lshrrev_b32_e32 v14, v15, v14
; %bb.3666:                             ;   in Loop: Header=BB6_3265 Depth=4
	s_and_not1_saveexec_b32 s13, s13
; %bb.3667:                             ;   in Loop: Header=BB6_3265 Depth=4
	s_delay_alu instid0(VALU_DEP_1)
	v_bfe_u32 v13, v14, 23, 1
; %bb.3668:                             ;   in Loop: Header=BB6_3265 Depth=4
	s_or_b32 exec_lo, exec_lo, s13
	v_lshrrev_b32_e32 v14, 21, v14
	s_delay_alu instid0(VALU_DEP_2) | instskip(SKIP_2) | instid1(VALU_DEP_4)
	v_cmp_gt_i32_e32 vcc_lo, 32, v13
	v_lshrrev_b32_e32 v12, 24, v12
	v_min_i32_e32 v15, 31, v13
	v_cndmask_b32_e32 v14, 3, v14, vcc_lo
	s_delay_alu instid0(VALU_DEP_3) | instskip(NEXT) | instid1(VALU_DEP_3)
	v_and_b32_e32 v12, 0x80, v12
	v_lshlrev_b32_e32 v15, 2, v15
	s_delay_alu instid0(VALU_DEP_3) | instskip(SKIP_1) | instid1(VALU_DEP_2)
	v_and_b32_e32 v16, 3, v14
	v_or_b32_e32 v13, v13, v14
	v_or3_b32 v12, v15, v12, v16
	s_delay_alu instid0(VALU_DEP_2) | instskip(NEXT) | instid1(VALU_DEP_2)
	v_cmp_ne_u32_e32 vcc_lo, 0, v13
	v_cndmask_b32_e32 v78, 0, v12, vcc_lo
.LBB6_3669:                             ;   in Loop: Header=BB6_3265 Depth=4
	s_or_b32 exec_lo, exec_lo, s36
.LBB6_3670:                             ;   in Loop: Header=BB6_3265 Depth=4
	s_delay_alu instid0(SALU_CYCLE_1) | instskip(SKIP_3) | instid1(VALU_DEP_1)
	s_or_b32 exec_lo, exec_lo, s35
	v_lshrrev_b16 v12, 8, v8
	s_mov_b32 s13, 0
	s_mov_b32 s36, exec_lo
                                        ; implicit-def: $sgpr35
	v_cmpx_lt_i16_e32 0x7f, v12
	s_xor_b32 s36, exec_lo, s36
	s_cbranch_execnz .LBB6_5196
; %bb.3671:                             ;   in Loop: Header=BB6_3265 Depth=4
	s_or_saveexec_b32 s36, s36
	v_mov_b32_e32 v13, s35
	s_xor_b32 exec_lo, exec_lo, s36
	s_cbranch_execnz .LBB6_5199
.LBB6_3672:                             ;   in Loop: Header=BB6_3265 Depth=4
	s_or_b32 exec_lo, exec_lo, s36
	s_and_saveexec_b32 s35, s13
	s_cbranch_execz .LBB6_3674
.LBB6_3673:                             ;   in Loop: Header=BB6_3265 Depth=4
	v_and_b32_e32 v13, 0xffff, v12
	v_lshlrev_b32_e32 v12, 24, v12
	s_delay_alu instid0(VALU_DEP_2) | instskip(NEXT) | instid1(VALU_DEP_2)
	v_and_b32_e32 v14, 3, v13
	v_and_b32_e32 v12, 0x80000000, v12
	s_delay_alu instid0(VALU_DEP_2) | instskip(NEXT) | instid1(VALU_DEP_1)
	v_clz_i32_u32_e32 v15, v14
	v_min_u32_e32 v15, 32, v15
	s_delay_alu instid0(VALU_DEP_1) | instskip(SKIP_1) | instid1(VALU_DEP_2)
	v_subrev_nc_u32_e32 v16, 29, v15
	v_sub_nc_u32_e32 v15, 30, v15
	v_lshlrev_b32_e32 v16, v16, v13
	v_bfe_u32 v13, v13, 2, 5
	s_delay_alu instid0(VALU_DEP_2) | instskip(NEXT) | instid1(VALU_DEP_2)
	v_and_b32_e32 v16, 3, v16
	v_cmp_eq_u32_e32 vcc_lo, 0, v13
	s_delay_alu instid0(VALU_DEP_2) | instskip(NEXT) | instid1(VALU_DEP_1)
	v_dual_cndmask_b32 v13, v13, v15 :: v_dual_cndmask_b32 v14, v14, v16
	v_lshl_add_u32 v13, v13, 23, 0x37800000
	s_delay_alu instid0(VALU_DEP_2) | instskip(NEXT) | instid1(VALU_DEP_1)
	v_lshlrev_b32_e32 v14, 21, v14
	v_or3_b32 v13, v12, v13, v14
.LBB6_3674:                             ;   in Loop: Header=BB6_3265 Depth=4
	s_or_b32 exec_lo, exec_lo, s35
	s_delay_alu instid0(VALU_DEP_1) | instskip(SKIP_2) | instid1(VALU_DEP_2)
	v_mul_f32_e32 v12, s34, v13
	v_mov_b32_e32 v76, 0x80
	s_mov_b32 s35, exec_lo
	v_and_b32_e32 v13, 0x7f800000, v12
	s_delay_alu instid0(VALU_DEP_1)
	v_cmpx_ne_u32_e32 0x7f800000, v13
	s_cbranch_execz .LBB6_3682
; %bb.3675:                             ;   in Loop: Header=BB6_3265 Depth=4
	v_mov_b32_e32 v76, 0
	s_mov_b32 s36, exec_lo
	v_cmpx_ne_u32_e32 0, v12
	s_cbranch_execz .LBB6_3681
; %bb.3676:                             ;   in Loop: Header=BB6_3265 Depth=4
	v_bfe_u32 v13, v12, 23, 8
	s_delay_alu instid0(VALU_DEP_1) | instskip(SKIP_1) | instid1(VALU_DEP_2)
	v_sub_nc_u32_e32 v15, 0x70, v13
	v_cmp_gt_u32_e32 vcc_lo, 0x71, v13
	v_dual_cndmask_b32 v15, 0, v15 :: v_dual_and_b32 v14, 0x7fffff, v12
	s_delay_alu instid0(VALU_DEP_1) | instskip(SKIP_2) | instid1(VALU_DEP_4)
	v_or_b32_e32 v16, 0x800000, v14
	v_cmp_eq_u32_e32 vcc_lo, 0, v13
	v_add_nc_u32_e32 v13, 0xffffff91, v13
	v_cndmask_b32_e64 v15, v15, 0x6f, vcc_lo
	s_delay_alu instid0(VALU_DEP_4) | instskip(NEXT) | instid1(VALU_DEP_3)
	v_cndmask_b32_e32 v14, v16, v14, vcc_lo
	v_cndmask_b32_e64 v13, v13, 0xffffff92, vcc_lo
	s_delay_alu instid0(VALU_DEP_3) | instskip(NEXT) | instid1(VALU_DEP_3)
	v_lshl_add_u32 v16, 0x200000, v15, -1
	v_lshrrev_b32_e32 v17, v15, v14
	v_lshlrev_b32_e64 v19, v15, 0x100000
	s_delay_alu instid0(VALU_DEP_4) | instskip(NEXT) | instid1(VALU_DEP_4)
	v_add_nc_u32_e32 v15, v15, v13
	v_and_b32_e32 v14, v16, v14
	s_delay_alu instid0(VALU_DEP_4) | instskip(NEXT) | instid1(VALU_DEP_2)
	v_bfe_u32 v18, v17, 21, 1
	v_cmp_eq_u32_e64 s13, v14, v19
	s_delay_alu instid0(VALU_DEP_2) | instskip(NEXT) | instid1(VALU_DEP_1)
	v_add_nc_u32_e32 v16, -1, v18
	v_cndmask_b32_e64 v14, 0, v16, s13
	v_lshrrev_b32_e32 v16, 23, v17
	s_mov_b32 s13, exec_lo
	s_delay_alu instid0(VALU_DEP_2) | instskip(NEXT) | instid1(VALU_DEP_2)
	v_add_nc_u32_e32 v14, v14, v17
	v_xor_b32_e32 v16, 1, v16
	s_delay_alu instid0(VALU_DEP_2) | instskip(NEXT) | instid1(VALU_DEP_1)
	v_and_b32_e32 v13, 0x1fffff, v14
	v_add_nc_u32_e32 v14, v13, v17
                                        ; implicit-def: $vgpr13
	s_delay_alu instid0(VALU_DEP_3)
	v_cmpx_ne_u32_e64 v15, v16
	s_xor_b32 s13, exec_lo, s13
; %bb.3677:                             ;   in Loop: Header=BB6_3265 Depth=4
	s_delay_alu instid0(VALU_DEP_2) | instskip(SKIP_2) | instid1(VALU_DEP_2)
	v_cmp_lt_u32_e32 vcc_lo, 0xffffff, v14
	v_sub_nc_u32_e32 v13, v15, v16
	v_cndmask_b32_e64 v15, 0, 1, vcc_lo
	v_add_co_ci_u32_e32 v13, vcc_lo, 0, v13, vcc_lo
	s_delay_alu instid0(VALU_DEP_2)
	v_lshrrev_b32_e32 v14, v15, v14
; %bb.3678:                             ;   in Loop: Header=BB6_3265 Depth=4
	s_and_not1_saveexec_b32 s13, s13
; %bb.3679:                             ;   in Loop: Header=BB6_3265 Depth=4
	s_delay_alu instid0(VALU_DEP_1)
	v_bfe_u32 v13, v14, 23, 1
; %bb.3680:                             ;   in Loop: Header=BB6_3265 Depth=4
	s_or_b32 exec_lo, exec_lo, s13
	v_lshrrev_b32_e32 v14, 21, v14
	s_delay_alu instid0(VALU_DEP_2) | instskip(SKIP_2) | instid1(VALU_DEP_4)
	v_cmp_gt_i32_e32 vcc_lo, 32, v13
	v_lshrrev_b32_e32 v12, 24, v12
	v_min_i32_e32 v15, 31, v13
	v_cndmask_b32_e32 v14, 3, v14, vcc_lo
	s_delay_alu instid0(VALU_DEP_3) | instskip(NEXT) | instid1(VALU_DEP_3)
	v_and_b32_e32 v12, 0x80, v12
	v_lshlrev_b32_e32 v15, 2, v15
	s_delay_alu instid0(VALU_DEP_3) | instskip(SKIP_1) | instid1(VALU_DEP_2)
	v_and_b32_e32 v16, 3, v14
	v_or_b32_e32 v13, v13, v14
	v_or3_b32 v12, v15, v12, v16
	s_delay_alu instid0(VALU_DEP_2) | instskip(NEXT) | instid1(VALU_DEP_2)
	v_cmp_ne_u32_e32 vcc_lo, 0, v13
	v_cndmask_b32_e32 v76, 0, v12, vcc_lo
.LBB6_3681:                             ;   in Loop: Header=BB6_3265 Depth=4
	s_or_b32 exec_lo, exec_lo, s36
.LBB6_3682:                             ;   in Loop: Header=BB6_3265 Depth=4
	s_delay_alu instid0(SALU_CYCLE_1) | instskip(SKIP_3) | instid1(VALU_DEP_1)
	s_or_b32 exec_lo, exec_lo, s35
	v_lshrrev_b32_e32 v12, 16, v8
	s_mov_b32 s13, 0
	s_mov_b32 s36, exec_lo
                                        ; implicit-def: $sgpr35
	v_and_b32_e32 v14, 0xff, v12
	s_delay_alu instid0(VALU_DEP_1)
	v_cmpx_lt_i16_e32 0x7f, v14
	s_xor_b32 s36, exec_lo, s36
	s_cbranch_execnz .LBB6_5200
; %bb.3683:                             ;   in Loop: Header=BB6_3265 Depth=4
	s_or_saveexec_b32 s36, s36
	v_mov_b32_e32 v13, s35
	s_xor_b32 exec_lo, exec_lo, s36
	s_cbranch_execnz .LBB6_5203
.LBB6_3684:                             ;   in Loop: Header=BB6_3265 Depth=4
	s_or_b32 exec_lo, exec_lo, s36
	s_and_saveexec_b32 s35, s13
	s_cbranch_execz .LBB6_3686
.LBB6_3685:                             ;   in Loop: Header=BB6_3265 Depth=4
	v_bfe_u32 v13, v8, 16, 2
	v_lshlrev_b32_e32 v16, 8, v8
	s_delay_alu instid0(VALU_DEP_2) | instskip(NEXT) | instid1(VALU_DEP_1)
	v_clz_i32_u32_e32 v14, v13
	v_min_u32_e32 v14, 32, v14
	s_delay_alu instid0(VALU_DEP_1) | instskip(SKIP_1) | instid1(VALU_DEP_2)
	v_subrev_nc_u32_e32 v15, 29, v14
	v_sub_nc_u32_e32 v14, 30, v14
	v_lshlrev_b32_e32 v12, v15, v12
	v_bfe_u32 v15, v8, 18, 5
	s_delay_alu instid0(VALU_DEP_2) | instskip(NEXT) | instid1(VALU_DEP_2)
	v_and_b32_e32 v12, 3, v12
	v_cmp_eq_u32_e32 vcc_lo, 0, v15
	v_cndmask_b32_e32 v14, v15, v14, vcc_lo
	s_delay_alu instid0(VALU_DEP_3) | instskip(SKIP_1) | instid1(VALU_DEP_3)
	v_cndmask_b32_e32 v12, v13, v12, vcc_lo
	v_and_b32_e32 v13, 0x80000000, v16
	v_lshl_add_u32 v14, v14, 23, 0x37800000
	s_delay_alu instid0(VALU_DEP_3) | instskip(NEXT) | instid1(VALU_DEP_1)
	v_lshlrev_b32_e32 v12, 21, v12
	v_or3_b32 v13, v13, v14, v12
.LBB6_3686:                             ;   in Loop: Header=BB6_3265 Depth=4
	s_or_b32 exec_lo, exec_lo, s35
	s_delay_alu instid0(VALU_DEP_1) | instskip(SKIP_2) | instid1(VALU_DEP_2)
	v_mul_f32_e32 v12, s34, v13
	v_mov_b32_e32 v74, 0x80
	s_mov_b32 s35, exec_lo
	v_and_b32_e32 v13, 0x7f800000, v12
	s_delay_alu instid0(VALU_DEP_1)
	v_cmpx_ne_u32_e32 0x7f800000, v13
	s_cbranch_execz .LBB6_3694
; %bb.3687:                             ;   in Loop: Header=BB6_3265 Depth=4
	v_mov_b32_e32 v74, 0
	s_mov_b32 s36, exec_lo
	v_cmpx_ne_u32_e32 0, v12
	s_cbranch_execz .LBB6_3693
; %bb.3688:                             ;   in Loop: Header=BB6_3265 Depth=4
	v_bfe_u32 v13, v12, 23, 8
	s_delay_alu instid0(VALU_DEP_1) | instskip(SKIP_1) | instid1(VALU_DEP_2)
	v_sub_nc_u32_e32 v15, 0x70, v13
	v_cmp_gt_u32_e32 vcc_lo, 0x71, v13
	v_dual_cndmask_b32 v15, 0, v15 :: v_dual_and_b32 v14, 0x7fffff, v12
	s_delay_alu instid0(VALU_DEP_1) | instskip(SKIP_2) | instid1(VALU_DEP_4)
	v_or_b32_e32 v16, 0x800000, v14
	v_cmp_eq_u32_e32 vcc_lo, 0, v13
	v_add_nc_u32_e32 v13, 0xffffff91, v13
	v_cndmask_b32_e64 v15, v15, 0x6f, vcc_lo
	s_delay_alu instid0(VALU_DEP_4) | instskip(NEXT) | instid1(VALU_DEP_3)
	v_cndmask_b32_e32 v14, v16, v14, vcc_lo
	v_cndmask_b32_e64 v13, v13, 0xffffff92, vcc_lo
	s_delay_alu instid0(VALU_DEP_3) | instskip(NEXT) | instid1(VALU_DEP_3)
	v_lshl_add_u32 v16, 0x200000, v15, -1
	v_lshrrev_b32_e32 v17, v15, v14
	v_lshlrev_b32_e64 v19, v15, 0x100000
	s_delay_alu instid0(VALU_DEP_4) | instskip(NEXT) | instid1(VALU_DEP_4)
	v_add_nc_u32_e32 v15, v15, v13
	v_and_b32_e32 v14, v16, v14
	s_delay_alu instid0(VALU_DEP_4) | instskip(NEXT) | instid1(VALU_DEP_2)
	v_bfe_u32 v18, v17, 21, 1
	v_cmp_eq_u32_e64 s13, v14, v19
	s_delay_alu instid0(VALU_DEP_2) | instskip(NEXT) | instid1(VALU_DEP_1)
	v_add_nc_u32_e32 v16, -1, v18
	v_cndmask_b32_e64 v14, 0, v16, s13
	v_lshrrev_b32_e32 v16, 23, v17
	s_mov_b32 s13, exec_lo
	s_delay_alu instid0(VALU_DEP_2) | instskip(NEXT) | instid1(VALU_DEP_2)
	v_add_nc_u32_e32 v14, v14, v17
	v_xor_b32_e32 v16, 1, v16
	s_delay_alu instid0(VALU_DEP_2) | instskip(NEXT) | instid1(VALU_DEP_1)
	v_and_b32_e32 v13, 0x1fffff, v14
	v_add_nc_u32_e32 v14, v13, v17
                                        ; implicit-def: $vgpr13
	s_delay_alu instid0(VALU_DEP_3)
	v_cmpx_ne_u32_e64 v15, v16
	s_xor_b32 s13, exec_lo, s13
; %bb.3689:                             ;   in Loop: Header=BB6_3265 Depth=4
	s_delay_alu instid0(VALU_DEP_2) | instskip(SKIP_2) | instid1(VALU_DEP_2)
	v_cmp_lt_u32_e32 vcc_lo, 0xffffff, v14
	v_sub_nc_u32_e32 v13, v15, v16
	v_cndmask_b32_e64 v15, 0, 1, vcc_lo
	v_add_co_ci_u32_e32 v13, vcc_lo, 0, v13, vcc_lo
	s_delay_alu instid0(VALU_DEP_2)
	v_lshrrev_b32_e32 v14, v15, v14
; %bb.3690:                             ;   in Loop: Header=BB6_3265 Depth=4
	s_and_not1_saveexec_b32 s13, s13
; %bb.3691:                             ;   in Loop: Header=BB6_3265 Depth=4
	s_delay_alu instid0(VALU_DEP_1)
	v_bfe_u32 v13, v14, 23, 1
; %bb.3692:                             ;   in Loop: Header=BB6_3265 Depth=4
	s_or_b32 exec_lo, exec_lo, s13
	v_lshrrev_b32_e32 v14, 21, v14
	s_delay_alu instid0(VALU_DEP_2) | instskip(SKIP_2) | instid1(VALU_DEP_4)
	v_cmp_gt_i32_e32 vcc_lo, 32, v13
	v_lshrrev_b32_e32 v12, 24, v12
	v_min_i32_e32 v15, 31, v13
	v_cndmask_b32_e32 v14, 3, v14, vcc_lo
	s_delay_alu instid0(VALU_DEP_3) | instskip(NEXT) | instid1(VALU_DEP_3)
	v_and_b32_e32 v12, 0x80, v12
	v_lshlrev_b32_e32 v15, 2, v15
	s_delay_alu instid0(VALU_DEP_3) | instskip(SKIP_1) | instid1(VALU_DEP_2)
	v_and_b32_e32 v16, 3, v14
	v_or_b32_e32 v13, v13, v14
	v_or3_b32 v12, v15, v12, v16
	s_delay_alu instid0(VALU_DEP_2) | instskip(NEXT) | instid1(VALU_DEP_2)
	v_cmp_ne_u32_e32 vcc_lo, 0, v13
	v_cndmask_b32_e32 v74, 0, v12, vcc_lo
.LBB6_3693:                             ;   in Loop: Header=BB6_3265 Depth=4
	s_or_b32 exec_lo, exec_lo, s36
.LBB6_3694:                             ;   in Loop: Header=BB6_3265 Depth=4
	s_delay_alu instid0(SALU_CYCLE_1) | instskip(SKIP_3) | instid1(VALU_DEP_1)
	s_or_b32 exec_lo, exec_lo, s35
	v_lshrrev_b32_e32 v12, 24, v8
	s_mov_b32 s13, 0
	s_mov_b32 s36, exec_lo
                                        ; implicit-def: $sgpr35
	v_cmpx_lt_i16_e32 0x7f, v12
	s_xor_b32 s36, exec_lo, s36
	s_cbranch_execnz .LBB6_5204
; %bb.3695:                             ;   in Loop: Header=BB6_3265 Depth=4
	s_or_saveexec_b32 s36, s36
	v_mov_b32_e32 v13, s35
	s_xor_b32 exec_lo, exec_lo, s36
	s_cbranch_execnz .LBB6_5207
.LBB6_3696:                             ;   in Loop: Header=BB6_3265 Depth=4
	s_or_b32 exec_lo, exec_lo, s36
	s_and_saveexec_b32 s35, s13
	s_cbranch_execz .LBB6_3698
.LBB6_3697:                             ;   in Loop: Header=BB6_3265 Depth=4
	v_bfe_u32 v13, v8, 24, 2
	s_delay_alu instid0(VALU_DEP_1) | instskip(NEXT) | instid1(VALU_DEP_1)
	v_clz_i32_u32_e32 v14, v13
	v_min_u32_e32 v14, 32, v14
	s_delay_alu instid0(VALU_DEP_1) | instskip(SKIP_1) | instid1(VALU_DEP_2)
	v_subrev_nc_u32_e32 v15, 29, v14
	v_sub_nc_u32_e32 v14, 30, v14
	v_lshlrev_b32_e32 v12, v15, v12
	v_bfe_u32 v15, v8, 26, 5
	v_and_b32_e32 v8, 0x80000000, v8
	s_delay_alu instid0(VALU_DEP_3) | instskip(NEXT) | instid1(VALU_DEP_3)
	v_and_b32_e32 v12, 3, v12
	v_cmp_eq_u32_e32 vcc_lo, 0, v15
	v_cndmask_b32_e32 v14, v15, v14, vcc_lo
	s_delay_alu instid0(VALU_DEP_3) | instskip(NEXT) | instid1(VALU_DEP_2)
	v_cndmask_b32_e32 v12, v13, v12, vcc_lo
	v_lshl_add_u32 v13, v14, 23, 0x37800000
	s_delay_alu instid0(VALU_DEP_2) | instskip(NEXT) | instid1(VALU_DEP_1)
	v_lshlrev_b32_e32 v12, 21, v12
	v_or3_b32 v13, v8, v13, v12
.LBB6_3698:                             ;   in Loop: Header=BB6_3265 Depth=4
	s_or_b32 exec_lo, exec_lo, s35
	s_delay_alu instid0(VALU_DEP_1) | instskip(SKIP_2) | instid1(VALU_DEP_2)
	v_mul_f32_e32 v8, s34, v13
	v_mov_b32_e32 v72, 0x80
	s_mov_b32 s35, exec_lo
	v_and_b32_e32 v12, 0x7f800000, v8
	s_delay_alu instid0(VALU_DEP_1)
	v_cmpx_ne_u32_e32 0x7f800000, v12
	s_cbranch_execz .LBB6_3706
; %bb.3699:                             ;   in Loop: Header=BB6_3265 Depth=4
	v_mov_b32_e32 v72, 0
	s_mov_b32 s36, exec_lo
	v_cmpx_ne_u32_e32 0, v8
	s_cbranch_execz .LBB6_3705
; %bb.3700:                             ;   in Loop: Header=BB6_3265 Depth=4
	v_bfe_u32 v12, v8, 23, 8
	s_delay_alu instid0(VALU_DEP_1) | instskip(SKIP_1) | instid1(VALU_DEP_2)
	v_sub_nc_u32_e32 v14, 0x70, v12
	v_cmp_gt_u32_e32 vcc_lo, 0x71, v12
	v_dual_cndmask_b32 v14, 0, v14 :: v_dual_and_b32 v13, 0x7fffff, v8
	s_delay_alu instid0(VALU_DEP_1) | instskip(SKIP_2) | instid1(VALU_DEP_4)
	v_or_b32_e32 v15, 0x800000, v13
	v_cmp_eq_u32_e32 vcc_lo, 0, v12
	v_add_nc_u32_e32 v12, 0xffffff91, v12
	v_cndmask_b32_e64 v14, v14, 0x6f, vcc_lo
	s_delay_alu instid0(VALU_DEP_4) | instskip(NEXT) | instid1(VALU_DEP_3)
	v_cndmask_b32_e32 v13, v15, v13, vcc_lo
	v_cndmask_b32_e64 v12, v12, 0xffffff92, vcc_lo
	s_delay_alu instid0(VALU_DEP_3) | instskip(NEXT) | instid1(VALU_DEP_3)
	v_lshl_add_u32 v15, 0x200000, v14, -1
	v_lshrrev_b32_e32 v16, v14, v13
	v_lshlrev_b32_e64 v18, v14, 0x100000
	s_delay_alu instid0(VALU_DEP_4) | instskip(NEXT) | instid1(VALU_DEP_4)
	v_add_nc_u32_e32 v14, v14, v12
	v_and_b32_e32 v13, v15, v13
	s_delay_alu instid0(VALU_DEP_4) | instskip(NEXT) | instid1(VALU_DEP_2)
	v_bfe_u32 v17, v16, 21, 1
	v_cmp_eq_u32_e64 s13, v13, v18
	s_delay_alu instid0(VALU_DEP_2) | instskip(NEXT) | instid1(VALU_DEP_1)
	v_add_nc_u32_e32 v15, -1, v17
	v_cndmask_b32_e64 v13, 0, v15, s13
	v_lshrrev_b32_e32 v15, 23, v16
	s_mov_b32 s13, exec_lo
	s_delay_alu instid0(VALU_DEP_2) | instskip(NEXT) | instid1(VALU_DEP_2)
	v_add_nc_u32_e32 v13, v13, v16
	v_xor_b32_e32 v15, 1, v15
	s_delay_alu instid0(VALU_DEP_2) | instskip(NEXT) | instid1(VALU_DEP_1)
	v_and_b32_e32 v12, 0x1fffff, v13
	v_add_nc_u32_e32 v13, v12, v16
                                        ; implicit-def: $vgpr12
	s_delay_alu instid0(VALU_DEP_3)
	v_cmpx_ne_u32_e64 v14, v15
	s_xor_b32 s13, exec_lo, s13
; %bb.3701:                             ;   in Loop: Header=BB6_3265 Depth=4
	s_delay_alu instid0(VALU_DEP_2) | instskip(SKIP_2) | instid1(VALU_DEP_2)
	v_cmp_lt_u32_e32 vcc_lo, 0xffffff, v13
	v_sub_nc_u32_e32 v12, v14, v15
	v_cndmask_b32_e64 v14, 0, 1, vcc_lo
	v_add_co_ci_u32_e32 v12, vcc_lo, 0, v12, vcc_lo
	s_delay_alu instid0(VALU_DEP_2)
	v_lshrrev_b32_e32 v13, v14, v13
; %bb.3702:                             ;   in Loop: Header=BB6_3265 Depth=4
	s_and_not1_saveexec_b32 s13, s13
; %bb.3703:                             ;   in Loop: Header=BB6_3265 Depth=4
	s_delay_alu instid0(VALU_DEP_1)
	v_bfe_u32 v12, v13, 23, 1
; %bb.3704:                             ;   in Loop: Header=BB6_3265 Depth=4
	s_or_b32 exec_lo, exec_lo, s13
	v_lshrrev_b32_e32 v13, 21, v13
	s_delay_alu instid0(VALU_DEP_2) | instskip(SKIP_2) | instid1(VALU_DEP_2)
	v_cmp_gt_i32_e32 vcc_lo, 32, v12
	v_lshrrev_b32_e32 v8, 24, v8
	v_min_i32_e32 v14, 31, v12
	v_dual_cndmask_b32 v13, 3, v13 :: v_dual_and_b32 v8, 0x80, v8
	s_delay_alu instid0(VALU_DEP_2) | instskip(NEXT) | instid1(VALU_DEP_2)
	v_lshlrev_b32_e32 v14, 2, v14
	v_or_b32_e32 v12, v12, v13
	s_delay_alu instid0(VALU_DEP_1) | instskip(SKIP_1) | instid1(VALU_DEP_1)
	v_cmp_ne_u32_e32 vcc_lo, 0, v12
	v_and_b32_e32 v15, 3, v13
	v_or3_b32 v8, v14, v8, v15
	s_delay_alu instid0(VALU_DEP_1)
	v_cndmask_b32_e32 v72, 0, v8, vcc_lo
.LBB6_3705:                             ;   in Loop: Header=BB6_3265 Depth=4
	s_or_b32 exec_lo, exec_lo, s36
.LBB6_3706:                             ;   in Loop: Header=BB6_3265 Depth=4
	s_delay_alu instid0(SALU_CYCLE_1) | instskip(SKIP_3) | instid1(VALU_DEP_1)
	s_or_b32 exec_lo, exec_lo, s35
	v_and_b32_e32 v12, 0xff, v9
	s_mov_b32 s13, 0
	s_mov_b32 s36, exec_lo
                                        ; implicit-def: $sgpr35
	v_cmpx_lt_i16_e32 0x7f, v12
	s_xor_b32 s36, exec_lo, s36
	s_cbranch_execnz .LBB6_5208
; %bb.3707:                             ;   in Loop: Header=BB6_3265 Depth=4
	s_or_saveexec_b32 s36, s36
	v_mov_b32_e32 v8, s35
	s_xor_b32 exec_lo, exec_lo, s36
	s_cbranch_execnz .LBB6_5211
.LBB6_3708:                             ;   in Loop: Header=BB6_3265 Depth=4
	s_or_b32 exec_lo, exec_lo, s36
	s_and_saveexec_b32 s35, s13
	s_cbranch_execz .LBB6_3710
.LBB6_3709:                             ;   in Loop: Header=BB6_3265 Depth=4
	v_and_b32_e32 v8, 3, v9
	v_bfe_u32 v14, v9, 2, 5
	v_lshlrev_b32_e32 v15, 24, v9
	s_delay_alu instid0(VALU_DEP_3) | instskip(NEXT) | instid1(VALU_DEP_3)
	v_clz_i32_u32_e32 v12, v8
	v_cmp_eq_u32_e32 vcc_lo, 0, v14
	s_delay_alu instid0(VALU_DEP_2) | instskip(NEXT) | instid1(VALU_DEP_1)
	v_min_u32_e32 v12, 32, v12
	v_subrev_nc_u32_e32 v13, 29, v12
	v_sub_nc_u32_e32 v12, 30, v12
	s_delay_alu instid0(VALU_DEP_1) | instskip(NEXT) | instid1(VALU_DEP_1)
	v_dual_cndmask_b32 v12, v14, v12 :: v_dual_lshlrev_b32 v13, v13, v9
	v_and_b32_e32 v13, 3, v13
	s_delay_alu instid0(VALU_DEP_2) | instskip(NEXT) | instid1(VALU_DEP_2)
	v_lshl_add_u32 v12, v12, 23, 0x37800000
	v_dual_cndmask_b32 v8, v8, v13 :: v_dual_and_b32 v13, 0x80000000, v15
	s_delay_alu instid0(VALU_DEP_1) | instskip(NEXT) | instid1(VALU_DEP_1)
	v_lshlrev_b32_e32 v8, 21, v8
	v_or3_b32 v8, v13, v12, v8
.LBB6_3710:                             ;   in Loop: Header=BB6_3265 Depth=4
	s_or_b32 exec_lo, exec_lo, s35
	s_delay_alu instid0(VALU_DEP_1) | instskip(SKIP_1) | instid1(VALU_DEP_1)
	v_dual_mul_f32 v8, s34, v8 :: v_dual_mov_b32 v63, 0x80
	s_mov_b32 s35, exec_lo
	v_and_b32_e32 v12, 0x7f800000, v8
	s_delay_alu instid0(VALU_DEP_1)
	v_cmpx_ne_u32_e32 0x7f800000, v12
	s_cbranch_execz .LBB6_3718
; %bb.3711:                             ;   in Loop: Header=BB6_3265 Depth=4
	v_mov_b32_e32 v63, 0
	s_mov_b32 s36, exec_lo
	v_cmpx_ne_u32_e32 0, v8
	s_cbranch_execz .LBB6_3717
; %bb.3712:                             ;   in Loop: Header=BB6_3265 Depth=4
	v_bfe_u32 v12, v8, 23, 8
	s_delay_alu instid0(VALU_DEP_1) | instskip(SKIP_1) | instid1(VALU_DEP_2)
	v_sub_nc_u32_e32 v14, 0x70, v12
	v_cmp_gt_u32_e32 vcc_lo, 0x71, v12
	v_dual_cndmask_b32 v14, 0, v14 :: v_dual_and_b32 v13, 0x7fffff, v8
	s_delay_alu instid0(VALU_DEP_1) | instskip(SKIP_2) | instid1(VALU_DEP_4)
	v_or_b32_e32 v15, 0x800000, v13
	v_cmp_eq_u32_e32 vcc_lo, 0, v12
	v_add_nc_u32_e32 v12, 0xffffff91, v12
	v_cndmask_b32_e64 v14, v14, 0x6f, vcc_lo
	s_delay_alu instid0(VALU_DEP_4) | instskip(NEXT) | instid1(VALU_DEP_3)
	v_cndmask_b32_e32 v13, v15, v13, vcc_lo
	v_cndmask_b32_e64 v12, v12, 0xffffff92, vcc_lo
	s_delay_alu instid0(VALU_DEP_3) | instskip(NEXT) | instid1(VALU_DEP_3)
	v_lshl_add_u32 v15, 0x200000, v14, -1
	v_lshrrev_b32_e32 v16, v14, v13
	v_lshlrev_b32_e64 v18, v14, 0x100000
	s_delay_alu instid0(VALU_DEP_4) | instskip(NEXT) | instid1(VALU_DEP_4)
	v_add_nc_u32_e32 v14, v14, v12
	v_and_b32_e32 v13, v15, v13
	s_delay_alu instid0(VALU_DEP_4) | instskip(NEXT) | instid1(VALU_DEP_2)
	v_bfe_u32 v17, v16, 21, 1
	v_cmp_eq_u32_e64 s13, v13, v18
	s_delay_alu instid0(VALU_DEP_2) | instskip(NEXT) | instid1(VALU_DEP_1)
	v_add_nc_u32_e32 v15, -1, v17
	v_cndmask_b32_e64 v13, 0, v15, s13
	v_lshrrev_b32_e32 v15, 23, v16
	s_mov_b32 s13, exec_lo
	s_delay_alu instid0(VALU_DEP_2) | instskip(NEXT) | instid1(VALU_DEP_2)
	v_add_nc_u32_e32 v13, v13, v16
	v_xor_b32_e32 v15, 1, v15
	s_delay_alu instid0(VALU_DEP_2) | instskip(NEXT) | instid1(VALU_DEP_1)
	v_and_b32_e32 v12, 0x1fffff, v13
	v_add_nc_u32_e32 v13, v12, v16
                                        ; implicit-def: $vgpr12
	s_delay_alu instid0(VALU_DEP_3)
	v_cmpx_ne_u32_e64 v14, v15
	s_xor_b32 s13, exec_lo, s13
; %bb.3713:                             ;   in Loop: Header=BB6_3265 Depth=4
	s_delay_alu instid0(VALU_DEP_2) | instskip(SKIP_2) | instid1(VALU_DEP_2)
	v_cmp_lt_u32_e32 vcc_lo, 0xffffff, v13
	v_sub_nc_u32_e32 v12, v14, v15
	v_cndmask_b32_e64 v14, 0, 1, vcc_lo
	v_add_co_ci_u32_e32 v12, vcc_lo, 0, v12, vcc_lo
	s_delay_alu instid0(VALU_DEP_2)
	v_lshrrev_b32_e32 v13, v14, v13
; %bb.3714:                             ;   in Loop: Header=BB6_3265 Depth=4
	s_and_not1_saveexec_b32 s13, s13
; %bb.3715:                             ;   in Loop: Header=BB6_3265 Depth=4
	s_delay_alu instid0(VALU_DEP_1)
	v_bfe_u32 v12, v13, 23, 1
; %bb.3716:                             ;   in Loop: Header=BB6_3265 Depth=4
	s_or_b32 exec_lo, exec_lo, s13
	v_lshrrev_b32_e32 v13, 21, v13
	s_delay_alu instid0(VALU_DEP_2) | instskip(SKIP_2) | instid1(VALU_DEP_2)
	v_cmp_gt_i32_e32 vcc_lo, 32, v12
	v_min_i32_e32 v14, 31, v12
	v_lshrrev_b32_e32 v8, 24, v8
	v_dual_cndmask_b32 v13, 3, v13 :: v_dual_lshlrev_b32 v14, 2, v14
	s_delay_alu instid0(VALU_DEP_2) | instskip(NEXT) | instid1(VALU_DEP_2)
	v_and_b32_e32 v8, 0x80, v8
	v_or_b32_e32 v12, v12, v13
	v_and_b32_e32 v15, 3, v13
	s_delay_alu instid0(VALU_DEP_2) | instskip(SKIP_1) | instid1(VALU_DEP_1)
	v_cmp_ne_u32_e32 vcc_lo, 0, v12
	v_and_b32_e32 v14, 0xfc, v14
	v_or3_b32 v8, v14, v8, v15
	s_delay_alu instid0(VALU_DEP_1)
	v_cndmask_b32_e32 v63, 0, v8, vcc_lo
.LBB6_3717:                             ;   in Loop: Header=BB6_3265 Depth=4
	s_or_b32 exec_lo, exec_lo, s36
.LBB6_3718:                             ;   in Loop: Header=BB6_3265 Depth=4
	s_delay_alu instid0(SALU_CYCLE_1) | instskip(SKIP_3) | instid1(VALU_DEP_1)
	s_or_b32 exec_lo, exec_lo, s35
	v_lshrrev_b16 v8, 8, v9
	s_mov_b32 s13, 0
	s_mov_b32 s36, exec_lo
                                        ; implicit-def: $sgpr35
	v_cmpx_lt_i16_e32 0x7f, v8
	s_xor_b32 s36, exec_lo, s36
	s_cbranch_execnz .LBB6_5212
; %bb.3719:                             ;   in Loop: Header=BB6_3265 Depth=4
	s_or_saveexec_b32 s36, s36
	v_mov_b32_e32 v12, s35
	s_xor_b32 exec_lo, exec_lo, s36
	s_cbranch_execnz .LBB6_5215
.LBB6_3720:                             ;   in Loop: Header=BB6_3265 Depth=4
	s_or_b32 exec_lo, exec_lo, s36
	s_and_saveexec_b32 s35, s13
	s_cbranch_execz .LBB6_3722
.LBB6_3721:                             ;   in Loop: Header=BB6_3265 Depth=4
	v_and_b32_e32 v12, 0xffff, v8
	v_lshlrev_b32_e32 v8, 24, v8
	s_delay_alu instid0(VALU_DEP_2) | instskip(NEXT) | instid1(VALU_DEP_2)
	v_and_b32_e32 v13, 3, v12
	v_and_b32_e32 v8, 0x80000000, v8
	s_delay_alu instid0(VALU_DEP_2) | instskip(NEXT) | instid1(VALU_DEP_1)
	v_clz_i32_u32_e32 v14, v13
	v_min_u32_e32 v14, 32, v14
	s_delay_alu instid0(VALU_DEP_1) | instskip(SKIP_1) | instid1(VALU_DEP_2)
	v_subrev_nc_u32_e32 v15, 29, v14
	v_sub_nc_u32_e32 v14, 30, v14
	v_lshlrev_b32_e32 v15, v15, v12
	v_bfe_u32 v12, v12, 2, 5
	s_delay_alu instid0(VALU_DEP_2) | instskip(NEXT) | instid1(VALU_DEP_2)
	v_and_b32_e32 v15, 3, v15
	v_cmp_eq_u32_e32 vcc_lo, 0, v12
	s_delay_alu instid0(VALU_DEP_2) | instskip(NEXT) | instid1(VALU_DEP_1)
	v_dual_cndmask_b32 v12, v12, v14 :: v_dual_cndmask_b32 v13, v13, v15
	v_lshl_add_u32 v12, v12, 23, 0x37800000
	s_delay_alu instid0(VALU_DEP_2) | instskip(NEXT) | instid1(VALU_DEP_1)
	v_lshlrev_b32_e32 v13, 21, v13
	v_or3_b32 v12, v8, v12, v13
.LBB6_3722:                             ;   in Loop: Header=BB6_3265 Depth=4
	s_or_b32 exec_lo, exec_lo, s35
	s_delay_alu instid0(VALU_DEP_1) | instskip(SKIP_1) | instid1(VALU_DEP_1)
	v_dual_mul_f32 v8, s34, v12 :: v_dual_mov_b32 v77, 0x8000
	s_mov_b32 s35, exec_lo
	v_and_b32_e32 v12, 0x7f800000, v8
	s_delay_alu instid0(VALU_DEP_1)
	v_cmpx_ne_u32_e32 0x7f800000, v12
	s_cbranch_execz .LBB6_3730
; %bb.3723:                             ;   in Loop: Header=BB6_3265 Depth=4
	v_mov_b32_e32 v77, 0
	s_mov_b32 s36, exec_lo
	v_cmpx_ne_u32_e32 0, v8
	s_cbranch_execz .LBB6_3729
; %bb.3724:                             ;   in Loop: Header=BB6_3265 Depth=4
	v_bfe_u32 v12, v8, 23, 8
	s_delay_alu instid0(VALU_DEP_1) | instskip(SKIP_1) | instid1(VALU_DEP_2)
	v_sub_nc_u32_e32 v14, 0x70, v12
	v_cmp_gt_u32_e32 vcc_lo, 0x71, v12
	v_dual_cndmask_b32 v14, 0, v14 :: v_dual_and_b32 v13, 0x7fffff, v8
	s_delay_alu instid0(VALU_DEP_1) | instskip(SKIP_2) | instid1(VALU_DEP_4)
	v_or_b32_e32 v15, 0x800000, v13
	v_cmp_eq_u32_e32 vcc_lo, 0, v12
	v_add_nc_u32_e32 v12, 0xffffff91, v12
	v_cndmask_b32_e64 v14, v14, 0x6f, vcc_lo
	s_delay_alu instid0(VALU_DEP_4) | instskip(NEXT) | instid1(VALU_DEP_3)
	v_cndmask_b32_e32 v13, v15, v13, vcc_lo
	v_cndmask_b32_e64 v12, v12, 0xffffff92, vcc_lo
	s_delay_alu instid0(VALU_DEP_3) | instskip(NEXT) | instid1(VALU_DEP_3)
	v_lshl_add_u32 v15, 0x200000, v14, -1
	v_lshrrev_b32_e32 v16, v14, v13
	v_lshlrev_b32_e64 v18, v14, 0x100000
	s_delay_alu instid0(VALU_DEP_4) | instskip(NEXT) | instid1(VALU_DEP_4)
	v_add_nc_u32_e32 v14, v14, v12
	v_and_b32_e32 v13, v15, v13
	s_delay_alu instid0(VALU_DEP_4) | instskip(NEXT) | instid1(VALU_DEP_2)
	v_bfe_u32 v17, v16, 21, 1
	v_cmp_eq_u32_e64 s13, v13, v18
	s_delay_alu instid0(VALU_DEP_2) | instskip(NEXT) | instid1(VALU_DEP_1)
	v_add_nc_u32_e32 v15, -1, v17
	v_cndmask_b32_e64 v13, 0, v15, s13
	v_lshrrev_b32_e32 v15, 23, v16
	s_mov_b32 s13, exec_lo
	s_delay_alu instid0(VALU_DEP_2) | instskip(NEXT) | instid1(VALU_DEP_2)
	v_add_nc_u32_e32 v13, v13, v16
	v_xor_b32_e32 v15, 1, v15
	s_delay_alu instid0(VALU_DEP_2) | instskip(NEXT) | instid1(VALU_DEP_1)
	v_and_b32_e32 v12, 0x1fffff, v13
	v_add_nc_u32_e32 v13, v12, v16
                                        ; implicit-def: $vgpr12
	s_delay_alu instid0(VALU_DEP_3)
	v_cmpx_ne_u32_e64 v14, v15
	s_xor_b32 s13, exec_lo, s13
; %bb.3725:                             ;   in Loop: Header=BB6_3265 Depth=4
	s_delay_alu instid0(VALU_DEP_2) | instskip(SKIP_2) | instid1(VALU_DEP_2)
	v_cmp_lt_u32_e32 vcc_lo, 0xffffff, v13
	v_sub_nc_u32_e32 v12, v14, v15
	v_cndmask_b32_e64 v14, 0, 1, vcc_lo
	v_add_co_ci_u32_e32 v12, vcc_lo, 0, v12, vcc_lo
	s_delay_alu instid0(VALU_DEP_2)
	v_lshrrev_b32_e32 v13, v14, v13
; %bb.3726:                             ;   in Loop: Header=BB6_3265 Depth=4
	s_and_not1_saveexec_b32 s13, s13
; %bb.3727:                             ;   in Loop: Header=BB6_3265 Depth=4
	s_delay_alu instid0(VALU_DEP_1)
	v_bfe_u32 v12, v13, 23, 1
; %bb.3728:                             ;   in Loop: Header=BB6_3265 Depth=4
	s_or_b32 exec_lo, exec_lo, s13
	v_lshrrev_b32_e32 v13, 21, v13
	s_delay_alu instid0(VALU_DEP_2) | instskip(SKIP_2) | instid1(VALU_DEP_2)
	v_cmp_gt_i32_e32 vcc_lo, 32, v12
	v_min_i32_e32 v14, 31, v12
	v_lshrrev_b32_e32 v8, 24, v8
	v_dual_cndmask_b32 v13, 3, v13 :: v_dual_lshlrev_b32 v14, 2, v14
	s_delay_alu instid0(VALU_DEP_2) | instskip(NEXT) | instid1(VALU_DEP_2)
	v_and_b32_e32 v8, 0x80, v8
	v_or_b32_e32 v12, v12, v13
	v_and_b32_e32 v15, 3, v13
	s_delay_alu instid0(VALU_DEP_2) | instskip(SKIP_1) | instid1(VALU_DEP_1)
	v_cmp_ne_u32_e32 vcc_lo, 0, v12
	v_and_b32_e32 v14, 0xfc, v14
	v_or3_b32 v8, v8, v14, v15
	s_delay_alu instid0(VALU_DEP_1) | instskip(NEXT) | instid1(VALU_DEP_1)
	v_lshlrev_b32_e32 v8, 8, v8
	v_cndmask_b32_e32 v77, 0, v8, vcc_lo
.LBB6_3729:                             ;   in Loop: Header=BB6_3265 Depth=4
	s_or_b32 exec_lo, exec_lo, s36
.LBB6_3730:                             ;   in Loop: Header=BB6_3265 Depth=4
	s_delay_alu instid0(SALU_CYCLE_1) | instskip(SKIP_3) | instid1(VALU_DEP_1)
	s_or_b32 exec_lo, exec_lo, s35
	v_lshrrev_b32_e32 v8, 16, v9
	s_mov_b32 s13, 0
	s_mov_b32 s36, exec_lo
                                        ; implicit-def: $sgpr35
	v_and_b32_e32 v13, 0xff, v8
	s_delay_alu instid0(VALU_DEP_1)
	v_cmpx_lt_i16_e32 0x7f, v13
	s_xor_b32 s36, exec_lo, s36
	s_cbranch_execnz .LBB6_5216
; %bb.3731:                             ;   in Loop: Header=BB6_3265 Depth=4
	s_or_saveexec_b32 s36, s36
	v_mov_b32_e32 v12, s35
	s_xor_b32 exec_lo, exec_lo, s36
	s_cbranch_execnz .LBB6_5219
.LBB6_3732:                             ;   in Loop: Header=BB6_3265 Depth=4
	s_or_b32 exec_lo, exec_lo, s36
	s_and_saveexec_b32 s35, s13
	s_cbranch_execz .LBB6_3734
.LBB6_3733:                             ;   in Loop: Header=BB6_3265 Depth=4
	v_bfe_u32 v12, v9, 16, 2
	s_delay_alu instid0(VALU_DEP_1) | instskip(NEXT) | instid1(VALU_DEP_1)
	v_clz_i32_u32_e32 v13, v12
	v_min_u32_e32 v13, 32, v13
	s_delay_alu instid0(VALU_DEP_1) | instskip(SKIP_1) | instid1(VALU_DEP_2)
	v_subrev_nc_u32_e32 v14, 29, v13
	v_sub_nc_u32_e32 v13, 30, v13
	v_lshlrev_b32_e32 v8, v14, v8
	v_bfe_u32 v14, v9, 18, 5
	s_delay_alu instid0(VALU_DEP_1) | instskip(NEXT) | instid1(VALU_DEP_3)
	v_cmp_eq_u32_e32 vcc_lo, 0, v14
	v_dual_cndmask_b32 v13, v14, v13 :: v_dual_and_b32 v8, 3, v8
	s_delay_alu instid0(VALU_DEP_1) | instskip(NEXT) | instid1(VALU_DEP_2)
	v_dual_cndmask_b32 v8, v12, v8 :: v_dual_lshlrev_b32 v15, 8, v9
	v_lshl_add_u32 v13, v13, 23, 0x37800000
	s_delay_alu instid0(VALU_DEP_2) | instskip(NEXT) | instid1(VALU_DEP_3)
	v_and_b32_e32 v12, 0x80000000, v15
	v_lshlrev_b32_e32 v8, 21, v8
	s_delay_alu instid0(VALU_DEP_1)
	v_or3_b32 v12, v12, v13, v8
.LBB6_3734:                             ;   in Loop: Header=BB6_3265 Depth=4
	s_or_b32 exec_lo, exec_lo, s35
	s_delay_alu instid0(VALU_DEP_1) | instskip(SKIP_1) | instid1(VALU_DEP_1)
	v_dual_mul_f32 v8, s34, v12 :: v_dual_mov_b32 v61, 0x80
	s_mov_b32 s35, exec_lo
	v_and_b32_e32 v12, 0x7f800000, v8
	s_delay_alu instid0(VALU_DEP_1)
	v_cmpx_ne_u32_e32 0x7f800000, v12
	s_cbranch_execz .LBB6_3742
; %bb.3735:                             ;   in Loop: Header=BB6_3265 Depth=4
	v_mov_b32_e32 v61, 0
	s_mov_b32 s36, exec_lo
	v_cmpx_ne_u32_e32 0, v8
	s_cbranch_execz .LBB6_3741
; %bb.3736:                             ;   in Loop: Header=BB6_3265 Depth=4
	v_bfe_u32 v12, v8, 23, 8
	s_delay_alu instid0(VALU_DEP_1) | instskip(SKIP_1) | instid1(VALU_DEP_2)
	v_sub_nc_u32_e32 v14, 0x70, v12
	v_cmp_gt_u32_e32 vcc_lo, 0x71, v12
	v_dual_cndmask_b32 v14, 0, v14 :: v_dual_and_b32 v13, 0x7fffff, v8
	s_delay_alu instid0(VALU_DEP_1) | instskip(SKIP_2) | instid1(VALU_DEP_4)
	v_or_b32_e32 v15, 0x800000, v13
	v_cmp_eq_u32_e32 vcc_lo, 0, v12
	v_add_nc_u32_e32 v12, 0xffffff91, v12
	v_cndmask_b32_e64 v14, v14, 0x6f, vcc_lo
	s_delay_alu instid0(VALU_DEP_4) | instskip(NEXT) | instid1(VALU_DEP_3)
	v_cndmask_b32_e32 v13, v15, v13, vcc_lo
	v_cndmask_b32_e64 v12, v12, 0xffffff92, vcc_lo
	s_delay_alu instid0(VALU_DEP_3) | instskip(NEXT) | instid1(VALU_DEP_3)
	v_lshl_add_u32 v15, 0x200000, v14, -1
	v_lshrrev_b32_e32 v16, v14, v13
	v_lshlrev_b32_e64 v18, v14, 0x100000
	s_delay_alu instid0(VALU_DEP_4) | instskip(NEXT) | instid1(VALU_DEP_4)
	v_add_nc_u32_e32 v14, v14, v12
	v_and_b32_e32 v13, v15, v13
	s_delay_alu instid0(VALU_DEP_4) | instskip(NEXT) | instid1(VALU_DEP_2)
	v_bfe_u32 v17, v16, 21, 1
	v_cmp_eq_u32_e64 s13, v13, v18
	s_delay_alu instid0(VALU_DEP_2) | instskip(NEXT) | instid1(VALU_DEP_1)
	v_add_nc_u32_e32 v15, -1, v17
	v_cndmask_b32_e64 v13, 0, v15, s13
	v_lshrrev_b32_e32 v15, 23, v16
	s_mov_b32 s13, exec_lo
	s_delay_alu instid0(VALU_DEP_2) | instskip(NEXT) | instid1(VALU_DEP_2)
	v_add_nc_u32_e32 v13, v13, v16
	v_xor_b32_e32 v15, 1, v15
	s_delay_alu instid0(VALU_DEP_2) | instskip(NEXT) | instid1(VALU_DEP_1)
	v_and_b32_e32 v12, 0x1fffff, v13
	v_add_nc_u32_e32 v13, v12, v16
                                        ; implicit-def: $vgpr12
	s_delay_alu instid0(VALU_DEP_3)
	v_cmpx_ne_u32_e64 v14, v15
	s_xor_b32 s13, exec_lo, s13
; %bb.3737:                             ;   in Loop: Header=BB6_3265 Depth=4
	s_delay_alu instid0(VALU_DEP_2) | instskip(SKIP_2) | instid1(VALU_DEP_2)
	v_cmp_lt_u32_e32 vcc_lo, 0xffffff, v13
	v_sub_nc_u32_e32 v12, v14, v15
	v_cndmask_b32_e64 v14, 0, 1, vcc_lo
	v_add_co_ci_u32_e32 v12, vcc_lo, 0, v12, vcc_lo
	s_delay_alu instid0(VALU_DEP_2)
	v_lshrrev_b32_e32 v13, v14, v13
; %bb.3738:                             ;   in Loop: Header=BB6_3265 Depth=4
	s_and_not1_saveexec_b32 s13, s13
; %bb.3739:                             ;   in Loop: Header=BB6_3265 Depth=4
	s_delay_alu instid0(VALU_DEP_1)
	v_bfe_u32 v12, v13, 23, 1
; %bb.3740:                             ;   in Loop: Header=BB6_3265 Depth=4
	s_or_b32 exec_lo, exec_lo, s13
	v_lshrrev_b32_e32 v13, 21, v13
	s_delay_alu instid0(VALU_DEP_2) | instskip(SKIP_2) | instid1(VALU_DEP_2)
	v_cmp_gt_i32_e32 vcc_lo, 32, v12
	v_min_i32_e32 v14, 31, v12
	v_lshrrev_b32_e32 v8, 24, v8
	v_dual_cndmask_b32 v13, 3, v13 :: v_dual_lshlrev_b32 v14, 2, v14
	s_delay_alu instid0(VALU_DEP_2) | instskip(NEXT) | instid1(VALU_DEP_2)
	v_and_b32_e32 v8, 0x80, v8
	v_or_b32_e32 v12, v12, v13
	v_and_b32_e32 v15, 3, v13
	s_delay_alu instid0(VALU_DEP_2) | instskip(SKIP_1) | instid1(VALU_DEP_1)
	v_cmp_ne_u32_e32 vcc_lo, 0, v12
	v_and_b32_e32 v14, 0xfc, v14
	v_or3_b32 v8, v14, v8, v15
	s_delay_alu instid0(VALU_DEP_1)
	v_cndmask_b32_e32 v61, 0, v8, vcc_lo
.LBB6_3741:                             ;   in Loop: Header=BB6_3265 Depth=4
	s_or_b32 exec_lo, exec_lo, s36
.LBB6_3742:                             ;   in Loop: Header=BB6_3265 Depth=4
	s_delay_alu instid0(SALU_CYCLE_1) | instskip(SKIP_3) | instid1(VALU_DEP_1)
	s_or_b32 exec_lo, exec_lo, s35
	v_lshrrev_b32_e32 v8, 24, v9
	s_mov_b32 s13, 0
	s_mov_b32 s36, exec_lo
                                        ; implicit-def: $sgpr35
	v_cmpx_lt_i16_e32 0x7f, v8
	s_xor_b32 s36, exec_lo, s36
	s_cbranch_execnz .LBB6_5220
; %bb.3743:                             ;   in Loop: Header=BB6_3265 Depth=4
	s_or_saveexec_b32 s36, s36
	v_mov_b32_e32 v12, s35
	s_xor_b32 exec_lo, exec_lo, s36
	s_cbranch_execnz .LBB6_5223
.LBB6_3744:                             ;   in Loop: Header=BB6_3265 Depth=4
	s_or_b32 exec_lo, exec_lo, s36
	s_and_saveexec_b32 s35, s13
	s_cbranch_execz .LBB6_3746
.LBB6_3745:                             ;   in Loop: Header=BB6_3265 Depth=4
	v_bfe_u32 v12, v9, 24, 2
	s_delay_alu instid0(VALU_DEP_1) | instskip(NEXT) | instid1(VALU_DEP_1)
	v_clz_i32_u32_e32 v13, v12
	v_min_u32_e32 v13, 32, v13
	s_delay_alu instid0(VALU_DEP_1) | instskip(SKIP_1) | instid1(VALU_DEP_2)
	v_subrev_nc_u32_e32 v14, 29, v13
	v_sub_nc_u32_e32 v13, 30, v13
	v_lshlrev_b32_e32 v8, v14, v8
	v_bfe_u32 v14, v9, 26, 5
	v_and_b32_e32 v9, 0x80000000, v9
	s_delay_alu instid0(VALU_DEP_2) | instskip(NEXT) | instid1(VALU_DEP_4)
	v_cmp_eq_u32_e32 vcc_lo, 0, v14
	v_dual_cndmask_b32 v13, v14, v13 :: v_dual_and_b32 v8, 3, v8
	s_delay_alu instid0(VALU_DEP_1) | instskip(NEXT) | instid1(VALU_DEP_2)
	v_cndmask_b32_e32 v8, v12, v8, vcc_lo
	v_lshl_add_u32 v12, v13, 23, 0x37800000
	s_delay_alu instid0(VALU_DEP_2) | instskip(NEXT) | instid1(VALU_DEP_1)
	v_lshlrev_b32_e32 v8, 21, v8
	v_or3_b32 v12, v9, v12, v8
.LBB6_3746:                             ;   in Loop: Header=BB6_3265 Depth=4
	s_or_b32 exec_lo, exec_lo, s35
	s_delay_alu instid0(VALU_DEP_1) | instskip(SKIP_1) | instid1(VALU_DEP_1)
	v_dual_mul_f32 v8, s34, v12 :: v_dual_mov_b32 v73, 0x8000
	s_mov_b32 s35, exec_lo
	v_and_b32_e32 v9, 0x7f800000, v8
	s_delay_alu instid0(VALU_DEP_1)
	v_cmpx_ne_u32_e32 0x7f800000, v9
	s_cbranch_execz .LBB6_3754
; %bb.3747:                             ;   in Loop: Header=BB6_3265 Depth=4
	v_mov_b32_e32 v73, 0
	s_mov_b32 s36, exec_lo
	v_cmpx_ne_u32_e32 0, v8
	s_cbranch_execz .LBB6_3753
; %bb.3748:                             ;   in Loop: Header=BB6_3265 Depth=4
	v_bfe_u32 v9, v8, 23, 8
	s_delay_alu instid0(VALU_DEP_1) | instskip(SKIP_1) | instid1(VALU_DEP_2)
	v_sub_nc_u32_e32 v13, 0x70, v9
	v_cmp_gt_u32_e32 vcc_lo, 0x71, v9
	v_dual_cndmask_b32 v13, 0, v13 :: v_dual_and_b32 v12, 0x7fffff, v8
	s_delay_alu instid0(VALU_DEP_1) | instskip(SKIP_2) | instid1(VALU_DEP_4)
	v_or_b32_e32 v14, 0x800000, v12
	v_cmp_eq_u32_e32 vcc_lo, 0, v9
	v_add_nc_u32_e32 v9, 0xffffff91, v9
	v_cndmask_b32_e64 v13, v13, 0x6f, vcc_lo
	s_delay_alu instid0(VALU_DEP_4) | instskip(NEXT) | instid1(VALU_DEP_3)
	v_cndmask_b32_e32 v12, v14, v12, vcc_lo
	v_cndmask_b32_e64 v9, v9, 0xffffff92, vcc_lo
	s_delay_alu instid0(VALU_DEP_3) | instskip(NEXT) | instid1(VALU_DEP_3)
	v_lshl_add_u32 v14, 0x200000, v13, -1
	v_lshrrev_b32_e32 v15, v13, v12
	v_lshlrev_b32_e64 v17, v13, 0x100000
	s_delay_alu instid0(VALU_DEP_4) | instskip(NEXT) | instid1(VALU_DEP_4)
	v_add_nc_u32_e32 v13, v13, v9
	v_and_b32_e32 v12, v14, v12
	s_delay_alu instid0(VALU_DEP_4) | instskip(NEXT) | instid1(VALU_DEP_2)
	v_bfe_u32 v16, v15, 21, 1
	v_cmp_eq_u32_e64 s13, v12, v17
	s_delay_alu instid0(VALU_DEP_2) | instskip(NEXT) | instid1(VALU_DEP_1)
	v_add_nc_u32_e32 v14, -1, v16
	v_cndmask_b32_e64 v12, 0, v14, s13
	v_lshrrev_b32_e32 v14, 23, v15
	s_mov_b32 s13, exec_lo
	s_delay_alu instid0(VALU_DEP_2) | instskip(NEXT) | instid1(VALU_DEP_2)
	v_add_nc_u32_e32 v12, v12, v15
	v_xor_b32_e32 v14, 1, v14
	s_delay_alu instid0(VALU_DEP_2) | instskip(NEXT) | instid1(VALU_DEP_1)
	v_and_b32_e32 v9, 0x1fffff, v12
	v_add_nc_u32_e32 v12, v9, v15
                                        ; implicit-def: $vgpr9
	s_delay_alu instid0(VALU_DEP_3)
	v_cmpx_ne_u32_e64 v13, v14
	s_xor_b32 s13, exec_lo, s13
; %bb.3749:                             ;   in Loop: Header=BB6_3265 Depth=4
	s_delay_alu instid0(VALU_DEP_2) | instskip(SKIP_2) | instid1(VALU_DEP_2)
	v_cmp_lt_u32_e32 vcc_lo, 0xffffff, v12
	v_sub_nc_u32_e32 v9, v13, v14
	v_cndmask_b32_e64 v13, 0, 1, vcc_lo
	v_add_co_ci_u32_e32 v9, vcc_lo, 0, v9, vcc_lo
	s_delay_alu instid0(VALU_DEP_2)
	v_lshrrev_b32_e32 v12, v13, v12
; %bb.3750:                             ;   in Loop: Header=BB6_3265 Depth=4
	s_and_not1_saveexec_b32 s13, s13
; %bb.3751:                             ;   in Loop: Header=BB6_3265 Depth=4
	s_delay_alu instid0(VALU_DEP_1)
	v_bfe_u32 v9, v12, 23, 1
; %bb.3752:                             ;   in Loop: Header=BB6_3265 Depth=4
	s_or_b32 exec_lo, exec_lo, s13
	v_lshrrev_b32_e32 v12, 21, v12
	s_delay_alu instid0(VALU_DEP_2) | instskip(SKIP_2) | instid1(VALU_DEP_3)
	v_min_i32_e32 v13, 31, v9
	v_cmp_gt_i32_e32 vcc_lo, 32, v9
	v_lshrrev_b32_e32 v8, 24, v8
	v_dual_cndmask_b32 v12, 3, v12 :: v_dual_lshlrev_b32 v13, 2, v13
	s_delay_alu instid0(VALU_DEP_2) | instskip(NEXT) | instid1(VALU_DEP_2)
	v_and_b32_e32 v8, 0x80, v8
	v_and_b32_e32 v13, 0xfc, v13
	s_delay_alu instid0(VALU_DEP_3) | instskip(SKIP_1) | instid1(VALU_DEP_2)
	v_and_b32_e32 v14, 3, v12
	v_or_b32_e32 v9, v9, v12
	v_or3_b32 v8, v8, v13, v14
	s_delay_alu instid0(VALU_DEP_2) | instskip(NEXT) | instid1(VALU_DEP_2)
	v_cmp_ne_u32_e32 vcc_lo, 0, v9
	v_lshlrev_b32_e32 v8, 8, v8
	s_delay_alu instid0(VALU_DEP_1)
	v_cndmask_b32_e32 v73, 0, v8, vcc_lo
.LBB6_3753:                             ;   in Loop: Header=BB6_3265 Depth=4
	s_or_b32 exec_lo, exec_lo, s36
.LBB6_3754:                             ;   in Loop: Header=BB6_3265 Depth=4
	s_delay_alu instid0(SALU_CYCLE_1) | instskip(SKIP_3) | instid1(VALU_DEP_1)
	s_or_b32 exec_lo, exec_lo, s35
	v_and_b32_e32 v9, 0xff, v10
	s_mov_b32 s13, 0
	s_mov_b32 s36, exec_lo
                                        ; implicit-def: $sgpr35
	v_cmpx_lt_i16_e32 0x7f, v9
	s_xor_b32 s36, exec_lo, s36
	s_cbranch_execnz .LBB6_5224
; %bb.3755:                             ;   in Loop: Header=BB6_3265 Depth=4
	s_or_saveexec_b32 s36, s36
	v_mov_b32_e32 v8, s35
	s_xor_b32 exec_lo, exec_lo, s36
	s_cbranch_execnz .LBB6_5227
.LBB6_3756:                             ;   in Loop: Header=BB6_3265 Depth=4
	s_or_b32 exec_lo, exec_lo, s36
	s_and_saveexec_b32 s35, s13
	s_cbranch_execz .LBB6_3758
.LBB6_3757:                             ;   in Loop: Header=BB6_3265 Depth=4
	v_bfe_u32 v13, v10, 2, 5
	v_lshlrev_b32_e32 v14, 24, v10
	s_delay_alu instid0(VALU_DEP_2) | instskip(SKIP_1) | instid1(VALU_DEP_1)
	v_cmp_eq_u32_e32 vcc_lo, 0, v13
	v_and_b32_e32 v8, 3, v10
	v_clz_i32_u32_e32 v9, v8
	s_delay_alu instid0(VALU_DEP_1) | instskip(NEXT) | instid1(VALU_DEP_1)
	v_min_u32_e32 v9, 32, v9
	v_subrev_nc_u32_e32 v12, 29, v9
	v_sub_nc_u32_e32 v9, 30, v9
	s_delay_alu instid0(VALU_DEP_1) | instskip(NEXT) | instid1(VALU_DEP_1)
	v_dual_cndmask_b32 v9, v13, v9 :: v_dual_lshlrev_b32 v12, v12, v10
	v_and_b32_e32 v12, 3, v12
	s_delay_alu instid0(VALU_DEP_2) | instskip(NEXT) | instid1(VALU_DEP_2)
	v_lshl_add_u32 v9, v9, 23, 0x37800000
	v_cndmask_b32_e32 v8, v8, v12, vcc_lo
	v_and_b32_e32 v12, 0x80000000, v14
	s_delay_alu instid0(VALU_DEP_2) | instskip(NEXT) | instid1(VALU_DEP_1)
	v_lshlrev_b32_e32 v8, 21, v8
	v_or3_b32 v8, v12, v9, v8
.LBB6_3758:                             ;   in Loop: Header=BB6_3265 Depth=4
	s_or_b32 exec_lo, exec_lo, s35
	s_delay_alu instid0(VALU_DEP_1) | instskip(SKIP_2) | instid1(VALU_DEP_2)
	v_mul_f32_e32 v8, s34, v8
	v_mov_b32_e32 v60, 0x80
	s_mov_b32 s35, exec_lo
	v_and_b32_e32 v9, 0x7f800000, v8
	s_delay_alu instid0(VALU_DEP_1)
	v_cmpx_ne_u32_e32 0x7f800000, v9
	s_cbranch_execz .LBB6_3766
; %bb.3759:                             ;   in Loop: Header=BB6_3265 Depth=4
	v_mov_b32_e32 v60, 0
	s_mov_b32 s36, exec_lo
	v_cmpx_ne_u32_e32 0, v8
	s_cbranch_execz .LBB6_3765
; %bb.3760:                             ;   in Loop: Header=BB6_3265 Depth=4
	v_bfe_u32 v9, v8, 23, 8
	s_delay_alu instid0(VALU_DEP_1) | instskip(SKIP_1) | instid1(VALU_DEP_2)
	v_sub_nc_u32_e32 v13, 0x70, v9
	v_cmp_gt_u32_e32 vcc_lo, 0x71, v9
	v_dual_cndmask_b32 v13, 0, v13 :: v_dual_and_b32 v12, 0x7fffff, v8
	s_delay_alu instid0(VALU_DEP_1) | instskip(SKIP_2) | instid1(VALU_DEP_4)
	v_or_b32_e32 v14, 0x800000, v12
	v_cmp_eq_u32_e32 vcc_lo, 0, v9
	v_add_nc_u32_e32 v9, 0xffffff91, v9
	v_cndmask_b32_e64 v13, v13, 0x6f, vcc_lo
	s_delay_alu instid0(VALU_DEP_4) | instskip(NEXT) | instid1(VALU_DEP_3)
	v_cndmask_b32_e32 v12, v14, v12, vcc_lo
	v_cndmask_b32_e64 v9, v9, 0xffffff92, vcc_lo
	s_delay_alu instid0(VALU_DEP_3) | instskip(NEXT) | instid1(VALU_DEP_3)
	v_lshl_add_u32 v14, 0x200000, v13, -1
	v_lshrrev_b32_e32 v15, v13, v12
	v_lshlrev_b32_e64 v17, v13, 0x100000
	s_delay_alu instid0(VALU_DEP_4) | instskip(NEXT) | instid1(VALU_DEP_4)
	v_add_nc_u32_e32 v13, v13, v9
	v_and_b32_e32 v12, v14, v12
	s_delay_alu instid0(VALU_DEP_4) | instskip(NEXT) | instid1(VALU_DEP_2)
	v_bfe_u32 v16, v15, 21, 1
	v_cmp_eq_u32_e64 s13, v12, v17
	s_delay_alu instid0(VALU_DEP_2) | instskip(NEXT) | instid1(VALU_DEP_1)
	v_add_nc_u32_e32 v14, -1, v16
	v_cndmask_b32_e64 v12, 0, v14, s13
	v_lshrrev_b32_e32 v14, 23, v15
	s_mov_b32 s13, exec_lo
	s_delay_alu instid0(VALU_DEP_2) | instskip(NEXT) | instid1(VALU_DEP_2)
	v_add_nc_u32_e32 v12, v12, v15
	v_xor_b32_e32 v14, 1, v14
	s_delay_alu instid0(VALU_DEP_2) | instskip(NEXT) | instid1(VALU_DEP_1)
	v_and_b32_e32 v9, 0x1fffff, v12
	v_add_nc_u32_e32 v12, v9, v15
                                        ; implicit-def: $vgpr9
	s_delay_alu instid0(VALU_DEP_3)
	v_cmpx_ne_u32_e64 v13, v14
	s_xor_b32 s13, exec_lo, s13
; %bb.3761:                             ;   in Loop: Header=BB6_3265 Depth=4
	s_delay_alu instid0(VALU_DEP_2) | instskip(SKIP_2) | instid1(VALU_DEP_2)
	v_cmp_lt_u32_e32 vcc_lo, 0xffffff, v12
	v_sub_nc_u32_e32 v9, v13, v14
	v_cndmask_b32_e64 v13, 0, 1, vcc_lo
	v_add_co_ci_u32_e32 v9, vcc_lo, 0, v9, vcc_lo
	s_delay_alu instid0(VALU_DEP_2)
	v_lshrrev_b32_e32 v12, v13, v12
; %bb.3762:                             ;   in Loop: Header=BB6_3265 Depth=4
	s_and_not1_saveexec_b32 s13, s13
; %bb.3763:                             ;   in Loop: Header=BB6_3265 Depth=4
	s_delay_alu instid0(VALU_DEP_1)
	v_bfe_u32 v9, v12, 23, 1
; %bb.3764:                             ;   in Loop: Header=BB6_3265 Depth=4
	s_or_b32 exec_lo, exec_lo, s13
	v_lshrrev_b32_e32 v12, 21, v12
	s_delay_alu instid0(VALU_DEP_2) | instskip(SKIP_2) | instid1(VALU_DEP_4)
	v_cmp_gt_i32_e32 vcc_lo, 32, v9
	v_lshrrev_b32_e32 v8, 24, v8
	v_min_i32_e32 v13, 31, v9
	v_cndmask_b32_e32 v12, 3, v12, vcc_lo
	s_delay_alu instid0(VALU_DEP_3) | instskip(NEXT) | instid1(VALU_DEP_3)
	v_and_b32_e32 v8, 0x80, v8
	v_lshlrev_b32_e32 v13, 2, v13
	s_delay_alu instid0(VALU_DEP_3) | instskip(SKIP_1) | instid1(VALU_DEP_2)
	v_and_b32_e32 v14, 3, v12
	v_or_b32_e32 v9, v9, v12
	v_or3_b32 v8, v13, v8, v14
	s_delay_alu instid0(VALU_DEP_2) | instskip(NEXT) | instid1(VALU_DEP_2)
	v_cmp_ne_u32_e32 vcc_lo, 0, v9
	v_cndmask_b32_e32 v60, 0, v8, vcc_lo
.LBB6_3765:                             ;   in Loop: Header=BB6_3265 Depth=4
	s_or_b32 exec_lo, exec_lo, s36
.LBB6_3766:                             ;   in Loop: Header=BB6_3265 Depth=4
	s_delay_alu instid0(SALU_CYCLE_1) | instskip(SKIP_3) | instid1(VALU_DEP_1)
	s_or_b32 exec_lo, exec_lo, s35
	v_lshrrev_b16 v8, 8, v10
	s_mov_b32 s13, 0
	s_mov_b32 s36, exec_lo
                                        ; implicit-def: $sgpr35
	v_cmpx_lt_i16_e32 0x7f, v8
	s_xor_b32 s36, exec_lo, s36
	s_cbranch_execnz .LBB6_5228
; %bb.3767:                             ;   in Loop: Header=BB6_3265 Depth=4
	s_or_saveexec_b32 s36, s36
	v_mov_b32_e32 v9, s35
	s_xor_b32 exec_lo, exec_lo, s36
	s_cbranch_execnz .LBB6_5231
.LBB6_3768:                             ;   in Loop: Header=BB6_3265 Depth=4
	s_or_b32 exec_lo, exec_lo, s36
	s_and_saveexec_b32 s35, s13
	s_cbranch_execz .LBB6_3770
.LBB6_3769:                             ;   in Loop: Header=BB6_3265 Depth=4
	v_and_b32_e32 v9, 0xffff, v8
	v_lshlrev_b32_e32 v8, 24, v8
	s_delay_alu instid0(VALU_DEP_2) | instskip(NEXT) | instid1(VALU_DEP_2)
	v_and_b32_e32 v12, 3, v9
	v_and_b32_e32 v8, 0x80000000, v8
	s_delay_alu instid0(VALU_DEP_2) | instskip(NEXT) | instid1(VALU_DEP_1)
	v_clz_i32_u32_e32 v13, v12
	v_min_u32_e32 v13, 32, v13
	s_delay_alu instid0(VALU_DEP_1) | instskip(SKIP_1) | instid1(VALU_DEP_2)
	v_subrev_nc_u32_e32 v14, 29, v13
	v_sub_nc_u32_e32 v13, 30, v13
	v_lshlrev_b32_e32 v14, v14, v9
	v_bfe_u32 v9, v9, 2, 5
	s_delay_alu instid0(VALU_DEP_1) | instskip(NEXT) | instid1(VALU_DEP_3)
	v_cmp_eq_u32_e32 vcc_lo, 0, v9
	v_dual_cndmask_b32 v9, v9, v13 :: v_dual_and_b32 v14, 3, v14
	s_delay_alu instid0(VALU_DEP_1) | instskip(NEXT) | instid1(VALU_DEP_2)
	v_cndmask_b32_e32 v12, v12, v14, vcc_lo
	v_lshl_add_u32 v9, v9, 23, 0x37800000
	s_delay_alu instid0(VALU_DEP_2) | instskip(NEXT) | instid1(VALU_DEP_1)
	v_lshlrev_b32_e32 v12, 21, v12
	v_or3_b32 v9, v8, v9, v12
.LBB6_3770:                             ;   in Loop: Header=BB6_3265 Depth=4
	s_or_b32 exec_lo, exec_lo, s35
	s_delay_alu instid0(VALU_DEP_1) | instskip(SKIP_2) | instid1(VALU_DEP_2)
	v_mul_f32_e32 v8, s34, v9
	v_mov_b32_e32 v58, 0x80
	s_mov_b32 s35, exec_lo
	v_and_b32_e32 v9, 0x7f800000, v8
	s_delay_alu instid0(VALU_DEP_1)
	v_cmpx_ne_u32_e32 0x7f800000, v9
	s_cbranch_execz .LBB6_3778
; %bb.3771:                             ;   in Loop: Header=BB6_3265 Depth=4
	v_mov_b32_e32 v58, 0
	s_mov_b32 s36, exec_lo
	v_cmpx_ne_u32_e32 0, v8
	s_cbranch_execz .LBB6_3777
; %bb.3772:                             ;   in Loop: Header=BB6_3265 Depth=4
	v_bfe_u32 v9, v8, 23, 8
	s_delay_alu instid0(VALU_DEP_1) | instskip(SKIP_1) | instid1(VALU_DEP_2)
	v_sub_nc_u32_e32 v13, 0x70, v9
	v_cmp_gt_u32_e32 vcc_lo, 0x71, v9
	v_dual_cndmask_b32 v13, 0, v13 :: v_dual_and_b32 v12, 0x7fffff, v8
	s_delay_alu instid0(VALU_DEP_1) | instskip(SKIP_2) | instid1(VALU_DEP_4)
	v_or_b32_e32 v14, 0x800000, v12
	v_cmp_eq_u32_e32 vcc_lo, 0, v9
	v_add_nc_u32_e32 v9, 0xffffff91, v9
	v_cndmask_b32_e64 v13, v13, 0x6f, vcc_lo
	s_delay_alu instid0(VALU_DEP_4) | instskip(NEXT) | instid1(VALU_DEP_3)
	v_cndmask_b32_e32 v12, v14, v12, vcc_lo
	v_cndmask_b32_e64 v9, v9, 0xffffff92, vcc_lo
	s_delay_alu instid0(VALU_DEP_3) | instskip(NEXT) | instid1(VALU_DEP_3)
	v_lshl_add_u32 v14, 0x200000, v13, -1
	v_lshrrev_b32_e32 v15, v13, v12
	v_lshlrev_b32_e64 v17, v13, 0x100000
	s_delay_alu instid0(VALU_DEP_4) | instskip(NEXT) | instid1(VALU_DEP_4)
	v_add_nc_u32_e32 v13, v13, v9
	v_and_b32_e32 v12, v14, v12
	s_delay_alu instid0(VALU_DEP_4) | instskip(NEXT) | instid1(VALU_DEP_2)
	v_bfe_u32 v16, v15, 21, 1
	v_cmp_eq_u32_e64 s13, v12, v17
	s_delay_alu instid0(VALU_DEP_2) | instskip(NEXT) | instid1(VALU_DEP_1)
	v_add_nc_u32_e32 v14, -1, v16
	v_cndmask_b32_e64 v12, 0, v14, s13
	v_lshrrev_b32_e32 v14, 23, v15
	s_mov_b32 s13, exec_lo
	s_delay_alu instid0(VALU_DEP_2) | instskip(NEXT) | instid1(VALU_DEP_2)
	v_add_nc_u32_e32 v12, v12, v15
	v_xor_b32_e32 v14, 1, v14
	s_delay_alu instid0(VALU_DEP_2) | instskip(NEXT) | instid1(VALU_DEP_1)
	v_and_b32_e32 v9, 0x1fffff, v12
	v_add_nc_u32_e32 v12, v9, v15
                                        ; implicit-def: $vgpr9
	s_delay_alu instid0(VALU_DEP_3)
	v_cmpx_ne_u32_e64 v13, v14
	s_xor_b32 s13, exec_lo, s13
; %bb.3773:                             ;   in Loop: Header=BB6_3265 Depth=4
	s_delay_alu instid0(VALU_DEP_2) | instskip(SKIP_2) | instid1(VALU_DEP_2)
	v_cmp_lt_u32_e32 vcc_lo, 0xffffff, v12
	v_sub_nc_u32_e32 v9, v13, v14
	v_cndmask_b32_e64 v13, 0, 1, vcc_lo
	v_add_co_ci_u32_e32 v9, vcc_lo, 0, v9, vcc_lo
	s_delay_alu instid0(VALU_DEP_2)
	v_lshrrev_b32_e32 v12, v13, v12
; %bb.3774:                             ;   in Loop: Header=BB6_3265 Depth=4
	s_and_not1_saveexec_b32 s13, s13
; %bb.3775:                             ;   in Loop: Header=BB6_3265 Depth=4
	s_delay_alu instid0(VALU_DEP_1)
	v_bfe_u32 v9, v12, 23, 1
; %bb.3776:                             ;   in Loop: Header=BB6_3265 Depth=4
	s_or_b32 exec_lo, exec_lo, s13
	v_lshrrev_b32_e32 v12, 21, v12
	s_delay_alu instid0(VALU_DEP_2) | instskip(SKIP_2) | instid1(VALU_DEP_4)
	v_cmp_gt_i32_e32 vcc_lo, 32, v9
	v_lshrrev_b32_e32 v8, 24, v8
	v_min_i32_e32 v13, 31, v9
	v_cndmask_b32_e32 v12, 3, v12, vcc_lo
	s_delay_alu instid0(VALU_DEP_3) | instskip(NEXT) | instid1(VALU_DEP_3)
	v_and_b32_e32 v8, 0x80, v8
	v_lshlrev_b32_e32 v13, 2, v13
	s_delay_alu instid0(VALU_DEP_3) | instskip(SKIP_1) | instid1(VALU_DEP_2)
	v_and_b32_e32 v14, 3, v12
	v_or_b32_e32 v9, v9, v12
	v_or3_b32 v8, v13, v8, v14
	s_delay_alu instid0(VALU_DEP_2) | instskip(NEXT) | instid1(VALU_DEP_2)
	v_cmp_ne_u32_e32 vcc_lo, 0, v9
	v_cndmask_b32_e32 v58, 0, v8, vcc_lo
.LBB6_3777:                             ;   in Loop: Header=BB6_3265 Depth=4
	s_or_b32 exec_lo, exec_lo, s36
.LBB6_3778:                             ;   in Loop: Header=BB6_3265 Depth=4
	s_delay_alu instid0(SALU_CYCLE_1) | instskip(SKIP_3) | instid1(VALU_DEP_1)
	s_or_b32 exec_lo, exec_lo, s35
	v_lshrrev_b32_e32 v8, 16, v10
	s_mov_b32 s13, 0
	s_mov_b32 s36, exec_lo
                                        ; implicit-def: $sgpr35
	v_and_b32_e32 v12, 0xff, v8
	s_delay_alu instid0(VALU_DEP_1)
	v_cmpx_lt_i16_e32 0x7f, v12
	s_xor_b32 s36, exec_lo, s36
	s_cbranch_execnz .LBB6_5232
; %bb.3779:                             ;   in Loop: Header=BB6_3265 Depth=4
	s_or_saveexec_b32 s36, s36
	v_mov_b32_e32 v9, s35
	s_xor_b32 exec_lo, exec_lo, s36
	s_cbranch_execnz .LBB6_5235
.LBB6_3780:                             ;   in Loop: Header=BB6_3265 Depth=4
	s_or_b32 exec_lo, exec_lo, s36
	s_and_saveexec_b32 s35, s13
	s_cbranch_execz .LBB6_3782
.LBB6_3781:                             ;   in Loop: Header=BB6_3265 Depth=4
	v_bfe_u32 v9, v10, 16, 2
	v_lshlrev_b32_e32 v14, 8, v10
	s_delay_alu instid0(VALU_DEP_2) | instskip(NEXT) | instid1(VALU_DEP_1)
	v_clz_i32_u32_e32 v12, v9
	v_min_u32_e32 v12, 32, v12
	s_delay_alu instid0(VALU_DEP_1) | instskip(SKIP_1) | instid1(VALU_DEP_2)
	v_subrev_nc_u32_e32 v13, 29, v12
	v_sub_nc_u32_e32 v12, 30, v12
	v_lshlrev_b32_e32 v8, v13, v8
	v_bfe_u32 v13, v10, 18, 5
	s_delay_alu instid0(VALU_DEP_2) | instskip(NEXT) | instid1(VALU_DEP_2)
	v_and_b32_e32 v8, 3, v8
	v_cmp_eq_u32_e32 vcc_lo, 0, v13
	v_cndmask_b32_e32 v12, v13, v12, vcc_lo
	s_delay_alu instid0(VALU_DEP_3) | instskip(NEXT) | instid1(VALU_DEP_2)
	v_dual_cndmask_b32 v8, v9, v8 :: v_dual_and_b32 v9, 0x80000000, v14
	v_lshl_add_u32 v12, v12, 23, 0x37800000
	s_delay_alu instid0(VALU_DEP_2) | instskip(NEXT) | instid1(VALU_DEP_1)
	v_lshlrev_b32_e32 v8, 21, v8
	v_or3_b32 v9, v9, v12, v8
.LBB6_3782:                             ;   in Loop: Header=BB6_3265 Depth=4
	s_or_b32 exec_lo, exec_lo, s35
	s_delay_alu instid0(VALU_DEP_1) | instskip(SKIP_1) | instid1(VALU_DEP_1)
	v_dual_mul_f32 v8, s34, v9 :: v_dual_mov_b32 v57, 0x80
	s_mov_b32 s35, exec_lo
	v_and_b32_e32 v9, 0x7f800000, v8
	s_delay_alu instid0(VALU_DEP_1)
	v_cmpx_ne_u32_e32 0x7f800000, v9
	s_cbranch_execz .LBB6_3790
; %bb.3783:                             ;   in Loop: Header=BB6_3265 Depth=4
	v_mov_b32_e32 v57, 0
	s_mov_b32 s36, exec_lo
	v_cmpx_ne_u32_e32 0, v8
	s_cbranch_execz .LBB6_3789
; %bb.3784:                             ;   in Loop: Header=BB6_3265 Depth=4
	v_bfe_u32 v9, v8, 23, 8
	s_delay_alu instid0(VALU_DEP_1) | instskip(SKIP_1) | instid1(VALU_DEP_2)
	v_sub_nc_u32_e32 v13, 0x70, v9
	v_cmp_gt_u32_e32 vcc_lo, 0x71, v9
	v_dual_cndmask_b32 v13, 0, v13 :: v_dual_and_b32 v12, 0x7fffff, v8
	s_delay_alu instid0(VALU_DEP_1) | instskip(SKIP_2) | instid1(VALU_DEP_4)
	v_or_b32_e32 v14, 0x800000, v12
	v_cmp_eq_u32_e32 vcc_lo, 0, v9
	v_add_nc_u32_e32 v9, 0xffffff91, v9
	v_cndmask_b32_e64 v13, v13, 0x6f, vcc_lo
	s_delay_alu instid0(VALU_DEP_4) | instskip(NEXT) | instid1(VALU_DEP_3)
	v_cndmask_b32_e32 v12, v14, v12, vcc_lo
	v_cndmask_b32_e64 v9, v9, 0xffffff92, vcc_lo
	s_delay_alu instid0(VALU_DEP_3) | instskip(NEXT) | instid1(VALU_DEP_3)
	v_lshl_add_u32 v14, 0x200000, v13, -1
	v_lshrrev_b32_e32 v15, v13, v12
	v_lshlrev_b32_e64 v17, v13, 0x100000
	s_delay_alu instid0(VALU_DEP_4) | instskip(NEXT) | instid1(VALU_DEP_4)
	v_add_nc_u32_e32 v13, v13, v9
	v_and_b32_e32 v12, v14, v12
	s_delay_alu instid0(VALU_DEP_4) | instskip(NEXT) | instid1(VALU_DEP_2)
	v_bfe_u32 v16, v15, 21, 1
	v_cmp_eq_u32_e64 s13, v12, v17
	s_delay_alu instid0(VALU_DEP_2) | instskip(NEXT) | instid1(VALU_DEP_1)
	v_add_nc_u32_e32 v14, -1, v16
	v_cndmask_b32_e64 v12, 0, v14, s13
	v_lshrrev_b32_e32 v14, 23, v15
	s_mov_b32 s13, exec_lo
	s_delay_alu instid0(VALU_DEP_2) | instskip(NEXT) | instid1(VALU_DEP_2)
	v_add_nc_u32_e32 v12, v12, v15
	v_xor_b32_e32 v14, 1, v14
	s_delay_alu instid0(VALU_DEP_2) | instskip(NEXT) | instid1(VALU_DEP_1)
	v_and_b32_e32 v9, 0x1fffff, v12
	v_add_nc_u32_e32 v12, v9, v15
                                        ; implicit-def: $vgpr9
	s_delay_alu instid0(VALU_DEP_3)
	v_cmpx_ne_u32_e64 v13, v14
	s_xor_b32 s13, exec_lo, s13
; %bb.3785:                             ;   in Loop: Header=BB6_3265 Depth=4
	s_delay_alu instid0(VALU_DEP_2) | instskip(SKIP_2) | instid1(VALU_DEP_2)
	v_cmp_lt_u32_e32 vcc_lo, 0xffffff, v12
	v_sub_nc_u32_e32 v9, v13, v14
	v_cndmask_b32_e64 v13, 0, 1, vcc_lo
	v_add_co_ci_u32_e32 v9, vcc_lo, 0, v9, vcc_lo
	s_delay_alu instid0(VALU_DEP_2)
	v_lshrrev_b32_e32 v12, v13, v12
; %bb.3786:                             ;   in Loop: Header=BB6_3265 Depth=4
	s_and_not1_saveexec_b32 s13, s13
; %bb.3787:                             ;   in Loop: Header=BB6_3265 Depth=4
	s_delay_alu instid0(VALU_DEP_1)
	v_bfe_u32 v9, v12, 23, 1
; %bb.3788:                             ;   in Loop: Header=BB6_3265 Depth=4
	s_or_b32 exec_lo, exec_lo, s13
	v_lshrrev_b32_e32 v12, 21, v12
	s_delay_alu instid0(VALU_DEP_2) | instskip(SKIP_2) | instid1(VALU_DEP_4)
	v_cmp_gt_i32_e32 vcc_lo, 32, v9
	v_lshrrev_b32_e32 v8, 24, v8
	v_min_i32_e32 v13, 31, v9
	v_cndmask_b32_e32 v12, 3, v12, vcc_lo
	s_delay_alu instid0(VALU_DEP_3) | instskip(NEXT) | instid1(VALU_DEP_3)
	v_and_b32_e32 v8, 0x80, v8
	v_lshlrev_b32_e32 v13, 2, v13
	s_delay_alu instid0(VALU_DEP_3) | instskip(SKIP_1) | instid1(VALU_DEP_2)
	v_and_b32_e32 v14, 3, v12
	v_or_b32_e32 v9, v9, v12
	v_or3_b32 v8, v13, v8, v14
	s_delay_alu instid0(VALU_DEP_2) | instskip(NEXT) | instid1(VALU_DEP_2)
	v_cmp_ne_u32_e32 vcc_lo, 0, v9
	v_cndmask_b32_e32 v57, 0, v8, vcc_lo
.LBB6_3789:                             ;   in Loop: Header=BB6_3265 Depth=4
	s_or_b32 exec_lo, exec_lo, s36
.LBB6_3790:                             ;   in Loop: Header=BB6_3265 Depth=4
	s_delay_alu instid0(SALU_CYCLE_1) | instskip(SKIP_3) | instid1(VALU_DEP_1)
	s_or_b32 exec_lo, exec_lo, s35
	v_lshrrev_b32_e32 v8, 24, v10
	s_mov_b32 s13, 0
	s_mov_b32 s36, exec_lo
                                        ; implicit-def: $sgpr35
	v_cmpx_lt_i16_e32 0x7f, v8
	s_xor_b32 s36, exec_lo, s36
	s_cbranch_execnz .LBB6_5236
; %bb.3791:                             ;   in Loop: Header=BB6_3265 Depth=4
	s_or_saveexec_b32 s36, s36
	v_mov_b32_e32 v9, s35
	s_xor_b32 exec_lo, exec_lo, s36
	s_cbranch_execnz .LBB6_5239
.LBB6_3792:                             ;   in Loop: Header=BB6_3265 Depth=4
	s_or_b32 exec_lo, exec_lo, s36
	s_and_saveexec_b32 s35, s13
	s_cbranch_execz .LBB6_3794
.LBB6_3793:                             ;   in Loop: Header=BB6_3265 Depth=4
	v_bfe_u32 v9, v10, 24, 2
	s_delay_alu instid0(VALU_DEP_1) | instskip(NEXT) | instid1(VALU_DEP_1)
	v_clz_i32_u32_e32 v12, v9
	v_min_u32_e32 v12, 32, v12
	s_delay_alu instid0(VALU_DEP_1) | instskip(SKIP_1) | instid1(VALU_DEP_2)
	v_subrev_nc_u32_e32 v13, 29, v12
	v_sub_nc_u32_e32 v12, 30, v12
	v_lshlrev_b32_e32 v8, v13, v8
	v_bfe_u32 v13, v10, 26, 5
	s_delay_alu instid0(VALU_DEP_2) | instskip(NEXT) | instid1(VALU_DEP_2)
	v_and_b32_e32 v8, 3, v8
	v_cmp_eq_u32_e32 vcc_lo, 0, v13
	v_cndmask_b32_e32 v12, v13, v12, vcc_lo
	s_delay_alu instid0(VALU_DEP_3) | instskip(NEXT) | instid1(VALU_DEP_2)
	v_dual_cndmask_b32 v8, v9, v8 :: v_dual_and_b32 v9, 0x80000000, v10
	v_lshl_add_u32 v10, v12, 23, 0x37800000
	s_delay_alu instid0(VALU_DEP_2) | instskip(NEXT) | instid1(VALU_DEP_1)
	v_lshlrev_b32_e32 v8, 21, v8
	v_or3_b32 v9, v9, v10, v8
.LBB6_3794:                             ;   in Loop: Header=BB6_3265 Depth=4
	s_or_b32 exec_lo, exec_lo, s35
	s_delay_alu instid0(VALU_DEP_1) | instskip(SKIP_2) | instid1(VALU_DEP_2)
	v_mul_f32_e32 v8, s34, v9
	v_mov_b32_e32 v46, 0x80
	s_mov_b32 s35, exec_lo
	v_and_b32_e32 v9, 0x7f800000, v8
	s_delay_alu instid0(VALU_DEP_1)
	v_cmpx_ne_u32_e32 0x7f800000, v9
	s_cbranch_execz .LBB6_3802
; %bb.3795:                             ;   in Loop: Header=BB6_3265 Depth=4
	v_mov_b32_e32 v46, 0
	s_mov_b32 s36, exec_lo
	v_cmpx_ne_u32_e32 0, v8
	s_cbranch_execz .LBB6_3801
; %bb.3796:                             ;   in Loop: Header=BB6_3265 Depth=4
	v_bfe_u32 v9, v8, 23, 8
	v_and_b32_e32 v10, 0x7fffff, v8
	s_delay_alu instid0(VALU_DEP_2) | instskip(SKIP_1) | instid1(VALU_DEP_3)
	v_sub_nc_u32_e32 v12, 0x70, v9
	v_cmp_gt_u32_e32 vcc_lo, 0x71, v9
	v_or_b32_e32 v13, 0x800000, v10
	s_delay_alu instid0(VALU_DEP_3) | instskip(SKIP_2) | instid1(VALU_DEP_3)
	v_cndmask_b32_e32 v12, 0, v12, vcc_lo
	v_cmp_eq_u32_e32 vcc_lo, 0, v9
	v_add_nc_u32_e32 v9, 0xffffff91, v9
	v_cndmask_b32_e64 v12, v12, 0x6f, vcc_lo
	v_cndmask_b32_e32 v10, v13, v10, vcc_lo
	s_delay_alu instid0(VALU_DEP_3) | instskip(NEXT) | instid1(VALU_DEP_3)
	v_cndmask_b32_e64 v9, v9, 0xffffff92, vcc_lo
	v_lshl_add_u32 v13, 0x200000, v12, -1
	s_delay_alu instid0(VALU_DEP_3) | instskip(SKIP_1) | instid1(VALU_DEP_4)
	v_lshrrev_b32_e32 v14, v12, v10
	v_lshlrev_b32_e64 v16, v12, 0x100000
	v_add_nc_u32_e32 v12, v12, v9
	s_delay_alu instid0(VALU_DEP_4) | instskip(NEXT) | instid1(VALU_DEP_4)
	v_and_b32_e32 v10, v13, v10
	v_bfe_u32 v15, v14, 21, 1
	s_delay_alu instid0(VALU_DEP_2) | instskip(NEXT) | instid1(VALU_DEP_2)
	v_cmp_eq_u32_e64 s13, v10, v16
	v_add_nc_u32_e32 v13, -1, v15
	s_delay_alu instid0(VALU_DEP_1) | instskip(SKIP_2) | instid1(VALU_DEP_2)
	v_cndmask_b32_e64 v10, 0, v13, s13
	v_lshrrev_b32_e32 v13, 23, v14
	s_mov_b32 s13, exec_lo
	v_add_nc_u32_e32 v10, v10, v14
	s_delay_alu instid0(VALU_DEP_2) | instskip(NEXT) | instid1(VALU_DEP_2)
	v_xor_b32_e32 v13, 1, v13
	v_and_b32_e32 v9, 0x1fffff, v10
	s_delay_alu instid0(VALU_DEP_1) | instskip(NEXT) | instid1(VALU_DEP_3)
	v_add_nc_u32_e32 v10, v9, v14
                                        ; implicit-def: $vgpr9
	v_cmpx_ne_u32_e64 v12, v13
	s_xor_b32 s13, exec_lo, s13
; %bb.3797:                             ;   in Loop: Header=BB6_3265 Depth=4
	s_delay_alu instid0(VALU_DEP_2) | instskip(SKIP_2) | instid1(VALU_DEP_2)
	v_cmp_lt_u32_e32 vcc_lo, 0xffffff, v10
	v_sub_nc_u32_e32 v9, v12, v13
	v_cndmask_b32_e64 v12, 0, 1, vcc_lo
	v_add_co_ci_u32_e32 v9, vcc_lo, 0, v9, vcc_lo
	s_delay_alu instid0(VALU_DEP_2)
	v_lshrrev_b32_e32 v10, v12, v10
; %bb.3798:                             ;   in Loop: Header=BB6_3265 Depth=4
	s_and_not1_saveexec_b32 s13, s13
; %bb.3799:                             ;   in Loop: Header=BB6_3265 Depth=4
	s_delay_alu instid0(VALU_DEP_1)
	v_bfe_u32 v9, v10, 23, 1
; %bb.3800:                             ;   in Loop: Header=BB6_3265 Depth=4
	s_or_b32 exec_lo, exec_lo, s13
	v_lshrrev_b32_e32 v10, 21, v10
	s_delay_alu instid0(VALU_DEP_2) | instskip(SKIP_2) | instid1(VALU_DEP_4)
	v_cmp_gt_i32_e32 vcc_lo, 32, v9
	v_lshrrev_b32_e32 v8, 24, v8
	v_min_i32_e32 v12, 31, v9
	v_cndmask_b32_e32 v10, 3, v10, vcc_lo
	s_delay_alu instid0(VALU_DEP_3) | instskip(NEXT) | instid1(VALU_DEP_3)
	v_and_b32_e32 v8, 0x80, v8
	v_lshlrev_b32_e32 v12, 2, v12
	s_delay_alu instid0(VALU_DEP_3) | instskip(NEXT) | instid1(VALU_DEP_1)
	v_or_b32_e32 v9, v9, v10
	v_cmp_ne_u32_e32 vcc_lo, 0, v9
	v_and_b32_e32 v13, 3, v10
	s_delay_alu instid0(VALU_DEP_1) | instskip(NEXT) | instid1(VALU_DEP_1)
	v_or3_b32 v8, v12, v8, v13
	v_cndmask_b32_e32 v46, 0, v8, vcc_lo
.LBB6_3801:                             ;   in Loop: Header=BB6_3265 Depth=4
	s_or_b32 exec_lo, exec_lo, s36
.LBB6_3802:                             ;   in Loop: Header=BB6_3265 Depth=4
	s_delay_alu instid0(SALU_CYCLE_1) | instskip(SKIP_3) | instid1(VALU_DEP_1)
	s_or_b32 exec_lo, exec_lo, s35
	v_and_b32_e32 v9, 0xff, v11
	s_mov_b32 s13, 0
	s_mov_b32 s36, exec_lo
                                        ; implicit-def: $sgpr35
	v_cmpx_lt_i16_e32 0x7f, v9
	s_xor_b32 s36, exec_lo, s36
	s_cbranch_execnz .LBB6_5240
; %bb.3803:                             ;   in Loop: Header=BB6_3265 Depth=4
	s_or_saveexec_b32 s36, s36
	v_mov_b32_e32 v8, s35
	s_xor_b32 exec_lo, exec_lo, s36
	s_cbranch_execnz .LBB6_5243
.LBB6_3804:                             ;   in Loop: Header=BB6_3265 Depth=4
	s_or_b32 exec_lo, exec_lo, s36
	s_and_saveexec_b32 s35, s13
	s_cbranch_execz .LBB6_3806
.LBB6_3805:                             ;   in Loop: Header=BB6_3265 Depth=4
	v_bfe_u32 v12, v11, 2, 5
	s_delay_alu instid0(VALU_DEP_1) | instskip(SKIP_1) | instid1(VALU_DEP_1)
	v_cmp_eq_u32_e32 vcc_lo, 0, v12
	v_and_b32_e32 v8, 3, v11
	v_clz_i32_u32_e32 v9, v8
	s_delay_alu instid0(VALU_DEP_1) | instskip(NEXT) | instid1(VALU_DEP_1)
	v_min_u32_e32 v9, 32, v9
	v_subrev_nc_u32_e32 v10, 29, v9
	v_sub_nc_u32_e32 v9, 30, v9
	s_delay_alu instid0(VALU_DEP_1) | instskip(NEXT) | instid1(VALU_DEP_1)
	v_dual_cndmask_b32 v9, v12, v9 :: v_dual_lshlrev_b32 v10, v10, v11
	v_and_b32_e32 v10, 3, v10
	v_lshlrev_b32_e32 v13, 24, v11
	s_delay_alu instid0(VALU_DEP_3) | instskip(NEXT) | instid1(VALU_DEP_3)
	v_lshl_add_u32 v9, v9, 23, 0x37800000
	v_cndmask_b32_e32 v8, v8, v10, vcc_lo
	s_delay_alu instid0(VALU_DEP_3) | instskip(NEXT) | instid1(VALU_DEP_2)
	v_and_b32_e32 v10, 0x80000000, v13
	v_lshlrev_b32_e32 v8, 21, v8
	s_delay_alu instid0(VALU_DEP_1)
	v_or3_b32 v8, v10, v9, v8
.LBB6_3806:                             ;   in Loop: Header=BB6_3265 Depth=4
	s_or_b32 exec_lo, exec_lo, s35
	s_delay_alu instid0(VALU_DEP_1) | instskip(SKIP_1) | instid1(VALU_DEP_1)
	v_dual_mul_f32 v8, s34, v8 :: v_dual_mov_b32 v45, 0x80
	s_mov_b32 s35, exec_lo
	v_and_b32_e32 v9, 0x7f800000, v8
	s_delay_alu instid0(VALU_DEP_1)
	v_cmpx_ne_u32_e32 0x7f800000, v9
	s_cbranch_execz .LBB6_3814
; %bb.3807:                             ;   in Loop: Header=BB6_3265 Depth=4
	v_mov_b32_e32 v45, 0
	s_mov_b32 s36, exec_lo
	v_cmpx_ne_u32_e32 0, v8
	s_cbranch_execz .LBB6_3813
; %bb.3808:                             ;   in Loop: Header=BB6_3265 Depth=4
	v_bfe_u32 v9, v8, 23, 8
	v_and_b32_e32 v10, 0x7fffff, v8
	s_delay_alu instid0(VALU_DEP_2) | instskip(SKIP_1) | instid1(VALU_DEP_3)
	v_sub_nc_u32_e32 v12, 0x70, v9
	v_cmp_gt_u32_e32 vcc_lo, 0x71, v9
	v_or_b32_e32 v13, 0x800000, v10
	s_delay_alu instid0(VALU_DEP_3) | instskip(SKIP_2) | instid1(VALU_DEP_3)
	v_cndmask_b32_e32 v12, 0, v12, vcc_lo
	v_cmp_eq_u32_e32 vcc_lo, 0, v9
	v_add_nc_u32_e32 v9, 0xffffff91, v9
	v_cndmask_b32_e64 v12, v12, 0x6f, vcc_lo
	v_cndmask_b32_e32 v10, v13, v10, vcc_lo
	s_delay_alu instid0(VALU_DEP_3) | instskip(NEXT) | instid1(VALU_DEP_3)
	v_cndmask_b32_e64 v9, v9, 0xffffff92, vcc_lo
	v_lshl_add_u32 v13, 0x200000, v12, -1
	s_delay_alu instid0(VALU_DEP_3) | instskip(SKIP_1) | instid1(VALU_DEP_4)
	v_lshrrev_b32_e32 v14, v12, v10
	v_lshlrev_b32_e64 v16, v12, 0x100000
	v_add_nc_u32_e32 v12, v12, v9
	s_delay_alu instid0(VALU_DEP_4) | instskip(NEXT) | instid1(VALU_DEP_4)
	v_and_b32_e32 v10, v13, v10
	v_bfe_u32 v15, v14, 21, 1
	s_delay_alu instid0(VALU_DEP_2) | instskip(NEXT) | instid1(VALU_DEP_2)
	v_cmp_eq_u32_e64 s13, v10, v16
	v_add_nc_u32_e32 v13, -1, v15
	s_delay_alu instid0(VALU_DEP_1) | instskip(SKIP_2) | instid1(VALU_DEP_2)
	v_cndmask_b32_e64 v10, 0, v13, s13
	v_lshrrev_b32_e32 v13, 23, v14
	s_mov_b32 s13, exec_lo
	v_add_nc_u32_e32 v10, v10, v14
	s_delay_alu instid0(VALU_DEP_2) | instskip(NEXT) | instid1(VALU_DEP_2)
	v_xor_b32_e32 v13, 1, v13
	v_and_b32_e32 v9, 0x1fffff, v10
	s_delay_alu instid0(VALU_DEP_1) | instskip(NEXT) | instid1(VALU_DEP_3)
	v_add_nc_u32_e32 v10, v9, v14
                                        ; implicit-def: $vgpr9
	v_cmpx_ne_u32_e64 v12, v13
	s_xor_b32 s13, exec_lo, s13
; %bb.3809:                             ;   in Loop: Header=BB6_3265 Depth=4
	s_delay_alu instid0(VALU_DEP_2) | instskip(SKIP_2) | instid1(VALU_DEP_2)
	v_cmp_lt_u32_e32 vcc_lo, 0xffffff, v10
	v_sub_nc_u32_e32 v9, v12, v13
	v_cndmask_b32_e64 v12, 0, 1, vcc_lo
	v_add_co_ci_u32_e32 v9, vcc_lo, 0, v9, vcc_lo
	s_delay_alu instid0(VALU_DEP_2)
	v_lshrrev_b32_e32 v10, v12, v10
; %bb.3810:                             ;   in Loop: Header=BB6_3265 Depth=4
	s_and_not1_saveexec_b32 s13, s13
; %bb.3811:                             ;   in Loop: Header=BB6_3265 Depth=4
	s_delay_alu instid0(VALU_DEP_1)
	v_bfe_u32 v9, v10, 23, 1
; %bb.3812:                             ;   in Loop: Header=BB6_3265 Depth=4
	s_or_b32 exec_lo, exec_lo, s13
	v_lshrrev_b32_e32 v10, 21, v10
	s_delay_alu instid0(VALU_DEP_2) | instskip(SKIP_2) | instid1(VALU_DEP_3)
	v_min_i32_e32 v12, 31, v9
	v_cmp_gt_i32_e32 vcc_lo, 32, v9
	v_lshrrev_b32_e32 v8, 24, v8
	v_lshlrev_b32_e32 v12, 2, v12
	v_cndmask_b32_e32 v10, 3, v10, vcc_lo
	s_delay_alu instid0(VALU_DEP_3) | instskip(NEXT) | instid1(VALU_DEP_3)
	v_and_b32_e32 v8, 0x80, v8
	v_and_b32_e32 v12, 0xfc, v12
	s_delay_alu instid0(VALU_DEP_3) | instskip(SKIP_1) | instid1(VALU_DEP_2)
	v_and_b32_e32 v13, 3, v10
	v_or_b32_e32 v9, v9, v10
	v_or3_b32 v8, v12, v8, v13
	s_delay_alu instid0(VALU_DEP_2) | instskip(NEXT) | instid1(VALU_DEP_2)
	v_cmp_ne_u32_e32 vcc_lo, 0, v9
	v_cndmask_b32_e32 v45, 0, v8, vcc_lo
.LBB6_3813:                             ;   in Loop: Header=BB6_3265 Depth=4
	s_or_b32 exec_lo, exec_lo, s36
.LBB6_3814:                             ;   in Loop: Header=BB6_3265 Depth=4
	s_delay_alu instid0(SALU_CYCLE_1) | instskip(SKIP_3) | instid1(VALU_DEP_1)
	s_or_b32 exec_lo, exec_lo, s35
	v_lshrrev_b16 v8, 8, v11
	s_mov_b32 s13, 0
	s_mov_b32 s36, exec_lo
                                        ; implicit-def: $sgpr35
	v_cmpx_lt_i16_e32 0x7f, v8
	s_xor_b32 s36, exec_lo, s36
	s_cbranch_execnz .LBB6_5244
; %bb.3815:                             ;   in Loop: Header=BB6_3265 Depth=4
	s_or_saveexec_b32 s36, s36
	v_mov_b32_e32 v9, s35
	s_xor_b32 exec_lo, exec_lo, s36
	s_cbranch_execnz .LBB6_5247
.LBB6_3816:                             ;   in Loop: Header=BB6_3265 Depth=4
	s_or_b32 exec_lo, exec_lo, s36
	s_and_saveexec_b32 s35, s13
	s_cbranch_execz .LBB6_3818
.LBB6_3817:                             ;   in Loop: Header=BB6_3265 Depth=4
	v_and_b32_e32 v9, 0xffff, v8
	v_lshlrev_b32_e32 v8, 24, v8
	s_delay_alu instid0(VALU_DEP_2) | instskip(NEXT) | instid1(VALU_DEP_2)
	v_and_b32_e32 v10, 3, v9
	v_and_b32_e32 v8, 0x80000000, v8
	s_delay_alu instid0(VALU_DEP_2) | instskip(NEXT) | instid1(VALU_DEP_1)
	v_clz_i32_u32_e32 v12, v10
	v_min_u32_e32 v12, 32, v12
	s_delay_alu instid0(VALU_DEP_1) | instskip(SKIP_1) | instid1(VALU_DEP_2)
	v_subrev_nc_u32_e32 v13, 29, v12
	v_sub_nc_u32_e32 v12, 30, v12
	v_lshlrev_b32_e32 v13, v13, v9
	v_bfe_u32 v9, v9, 2, 5
	s_delay_alu instid0(VALU_DEP_2) | instskip(NEXT) | instid1(VALU_DEP_2)
	v_and_b32_e32 v13, 3, v13
	v_cmp_eq_u32_e32 vcc_lo, 0, v9
	s_delay_alu instid0(VALU_DEP_2) | instskip(NEXT) | instid1(VALU_DEP_1)
	v_dual_cndmask_b32 v9, v9, v12 :: v_dual_cndmask_b32 v10, v10, v13
	v_lshl_add_u32 v9, v9, 23, 0x37800000
	s_delay_alu instid0(VALU_DEP_2) | instskip(NEXT) | instid1(VALU_DEP_1)
	v_lshlrev_b32_e32 v10, 21, v10
	v_or3_b32 v9, v8, v9, v10
.LBB6_3818:                             ;   in Loop: Header=BB6_3265 Depth=4
	s_or_b32 exec_lo, exec_lo, s35
	s_delay_alu instid0(VALU_DEP_1) | instskip(SKIP_1) | instid1(VALU_DEP_1)
	v_dual_mul_f32 v8, s34, v9 :: v_dual_mov_b32 v59, 0x8000
	s_mov_b32 s35, exec_lo
	v_and_b32_e32 v9, 0x7f800000, v8
	s_delay_alu instid0(VALU_DEP_1)
	v_cmpx_ne_u32_e32 0x7f800000, v9
	s_cbranch_execz .LBB6_3826
; %bb.3819:                             ;   in Loop: Header=BB6_3265 Depth=4
	v_mov_b32_e32 v59, 0
	s_mov_b32 s36, exec_lo
	v_cmpx_ne_u32_e32 0, v8
	s_cbranch_execz .LBB6_3825
; %bb.3820:                             ;   in Loop: Header=BB6_3265 Depth=4
	v_bfe_u32 v9, v8, 23, 8
	v_and_b32_e32 v10, 0x7fffff, v8
	s_delay_alu instid0(VALU_DEP_2) | instskip(SKIP_1) | instid1(VALU_DEP_3)
	v_sub_nc_u32_e32 v12, 0x70, v9
	v_cmp_gt_u32_e32 vcc_lo, 0x71, v9
	v_or_b32_e32 v13, 0x800000, v10
	s_delay_alu instid0(VALU_DEP_3) | instskip(SKIP_2) | instid1(VALU_DEP_3)
	v_cndmask_b32_e32 v12, 0, v12, vcc_lo
	v_cmp_eq_u32_e32 vcc_lo, 0, v9
	v_add_nc_u32_e32 v9, 0xffffff91, v9
	v_cndmask_b32_e64 v12, v12, 0x6f, vcc_lo
	v_cndmask_b32_e32 v10, v13, v10, vcc_lo
	s_delay_alu instid0(VALU_DEP_3) | instskip(NEXT) | instid1(VALU_DEP_3)
	v_cndmask_b32_e64 v9, v9, 0xffffff92, vcc_lo
	v_lshl_add_u32 v13, 0x200000, v12, -1
	s_delay_alu instid0(VALU_DEP_3) | instskip(SKIP_1) | instid1(VALU_DEP_4)
	v_lshrrev_b32_e32 v14, v12, v10
	v_lshlrev_b32_e64 v16, v12, 0x100000
	v_add_nc_u32_e32 v12, v12, v9
	s_delay_alu instid0(VALU_DEP_4) | instskip(NEXT) | instid1(VALU_DEP_4)
	v_and_b32_e32 v10, v13, v10
	v_bfe_u32 v15, v14, 21, 1
	s_delay_alu instid0(VALU_DEP_2) | instskip(NEXT) | instid1(VALU_DEP_2)
	v_cmp_eq_u32_e64 s13, v10, v16
	v_add_nc_u32_e32 v13, -1, v15
	s_delay_alu instid0(VALU_DEP_1) | instskip(SKIP_2) | instid1(VALU_DEP_2)
	v_cndmask_b32_e64 v10, 0, v13, s13
	v_lshrrev_b32_e32 v13, 23, v14
	s_mov_b32 s13, exec_lo
	v_add_nc_u32_e32 v10, v10, v14
	s_delay_alu instid0(VALU_DEP_2) | instskip(NEXT) | instid1(VALU_DEP_2)
	v_xor_b32_e32 v13, 1, v13
	v_and_b32_e32 v9, 0x1fffff, v10
	s_delay_alu instid0(VALU_DEP_1) | instskip(NEXT) | instid1(VALU_DEP_3)
	v_add_nc_u32_e32 v10, v9, v14
                                        ; implicit-def: $vgpr9
	v_cmpx_ne_u32_e64 v12, v13
	s_xor_b32 s13, exec_lo, s13
; %bb.3821:                             ;   in Loop: Header=BB6_3265 Depth=4
	s_delay_alu instid0(VALU_DEP_2) | instskip(SKIP_2) | instid1(VALU_DEP_2)
	v_cmp_lt_u32_e32 vcc_lo, 0xffffff, v10
	v_sub_nc_u32_e32 v9, v12, v13
	v_cndmask_b32_e64 v12, 0, 1, vcc_lo
	v_add_co_ci_u32_e32 v9, vcc_lo, 0, v9, vcc_lo
	s_delay_alu instid0(VALU_DEP_2)
	v_lshrrev_b32_e32 v10, v12, v10
; %bb.3822:                             ;   in Loop: Header=BB6_3265 Depth=4
	s_and_not1_saveexec_b32 s13, s13
; %bb.3823:                             ;   in Loop: Header=BB6_3265 Depth=4
	s_delay_alu instid0(VALU_DEP_1)
	v_bfe_u32 v9, v10, 23, 1
; %bb.3824:                             ;   in Loop: Header=BB6_3265 Depth=4
	s_or_b32 exec_lo, exec_lo, s13
	v_lshrrev_b32_e32 v10, 21, v10
	s_delay_alu instid0(VALU_DEP_2) | instskip(SKIP_2) | instid1(VALU_DEP_3)
	v_min_i32_e32 v12, 31, v9
	v_cmp_gt_i32_e32 vcc_lo, 32, v9
	v_lshrrev_b32_e32 v8, 24, v8
	v_lshlrev_b32_e32 v12, 2, v12
	v_cndmask_b32_e32 v10, 3, v10, vcc_lo
	s_delay_alu instid0(VALU_DEP_3) | instskip(NEXT) | instid1(VALU_DEP_3)
	v_and_b32_e32 v8, 0x80, v8
	v_and_b32_e32 v12, 0xfc, v12
	s_delay_alu instid0(VALU_DEP_3) | instskip(SKIP_1) | instid1(VALU_DEP_2)
	v_and_b32_e32 v13, 3, v10
	v_or_b32_e32 v9, v9, v10
	v_or3_b32 v8, v8, v12, v13
	s_delay_alu instid0(VALU_DEP_2) | instskip(NEXT) | instid1(VALU_DEP_2)
	v_cmp_ne_u32_e32 vcc_lo, 0, v9
	v_lshlrev_b32_e32 v8, 8, v8
	s_delay_alu instid0(VALU_DEP_1)
	v_cndmask_b32_e32 v59, 0, v8, vcc_lo
.LBB6_3825:                             ;   in Loop: Header=BB6_3265 Depth=4
	s_or_b32 exec_lo, exec_lo, s36
.LBB6_3826:                             ;   in Loop: Header=BB6_3265 Depth=4
	s_delay_alu instid0(SALU_CYCLE_1) | instskip(SKIP_3) | instid1(VALU_DEP_1)
	s_or_b32 exec_lo, exec_lo, s35
	v_lshrrev_b32_e32 v8, 16, v11
	s_mov_b32 s13, 0
	s_mov_b32 s36, exec_lo
                                        ; implicit-def: $sgpr35
	v_and_b32_e32 v10, 0xff, v8
	s_delay_alu instid0(VALU_DEP_1)
	v_cmpx_lt_i16_e32 0x7f, v10
	s_xor_b32 s36, exec_lo, s36
	s_cbranch_execnz .LBB6_5248
; %bb.3827:                             ;   in Loop: Header=BB6_3265 Depth=4
	s_or_saveexec_b32 s36, s36
	v_mov_b32_e32 v9, s35
	s_xor_b32 exec_lo, exec_lo, s36
	s_cbranch_execnz .LBB6_5251
.LBB6_3828:                             ;   in Loop: Header=BB6_3265 Depth=4
	s_or_b32 exec_lo, exec_lo, s36
	s_and_saveexec_b32 s35, s13
	s_cbranch_execz .LBB6_3830
.LBB6_3829:                             ;   in Loop: Header=BB6_3265 Depth=4
	v_bfe_u32 v9, v11, 16, 2
	s_delay_alu instid0(VALU_DEP_1) | instskip(NEXT) | instid1(VALU_DEP_1)
	v_clz_i32_u32_e32 v10, v9
	v_min_u32_e32 v10, 32, v10
	s_delay_alu instid0(VALU_DEP_1) | instskip(SKIP_1) | instid1(VALU_DEP_2)
	v_subrev_nc_u32_e32 v12, 29, v10
	v_sub_nc_u32_e32 v10, 30, v10
	v_lshlrev_b32_e32 v8, v12, v8
	v_bfe_u32 v12, v11, 18, 5
	s_delay_alu instid0(VALU_DEP_2) | instskip(NEXT) | instid1(VALU_DEP_2)
	v_and_b32_e32 v8, 3, v8
	v_cmp_eq_u32_e32 vcc_lo, 0, v12
	v_dual_cndmask_b32 v10, v12, v10 :: v_dual_lshlrev_b32 v13, 8, v11
	s_delay_alu instid0(VALU_DEP_1) | instskip(NEXT) | instid1(VALU_DEP_2)
	v_dual_cndmask_b32 v8, v9, v8 :: v_dual_and_b32 v9, 0x80000000, v13
	v_lshl_add_u32 v10, v10, 23, 0x37800000
	s_delay_alu instid0(VALU_DEP_2) | instskip(NEXT) | instid1(VALU_DEP_1)
	v_lshlrev_b32_e32 v8, 21, v8
	v_or3_b32 v9, v9, v10, v8
.LBB6_3830:                             ;   in Loop: Header=BB6_3265 Depth=4
	s_or_b32 exec_lo, exec_lo, s35
	s_delay_alu instid0(VALU_DEP_1) | instskip(SKIP_2) | instid1(VALU_DEP_2)
	v_mul_f32_e32 v8, s34, v9
	v_mov_b32_e32 v44, 0x80
	s_mov_b32 s35, exec_lo
	v_and_b32_e32 v9, 0x7f800000, v8
	s_delay_alu instid0(VALU_DEP_1)
	v_cmpx_ne_u32_e32 0x7f800000, v9
	s_cbranch_execz .LBB6_3838
; %bb.3831:                             ;   in Loop: Header=BB6_3265 Depth=4
	v_mov_b32_e32 v44, 0
	s_mov_b32 s36, exec_lo
	v_cmpx_ne_u32_e32 0, v8
	s_cbranch_execz .LBB6_3837
; %bb.3832:                             ;   in Loop: Header=BB6_3265 Depth=4
	v_bfe_u32 v9, v8, 23, 8
	v_and_b32_e32 v10, 0x7fffff, v8
	s_delay_alu instid0(VALU_DEP_2) | instskip(SKIP_1) | instid1(VALU_DEP_3)
	v_sub_nc_u32_e32 v12, 0x70, v9
	v_cmp_gt_u32_e32 vcc_lo, 0x71, v9
	v_or_b32_e32 v13, 0x800000, v10
	s_delay_alu instid0(VALU_DEP_3) | instskip(SKIP_2) | instid1(VALU_DEP_3)
	v_cndmask_b32_e32 v12, 0, v12, vcc_lo
	v_cmp_eq_u32_e32 vcc_lo, 0, v9
	v_add_nc_u32_e32 v9, 0xffffff91, v9
	v_cndmask_b32_e64 v12, v12, 0x6f, vcc_lo
	v_cndmask_b32_e32 v10, v13, v10, vcc_lo
	s_delay_alu instid0(VALU_DEP_3) | instskip(NEXT) | instid1(VALU_DEP_3)
	v_cndmask_b32_e64 v9, v9, 0xffffff92, vcc_lo
	v_lshl_add_u32 v13, 0x200000, v12, -1
	s_delay_alu instid0(VALU_DEP_3) | instskip(SKIP_1) | instid1(VALU_DEP_4)
	v_lshrrev_b32_e32 v14, v12, v10
	v_lshlrev_b32_e64 v16, v12, 0x100000
	v_add_nc_u32_e32 v12, v12, v9
	s_delay_alu instid0(VALU_DEP_4) | instskip(NEXT) | instid1(VALU_DEP_4)
	v_and_b32_e32 v10, v13, v10
	v_bfe_u32 v15, v14, 21, 1
	s_delay_alu instid0(VALU_DEP_2) | instskip(NEXT) | instid1(VALU_DEP_2)
	v_cmp_eq_u32_e64 s13, v10, v16
	v_add_nc_u32_e32 v13, -1, v15
	s_delay_alu instid0(VALU_DEP_1) | instskip(SKIP_2) | instid1(VALU_DEP_2)
	v_cndmask_b32_e64 v10, 0, v13, s13
	v_lshrrev_b32_e32 v13, 23, v14
	s_mov_b32 s13, exec_lo
	v_add_nc_u32_e32 v10, v10, v14
	s_delay_alu instid0(VALU_DEP_2) | instskip(NEXT) | instid1(VALU_DEP_2)
	v_xor_b32_e32 v13, 1, v13
	v_and_b32_e32 v9, 0x1fffff, v10
	s_delay_alu instid0(VALU_DEP_1) | instskip(NEXT) | instid1(VALU_DEP_3)
	v_add_nc_u32_e32 v10, v9, v14
                                        ; implicit-def: $vgpr9
	v_cmpx_ne_u32_e64 v12, v13
	s_xor_b32 s13, exec_lo, s13
; %bb.3833:                             ;   in Loop: Header=BB6_3265 Depth=4
	s_delay_alu instid0(VALU_DEP_2) | instskip(SKIP_2) | instid1(VALU_DEP_2)
	v_cmp_lt_u32_e32 vcc_lo, 0xffffff, v10
	v_sub_nc_u32_e32 v9, v12, v13
	v_cndmask_b32_e64 v12, 0, 1, vcc_lo
	v_add_co_ci_u32_e32 v9, vcc_lo, 0, v9, vcc_lo
	s_delay_alu instid0(VALU_DEP_2)
	v_lshrrev_b32_e32 v10, v12, v10
; %bb.3834:                             ;   in Loop: Header=BB6_3265 Depth=4
	s_and_not1_saveexec_b32 s13, s13
; %bb.3835:                             ;   in Loop: Header=BB6_3265 Depth=4
	s_delay_alu instid0(VALU_DEP_1)
	v_bfe_u32 v9, v10, 23, 1
; %bb.3836:                             ;   in Loop: Header=BB6_3265 Depth=4
	s_or_b32 exec_lo, exec_lo, s13
	v_lshrrev_b32_e32 v10, 21, v10
	s_delay_alu instid0(VALU_DEP_2) | instskip(SKIP_2) | instid1(VALU_DEP_4)
	v_cmp_gt_i32_e32 vcc_lo, 32, v9
	v_min_i32_e32 v12, 31, v9
	v_lshrrev_b32_e32 v8, 24, v8
	v_cndmask_b32_e32 v10, 3, v10, vcc_lo
	s_delay_alu instid0(VALU_DEP_3) | instskip(NEXT) | instid1(VALU_DEP_3)
	v_lshlrev_b32_e32 v12, 2, v12
	v_and_b32_e32 v8, 0x80, v8
	s_delay_alu instid0(VALU_DEP_3) | instskip(NEXT) | instid1(VALU_DEP_3)
	v_or_b32_e32 v9, v9, v10
	v_and_b32_e32 v12, 0xfc, v12
	s_delay_alu instid0(VALU_DEP_2) | instskip(SKIP_1) | instid1(VALU_DEP_1)
	v_cmp_ne_u32_e32 vcc_lo, 0, v9
	v_and_b32_e32 v13, 3, v10
	v_or3_b32 v8, v12, v8, v13
	s_delay_alu instid0(VALU_DEP_1)
	v_cndmask_b32_e32 v44, 0, v8, vcc_lo
.LBB6_3837:                             ;   in Loop: Header=BB6_3265 Depth=4
	s_or_b32 exec_lo, exec_lo, s36
.LBB6_3838:                             ;   in Loop: Header=BB6_3265 Depth=4
	s_delay_alu instid0(SALU_CYCLE_1) | instskip(SKIP_3) | instid1(VALU_DEP_1)
	s_or_b32 exec_lo, exec_lo, s35
	v_lshrrev_b32_e32 v8, 24, v11
	s_mov_b32 s13, 0
	s_mov_b32 s36, exec_lo
                                        ; implicit-def: $sgpr35
	v_cmpx_lt_i16_e32 0x7f, v8
	s_xor_b32 s36, exec_lo, s36
	s_cbranch_execnz .LBB6_5252
; %bb.3839:                             ;   in Loop: Header=BB6_3265 Depth=4
	s_or_saveexec_b32 s36, s36
	v_mov_b32_e32 v9, s35
	s_xor_b32 exec_lo, exec_lo, s36
	s_cbranch_execnz .LBB6_5255
.LBB6_3840:                             ;   in Loop: Header=BB6_3265 Depth=4
	s_or_b32 exec_lo, exec_lo, s36
	s_and_saveexec_b32 s35, s13
	s_cbranch_execz .LBB6_3842
.LBB6_3841:                             ;   in Loop: Header=BB6_3265 Depth=4
	v_bfe_u32 v9, v11, 24, 2
	s_delay_alu instid0(VALU_DEP_1) | instskip(NEXT) | instid1(VALU_DEP_1)
	v_clz_i32_u32_e32 v10, v9
	v_min_u32_e32 v10, 32, v10
	s_delay_alu instid0(VALU_DEP_1) | instskip(SKIP_1) | instid1(VALU_DEP_2)
	v_subrev_nc_u32_e32 v12, 29, v10
	v_sub_nc_u32_e32 v10, 30, v10
	v_lshlrev_b32_e32 v8, v12, v8
	v_bfe_u32 v12, v11, 26, 5
	s_delay_alu instid0(VALU_DEP_2) | instskip(NEXT) | instid1(VALU_DEP_2)
	v_and_b32_e32 v8, 3, v8
	v_cmp_eq_u32_e32 vcc_lo, 0, v12
	v_cndmask_b32_e32 v10, v12, v10, vcc_lo
	s_delay_alu instid0(VALU_DEP_3) | instskip(NEXT) | instid1(VALU_DEP_2)
	v_dual_cndmask_b32 v8, v9, v8 :: v_dual_and_b32 v9, 0x80000000, v11
	v_lshl_add_u32 v10, v10, 23, 0x37800000
	s_delay_alu instid0(VALU_DEP_2) | instskip(NEXT) | instid1(VALU_DEP_1)
	v_lshlrev_b32_e32 v8, 21, v8
	v_or3_b32 v9, v9, v10, v8
.LBB6_3842:                             ;   in Loop: Header=BB6_3265 Depth=4
	s_or_b32 exec_lo, exec_lo, s35
	s_delay_alu instid0(VALU_DEP_1) | instskip(SKIP_1) | instid1(VALU_DEP_1)
	v_dual_mul_f32 v8, s34, v9 :: v_dual_mov_b32 v47, 0x8000
	s_mov_b32 s35, exec_lo
	v_and_b32_e32 v9, 0x7f800000, v8
	s_delay_alu instid0(VALU_DEP_1)
	v_cmpx_ne_u32_e32 0x7f800000, v9
	s_cbranch_execz .LBB6_3850
; %bb.3843:                             ;   in Loop: Header=BB6_3265 Depth=4
	v_mov_b32_e32 v47, 0
	s_mov_b32 s36, exec_lo
	v_cmpx_ne_u32_e32 0, v8
	s_cbranch_execz .LBB6_3849
; %bb.3844:                             ;   in Loop: Header=BB6_3265 Depth=4
	v_bfe_u32 v9, v8, 23, 8
	s_delay_alu instid0(VALU_DEP_1) | instskip(SKIP_1) | instid1(VALU_DEP_2)
	v_sub_nc_u32_e32 v11, 0x70, v9
	v_cmp_gt_u32_e32 vcc_lo, 0x71, v9
	v_dual_cndmask_b32 v11, 0, v11 :: v_dual_and_b32 v10, 0x7fffff, v8
	s_delay_alu instid0(VALU_DEP_1) | instskip(SKIP_2) | instid1(VALU_DEP_4)
	v_or_b32_e32 v12, 0x800000, v10
	v_cmp_eq_u32_e32 vcc_lo, 0, v9
	v_add_nc_u32_e32 v9, 0xffffff91, v9
	v_cndmask_b32_e64 v11, v11, 0x6f, vcc_lo
	s_delay_alu instid0(VALU_DEP_4) | instskip(NEXT) | instid1(VALU_DEP_3)
	v_cndmask_b32_e32 v10, v12, v10, vcc_lo
	v_cndmask_b32_e64 v9, v9, 0xffffff92, vcc_lo
	s_delay_alu instid0(VALU_DEP_3) | instskip(NEXT) | instid1(VALU_DEP_3)
	v_lshl_add_u32 v12, 0x200000, v11, -1
	v_lshrrev_b32_e32 v13, v11, v10
	v_lshlrev_b32_e64 v15, v11, 0x100000
	s_delay_alu instid0(VALU_DEP_4) | instskip(NEXT) | instid1(VALU_DEP_4)
	v_add_nc_u32_e32 v11, v11, v9
	v_and_b32_e32 v10, v12, v10
	s_delay_alu instid0(VALU_DEP_4) | instskip(NEXT) | instid1(VALU_DEP_2)
	v_bfe_u32 v14, v13, 21, 1
	v_cmp_eq_u32_e64 s13, v10, v15
	s_delay_alu instid0(VALU_DEP_2) | instskip(NEXT) | instid1(VALU_DEP_1)
	v_add_nc_u32_e32 v12, -1, v14
	v_cndmask_b32_e64 v10, 0, v12, s13
	v_lshrrev_b32_e32 v12, 23, v13
	s_mov_b32 s13, exec_lo
	s_delay_alu instid0(VALU_DEP_2) | instskip(NEXT) | instid1(VALU_DEP_2)
	v_add_nc_u32_e32 v10, v10, v13
	v_xor_b32_e32 v12, 1, v12
	s_delay_alu instid0(VALU_DEP_2) | instskip(NEXT) | instid1(VALU_DEP_1)
	v_and_b32_e32 v9, 0x1fffff, v10
	v_add_nc_u32_e32 v10, v9, v13
                                        ; implicit-def: $vgpr9
	s_delay_alu instid0(VALU_DEP_3)
	v_cmpx_ne_u32_e64 v11, v12
	s_xor_b32 s13, exec_lo, s13
; %bb.3845:                             ;   in Loop: Header=BB6_3265 Depth=4
	s_delay_alu instid0(VALU_DEP_2) | instskip(SKIP_2) | instid1(VALU_DEP_2)
	v_cmp_lt_u32_e32 vcc_lo, 0xffffff, v10
	v_sub_nc_u32_e32 v9, v11, v12
	v_cndmask_b32_e64 v11, 0, 1, vcc_lo
	v_add_co_ci_u32_e32 v9, vcc_lo, 0, v9, vcc_lo
	s_delay_alu instid0(VALU_DEP_2)
	v_lshrrev_b32_e32 v10, v11, v10
; %bb.3846:                             ;   in Loop: Header=BB6_3265 Depth=4
	s_and_not1_saveexec_b32 s13, s13
; %bb.3847:                             ;   in Loop: Header=BB6_3265 Depth=4
	s_delay_alu instid0(VALU_DEP_1)
	v_bfe_u32 v9, v10, 23, 1
; %bb.3848:                             ;   in Loop: Header=BB6_3265 Depth=4
	s_or_b32 exec_lo, exec_lo, s13
	v_lshrrev_b32_e32 v10, 21, v10
	s_delay_alu instid0(VALU_DEP_2) | instskip(SKIP_2) | instid1(VALU_DEP_2)
	v_cmp_gt_i32_e32 vcc_lo, 32, v9
	v_min_i32_e32 v11, 31, v9
	v_lshrrev_b32_e32 v8, 24, v8
	v_dual_cndmask_b32 v10, 3, v10 :: v_dual_lshlrev_b32 v11, 2, v11
	s_delay_alu instid0(VALU_DEP_2) | instskip(NEXT) | instid1(VALU_DEP_2)
	v_and_b32_e32 v8, 0x80, v8
	v_or_b32_e32 v9, v9, v10
	s_delay_alu instid0(VALU_DEP_3) | instskip(NEXT) | instid1(VALU_DEP_2)
	v_and_b32_e32 v11, 0xfc, v11
	v_cmp_ne_u32_e32 vcc_lo, 0, v9
	v_and_b32_e32 v12, 3, v10
	s_delay_alu instid0(VALU_DEP_1) | instskip(NEXT) | instid1(VALU_DEP_1)
	v_or3_b32 v8, v8, v11, v12
	v_lshlrev_b32_e32 v8, 8, v8
	s_delay_alu instid0(VALU_DEP_1)
	v_cndmask_b32_e32 v47, 0, v8, vcc_lo
.LBB6_3849:                             ;   in Loop: Header=BB6_3265 Depth=4
	s_or_b32 exec_lo, exec_lo, s36
.LBB6_3850:                             ;   in Loop: Header=BB6_3265 Depth=4
	s_delay_alu instid0(SALU_CYCLE_1)
	s_or_b32 exec_lo, exec_lo, s35
	global_load_b128 v[8:11], v[80:81], off offset:1536 slc dlc
	s_mov_b32 s13, 0
	s_mov_b32 s36, exec_lo
                                        ; implicit-def: $sgpr35
	s_waitcnt vmcnt(0)
	v_and_b32_e32 v13, 0xff, v8
	s_delay_alu instid0(VALU_DEP_1)
	v_cmpx_lt_i16_e32 0x7f, v13
	s_xor_b32 s36, exec_lo, s36
	s_cbranch_execnz .LBB6_5256
; %bb.3851:                             ;   in Loop: Header=BB6_3265 Depth=4
	s_or_saveexec_b32 s36, s36
	v_mov_b32_e32 v12, s35
	s_xor_b32 exec_lo, exec_lo, s36
	s_cbranch_execnz .LBB6_5259
.LBB6_3852:                             ;   in Loop: Header=BB6_3265 Depth=4
	s_or_b32 exec_lo, exec_lo, s36
	s_and_saveexec_b32 s35, s13
	s_cbranch_execz .LBB6_3854
.LBB6_3853:                             ;   in Loop: Header=BB6_3265 Depth=4
	v_bfe_u32 v15, v8, 2, 5
	v_lshlrev_b32_e32 v16, 24, v8
	s_delay_alu instid0(VALU_DEP_2) | instskip(SKIP_1) | instid1(VALU_DEP_1)
	v_cmp_eq_u32_e32 vcc_lo, 0, v15
	v_and_b32_e32 v12, 3, v8
	v_clz_i32_u32_e32 v13, v12
	s_delay_alu instid0(VALU_DEP_1) | instskip(NEXT) | instid1(VALU_DEP_1)
	v_min_u32_e32 v13, 32, v13
	v_subrev_nc_u32_e32 v14, 29, v13
	v_sub_nc_u32_e32 v13, 30, v13
	s_delay_alu instid0(VALU_DEP_1) | instskip(NEXT) | instid1(VALU_DEP_1)
	v_dual_cndmask_b32 v13, v15, v13 :: v_dual_lshlrev_b32 v14, v14, v8
	v_and_b32_e32 v14, 3, v14
	s_delay_alu instid0(VALU_DEP_2) | instskip(NEXT) | instid1(VALU_DEP_2)
	v_lshl_add_u32 v13, v13, 23, 0x37800000
	v_cndmask_b32_e32 v12, v12, v14, vcc_lo
	v_and_b32_e32 v14, 0x80000000, v16
	s_delay_alu instid0(VALU_DEP_2) | instskip(NEXT) | instid1(VALU_DEP_1)
	v_lshlrev_b32_e32 v12, 21, v12
	v_or3_b32 v12, v14, v13, v12
.LBB6_3854:                             ;   in Loop: Header=BB6_3265 Depth=4
	s_or_b32 exec_lo, exec_lo, s35
	s_delay_alu instid0(VALU_DEP_1) | instskip(SKIP_2) | instid1(VALU_DEP_2)
	v_mul_f32_e32 v12, s34, v12
	v_mov_b32_e32 v42, 0x80
	s_mov_b32 s35, exec_lo
	v_and_b32_e32 v13, 0x7f800000, v12
	s_delay_alu instid0(VALU_DEP_1)
	v_cmpx_ne_u32_e32 0x7f800000, v13
	s_cbranch_execz .LBB6_3862
; %bb.3855:                             ;   in Loop: Header=BB6_3265 Depth=4
	v_mov_b32_e32 v42, 0
	s_mov_b32 s36, exec_lo
	v_cmpx_ne_u32_e32 0, v12
	s_cbranch_execz .LBB6_3861
; %bb.3856:                             ;   in Loop: Header=BB6_3265 Depth=4
	v_bfe_u32 v13, v12, 23, 8
	s_delay_alu instid0(VALU_DEP_1) | instskip(SKIP_1) | instid1(VALU_DEP_2)
	v_sub_nc_u32_e32 v15, 0x70, v13
	v_cmp_gt_u32_e32 vcc_lo, 0x71, v13
	v_dual_cndmask_b32 v15, 0, v15 :: v_dual_and_b32 v14, 0x7fffff, v12
	s_delay_alu instid0(VALU_DEP_1) | instskip(SKIP_2) | instid1(VALU_DEP_4)
	v_or_b32_e32 v16, 0x800000, v14
	v_cmp_eq_u32_e32 vcc_lo, 0, v13
	v_add_nc_u32_e32 v13, 0xffffff91, v13
	v_cndmask_b32_e64 v15, v15, 0x6f, vcc_lo
	s_delay_alu instid0(VALU_DEP_4) | instskip(NEXT) | instid1(VALU_DEP_3)
	v_cndmask_b32_e32 v14, v16, v14, vcc_lo
	v_cndmask_b32_e64 v13, v13, 0xffffff92, vcc_lo
	s_delay_alu instid0(VALU_DEP_3) | instskip(NEXT) | instid1(VALU_DEP_3)
	v_lshl_add_u32 v16, 0x200000, v15, -1
	v_lshrrev_b32_e32 v17, v15, v14
	v_lshlrev_b32_e64 v19, v15, 0x100000
	s_delay_alu instid0(VALU_DEP_4) | instskip(NEXT) | instid1(VALU_DEP_4)
	v_add_nc_u32_e32 v15, v15, v13
	v_and_b32_e32 v14, v16, v14
	s_delay_alu instid0(VALU_DEP_4) | instskip(NEXT) | instid1(VALU_DEP_2)
	v_bfe_u32 v18, v17, 21, 1
	v_cmp_eq_u32_e64 s13, v14, v19
	s_delay_alu instid0(VALU_DEP_2) | instskip(NEXT) | instid1(VALU_DEP_1)
	v_add_nc_u32_e32 v16, -1, v18
	v_cndmask_b32_e64 v14, 0, v16, s13
	v_lshrrev_b32_e32 v16, 23, v17
	s_mov_b32 s13, exec_lo
	s_delay_alu instid0(VALU_DEP_2) | instskip(NEXT) | instid1(VALU_DEP_2)
	v_add_nc_u32_e32 v14, v14, v17
	v_xor_b32_e32 v16, 1, v16
	s_delay_alu instid0(VALU_DEP_2) | instskip(NEXT) | instid1(VALU_DEP_1)
	v_and_b32_e32 v13, 0x1fffff, v14
	v_add_nc_u32_e32 v14, v13, v17
                                        ; implicit-def: $vgpr13
	s_delay_alu instid0(VALU_DEP_3)
	v_cmpx_ne_u32_e64 v15, v16
	s_xor_b32 s13, exec_lo, s13
; %bb.3857:                             ;   in Loop: Header=BB6_3265 Depth=4
	s_delay_alu instid0(VALU_DEP_2) | instskip(SKIP_2) | instid1(VALU_DEP_2)
	v_cmp_lt_u32_e32 vcc_lo, 0xffffff, v14
	v_sub_nc_u32_e32 v13, v15, v16
	v_cndmask_b32_e64 v15, 0, 1, vcc_lo
	v_add_co_ci_u32_e32 v13, vcc_lo, 0, v13, vcc_lo
	s_delay_alu instid0(VALU_DEP_2)
	v_lshrrev_b32_e32 v14, v15, v14
; %bb.3858:                             ;   in Loop: Header=BB6_3265 Depth=4
	s_and_not1_saveexec_b32 s13, s13
; %bb.3859:                             ;   in Loop: Header=BB6_3265 Depth=4
	s_delay_alu instid0(VALU_DEP_1)
	v_bfe_u32 v13, v14, 23, 1
; %bb.3860:                             ;   in Loop: Header=BB6_3265 Depth=4
	s_or_b32 exec_lo, exec_lo, s13
	v_lshrrev_b32_e32 v14, 21, v14
	s_delay_alu instid0(VALU_DEP_2) | instskip(SKIP_2) | instid1(VALU_DEP_4)
	v_cmp_gt_i32_e32 vcc_lo, 32, v13
	v_lshrrev_b32_e32 v12, 24, v12
	v_min_i32_e32 v15, 31, v13
	v_cndmask_b32_e32 v14, 3, v14, vcc_lo
	s_delay_alu instid0(VALU_DEP_3) | instskip(NEXT) | instid1(VALU_DEP_3)
	v_and_b32_e32 v12, 0x80, v12
	v_lshlrev_b32_e32 v15, 2, v15
	s_delay_alu instid0(VALU_DEP_3) | instskip(SKIP_1) | instid1(VALU_DEP_2)
	v_and_b32_e32 v16, 3, v14
	v_or_b32_e32 v13, v13, v14
	v_or3_b32 v12, v15, v12, v16
	s_delay_alu instid0(VALU_DEP_2) | instskip(NEXT) | instid1(VALU_DEP_2)
	v_cmp_ne_u32_e32 vcc_lo, 0, v13
	v_cndmask_b32_e32 v42, 0, v12, vcc_lo
.LBB6_3861:                             ;   in Loop: Header=BB6_3265 Depth=4
	s_or_b32 exec_lo, exec_lo, s36
.LBB6_3862:                             ;   in Loop: Header=BB6_3265 Depth=4
	s_delay_alu instid0(SALU_CYCLE_1) | instskip(SKIP_3) | instid1(VALU_DEP_1)
	s_or_b32 exec_lo, exec_lo, s35
	v_lshrrev_b16 v12, 8, v8
	s_mov_b32 s13, 0
	s_mov_b32 s36, exec_lo
                                        ; implicit-def: $sgpr35
	v_cmpx_lt_i16_e32 0x7f, v12
	s_xor_b32 s36, exec_lo, s36
	s_cbranch_execnz .LBB6_5260
; %bb.3863:                             ;   in Loop: Header=BB6_3265 Depth=4
	s_or_saveexec_b32 s36, s36
	v_mov_b32_e32 v13, s35
	s_xor_b32 exec_lo, exec_lo, s36
	s_cbranch_execnz .LBB6_5263
.LBB6_3864:                             ;   in Loop: Header=BB6_3265 Depth=4
	s_or_b32 exec_lo, exec_lo, s36
	s_and_saveexec_b32 s35, s13
	s_cbranch_execz .LBB6_3866
.LBB6_3865:                             ;   in Loop: Header=BB6_3265 Depth=4
	v_and_b32_e32 v13, 0xffff, v12
	v_lshlrev_b32_e32 v12, 24, v12
	s_delay_alu instid0(VALU_DEP_2) | instskip(NEXT) | instid1(VALU_DEP_2)
	v_and_b32_e32 v14, 3, v13
	v_and_b32_e32 v12, 0x80000000, v12
	s_delay_alu instid0(VALU_DEP_2) | instskip(NEXT) | instid1(VALU_DEP_1)
	v_clz_i32_u32_e32 v15, v14
	v_min_u32_e32 v15, 32, v15
	s_delay_alu instid0(VALU_DEP_1) | instskip(SKIP_1) | instid1(VALU_DEP_2)
	v_subrev_nc_u32_e32 v16, 29, v15
	v_sub_nc_u32_e32 v15, 30, v15
	v_lshlrev_b32_e32 v16, v16, v13
	v_bfe_u32 v13, v13, 2, 5
	s_delay_alu instid0(VALU_DEP_2) | instskip(NEXT) | instid1(VALU_DEP_2)
	v_and_b32_e32 v16, 3, v16
	v_cmp_eq_u32_e32 vcc_lo, 0, v13
	s_delay_alu instid0(VALU_DEP_2) | instskip(NEXT) | instid1(VALU_DEP_1)
	v_dual_cndmask_b32 v13, v13, v15 :: v_dual_cndmask_b32 v14, v14, v16
	v_lshl_add_u32 v13, v13, 23, 0x37800000
	s_delay_alu instid0(VALU_DEP_2) | instskip(NEXT) | instid1(VALU_DEP_1)
	v_lshlrev_b32_e32 v14, 21, v14
	v_or3_b32 v13, v12, v13, v14
.LBB6_3866:                             ;   in Loop: Header=BB6_3265 Depth=4
	s_or_b32 exec_lo, exec_lo, s35
	s_delay_alu instid0(VALU_DEP_1) | instskip(SKIP_2) | instid1(VALU_DEP_2)
	v_mul_f32_e32 v12, s34, v13
	v_mov_b32_e32 v40, 0x80
	s_mov_b32 s35, exec_lo
	v_and_b32_e32 v13, 0x7f800000, v12
	s_delay_alu instid0(VALU_DEP_1)
	v_cmpx_ne_u32_e32 0x7f800000, v13
	s_cbranch_execz .LBB6_3874
; %bb.3867:                             ;   in Loop: Header=BB6_3265 Depth=4
	v_mov_b32_e32 v40, 0
	s_mov_b32 s36, exec_lo
	v_cmpx_ne_u32_e32 0, v12
	s_cbranch_execz .LBB6_3873
; %bb.3868:                             ;   in Loop: Header=BB6_3265 Depth=4
	v_bfe_u32 v13, v12, 23, 8
	s_delay_alu instid0(VALU_DEP_1) | instskip(SKIP_1) | instid1(VALU_DEP_2)
	v_sub_nc_u32_e32 v15, 0x70, v13
	v_cmp_gt_u32_e32 vcc_lo, 0x71, v13
	v_dual_cndmask_b32 v15, 0, v15 :: v_dual_and_b32 v14, 0x7fffff, v12
	s_delay_alu instid0(VALU_DEP_1) | instskip(SKIP_2) | instid1(VALU_DEP_4)
	v_or_b32_e32 v16, 0x800000, v14
	v_cmp_eq_u32_e32 vcc_lo, 0, v13
	v_add_nc_u32_e32 v13, 0xffffff91, v13
	v_cndmask_b32_e64 v15, v15, 0x6f, vcc_lo
	s_delay_alu instid0(VALU_DEP_4) | instskip(NEXT) | instid1(VALU_DEP_3)
	v_cndmask_b32_e32 v14, v16, v14, vcc_lo
	v_cndmask_b32_e64 v13, v13, 0xffffff92, vcc_lo
	s_delay_alu instid0(VALU_DEP_3) | instskip(NEXT) | instid1(VALU_DEP_3)
	v_lshl_add_u32 v16, 0x200000, v15, -1
	v_lshrrev_b32_e32 v17, v15, v14
	v_lshlrev_b32_e64 v19, v15, 0x100000
	s_delay_alu instid0(VALU_DEP_4) | instskip(NEXT) | instid1(VALU_DEP_4)
	v_add_nc_u32_e32 v15, v15, v13
	v_and_b32_e32 v14, v16, v14
	s_delay_alu instid0(VALU_DEP_4) | instskip(NEXT) | instid1(VALU_DEP_2)
	v_bfe_u32 v18, v17, 21, 1
	v_cmp_eq_u32_e64 s13, v14, v19
	s_delay_alu instid0(VALU_DEP_2) | instskip(NEXT) | instid1(VALU_DEP_1)
	v_add_nc_u32_e32 v16, -1, v18
	v_cndmask_b32_e64 v14, 0, v16, s13
	v_lshrrev_b32_e32 v16, 23, v17
	s_mov_b32 s13, exec_lo
	s_delay_alu instid0(VALU_DEP_2) | instskip(NEXT) | instid1(VALU_DEP_2)
	v_add_nc_u32_e32 v14, v14, v17
	v_xor_b32_e32 v16, 1, v16
	s_delay_alu instid0(VALU_DEP_2) | instskip(NEXT) | instid1(VALU_DEP_1)
	v_and_b32_e32 v13, 0x1fffff, v14
	v_add_nc_u32_e32 v14, v13, v17
                                        ; implicit-def: $vgpr13
	s_delay_alu instid0(VALU_DEP_3)
	v_cmpx_ne_u32_e64 v15, v16
	s_xor_b32 s13, exec_lo, s13
; %bb.3869:                             ;   in Loop: Header=BB6_3265 Depth=4
	s_delay_alu instid0(VALU_DEP_2) | instskip(SKIP_2) | instid1(VALU_DEP_2)
	v_cmp_lt_u32_e32 vcc_lo, 0xffffff, v14
	v_sub_nc_u32_e32 v13, v15, v16
	v_cndmask_b32_e64 v15, 0, 1, vcc_lo
	v_add_co_ci_u32_e32 v13, vcc_lo, 0, v13, vcc_lo
	s_delay_alu instid0(VALU_DEP_2)
	v_lshrrev_b32_e32 v14, v15, v14
; %bb.3870:                             ;   in Loop: Header=BB6_3265 Depth=4
	s_and_not1_saveexec_b32 s13, s13
; %bb.3871:                             ;   in Loop: Header=BB6_3265 Depth=4
	s_delay_alu instid0(VALU_DEP_1)
	v_bfe_u32 v13, v14, 23, 1
; %bb.3872:                             ;   in Loop: Header=BB6_3265 Depth=4
	s_or_b32 exec_lo, exec_lo, s13
	v_lshrrev_b32_e32 v14, 21, v14
	s_delay_alu instid0(VALU_DEP_2) | instskip(SKIP_2) | instid1(VALU_DEP_4)
	v_cmp_gt_i32_e32 vcc_lo, 32, v13
	v_lshrrev_b32_e32 v12, 24, v12
	v_min_i32_e32 v15, 31, v13
	v_cndmask_b32_e32 v14, 3, v14, vcc_lo
	s_delay_alu instid0(VALU_DEP_3) | instskip(NEXT) | instid1(VALU_DEP_3)
	v_and_b32_e32 v12, 0x80, v12
	v_lshlrev_b32_e32 v15, 2, v15
	s_delay_alu instid0(VALU_DEP_3) | instskip(SKIP_1) | instid1(VALU_DEP_2)
	v_and_b32_e32 v16, 3, v14
	v_or_b32_e32 v13, v13, v14
	v_or3_b32 v12, v15, v12, v16
	s_delay_alu instid0(VALU_DEP_2) | instskip(NEXT) | instid1(VALU_DEP_2)
	v_cmp_ne_u32_e32 vcc_lo, 0, v13
	v_cndmask_b32_e32 v40, 0, v12, vcc_lo
.LBB6_3873:                             ;   in Loop: Header=BB6_3265 Depth=4
	s_or_b32 exec_lo, exec_lo, s36
.LBB6_3874:                             ;   in Loop: Header=BB6_3265 Depth=4
	s_delay_alu instid0(SALU_CYCLE_1) | instskip(SKIP_3) | instid1(VALU_DEP_1)
	s_or_b32 exec_lo, exec_lo, s35
	v_lshrrev_b32_e32 v12, 16, v8
	s_mov_b32 s13, 0
	s_mov_b32 s36, exec_lo
                                        ; implicit-def: $sgpr35
	v_and_b32_e32 v14, 0xff, v12
	s_delay_alu instid0(VALU_DEP_1)
	v_cmpx_lt_i16_e32 0x7f, v14
	s_xor_b32 s36, exec_lo, s36
	s_cbranch_execnz .LBB6_5264
; %bb.3875:                             ;   in Loop: Header=BB6_3265 Depth=4
	s_or_saveexec_b32 s36, s36
	v_mov_b32_e32 v13, s35
	s_xor_b32 exec_lo, exec_lo, s36
	s_cbranch_execnz .LBB6_5267
.LBB6_3876:                             ;   in Loop: Header=BB6_3265 Depth=4
	s_or_b32 exec_lo, exec_lo, s36
	s_and_saveexec_b32 s35, s13
	s_cbranch_execz .LBB6_3878
.LBB6_3877:                             ;   in Loop: Header=BB6_3265 Depth=4
	v_bfe_u32 v13, v8, 16, 2
	v_lshlrev_b32_e32 v16, 8, v8
	s_delay_alu instid0(VALU_DEP_2) | instskip(NEXT) | instid1(VALU_DEP_1)
	v_clz_i32_u32_e32 v14, v13
	v_min_u32_e32 v14, 32, v14
	s_delay_alu instid0(VALU_DEP_1) | instskip(SKIP_1) | instid1(VALU_DEP_2)
	v_subrev_nc_u32_e32 v15, 29, v14
	v_sub_nc_u32_e32 v14, 30, v14
	v_lshlrev_b32_e32 v12, v15, v12
	v_bfe_u32 v15, v8, 18, 5
	s_delay_alu instid0(VALU_DEP_2) | instskip(NEXT) | instid1(VALU_DEP_2)
	v_and_b32_e32 v12, 3, v12
	v_cmp_eq_u32_e32 vcc_lo, 0, v15
	v_cndmask_b32_e32 v14, v15, v14, vcc_lo
	s_delay_alu instid0(VALU_DEP_3) | instskip(SKIP_1) | instid1(VALU_DEP_3)
	v_cndmask_b32_e32 v12, v13, v12, vcc_lo
	v_and_b32_e32 v13, 0x80000000, v16
	v_lshl_add_u32 v14, v14, 23, 0x37800000
	s_delay_alu instid0(VALU_DEP_3) | instskip(NEXT) | instid1(VALU_DEP_1)
	v_lshlrev_b32_e32 v12, 21, v12
	v_or3_b32 v13, v13, v14, v12
.LBB6_3878:                             ;   in Loop: Header=BB6_3265 Depth=4
	s_or_b32 exec_lo, exec_lo, s35
	s_delay_alu instid0(VALU_DEP_1) | instskip(SKIP_2) | instid1(VALU_DEP_2)
	v_mul_f32_e32 v12, s34, v13
	v_mov_b32_e32 v182, 0x80
	s_mov_b32 s35, exec_lo
	v_and_b32_e32 v13, 0x7f800000, v12
	s_delay_alu instid0(VALU_DEP_1)
	v_cmpx_ne_u32_e32 0x7f800000, v13
	s_cbranch_execz .LBB6_3886
; %bb.3879:                             ;   in Loop: Header=BB6_3265 Depth=4
	v_mov_b32_e32 v182, 0
	s_mov_b32 s36, exec_lo
	v_cmpx_ne_u32_e32 0, v12
	s_cbranch_execz .LBB6_3885
; %bb.3880:                             ;   in Loop: Header=BB6_3265 Depth=4
	v_bfe_u32 v13, v12, 23, 8
	s_delay_alu instid0(VALU_DEP_1) | instskip(SKIP_1) | instid1(VALU_DEP_2)
	v_sub_nc_u32_e32 v15, 0x70, v13
	v_cmp_gt_u32_e32 vcc_lo, 0x71, v13
	v_dual_cndmask_b32 v15, 0, v15 :: v_dual_and_b32 v14, 0x7fffff, v12
	s_delay_alu instid0(VALU_DEP_1) | instskip(SKIP_2) | instid1(VALU_DEP_4)
	v_or_b32_e32 v16, 0x800000, v14
	v_cmp_eq_u32_e32 vcc_lo, 0, v13
	v_add_nc_u32_e32 v13, 0xffffff91, v13
	v_cndmask_b32_e64 v15, v15, 0x6f, vcc_lo
	s_delay_alu instid0(VALU_DEP_4) | instskip(NEXT) | instid1(VALU_DEP_3)
	v_cndmask_b32_e32 v14, v16, v14, vcc_lo
	v_cndmask_b32_e64 v13, v13, 0xffffff92, vcc_lo
	s_delay_alu instid0(VALU_DEP_3) | instskip(NEXT) | instid1(VALU_DEP_3)
	v_lshl_add_u32 v16, 0x200000, v15, -1
	v_lshrrev_b32_e32 v17, v15, v14
	v_lshlrev_b32_e64 v19, v15, 0x100000
	s_delay_alu instid0(VALU_DEP_4) | instskip(NEXT) | instid1(VALU_DEP_4)
	v_add_nc_u32_e32 v15, v15, v13
	v_and_b32_e32 v14, v16, v14
	s_delay_alu instid0(VALU_DEP_4) | instskip(NEXT) | instid1(VALU_DEP_2)
	v_bfe_u32 v18, v17, 21, 1
	v_cmp_eq_u32_e64 s13, v14, v19
	s_delay_alu instid0(VALU_DEP_2) | instskip(NEXT) | instid1(VALU_DEP_1)
	v_add_nc_u32_e32 v16, -1, v18
	v_cndmask_b32_e64 v14, 0, v16, s13
	v_lshrrev_b32_e32 v16, 23, v17
	s_mov_b32 s13, exec_lo
	s_delay_alu instid0(VALU_DEP_2) | instskip(NEXT) | instid1(VALU_DEP_2)
	v_add_nc_u32_e32 v14, v14, v17
	v_xor_b32_e32 v16, 1, v16
	s_delay_alu instid0(VALU_DEP_2) | instskip(NEXT) | instid1(VALU_DEP_1)
	v_and_b32_e32 v13, 0x1fffff, v14
	v_add_nc_u32_e32 v14, v13, v17
                                        ; implicit-def: $vgpr13
	s_delay_alu instid0(VALU_DEP_3)
	v_cmpx_ne_u32_e64 v15, v16
	s_xor_b32 s13, exec_lo, s13
; %bb.3881:                             ;   in Loop: Header=BB6_3265 Depth=4
	s_delay_alu instid0(VALU_DEP_2) | instskip(SKIP_2) | instid1(VALU_DEP_2)
	v_cmp_lt_u32_e32 vcc_lo, 0xffffff, v14
	v_sub_nc_u32_e32 v13, v15, v16
	v_cndmask_b32_e64 v15, 0, 1, vcc_lo
	v_add_co_ci_u32_e32 v13, vcc_lo, 0, v13, vcc_lo
	s_delay_alu instid0(VALU_DEP_2)
	v_lshrrev_b32_e32 v14, v15, v14
; %bb.3882:                             ;   in Loop: Header=BB6_3265 Depth=4
	s_and_not1_saveexec_b32 s13, s13
; %bb.3883:                             ;   in Loop: Header=BB6_3265 Depth=4
	s_delay_alu instid0(VALU_DEP_1)
	v_bfe_u32 v13, v14, 23, 1
; %bb.3884:                             ;   in Loop: Header=BB6_3265 Depth=4
	s_or_b32 exec_lo, exec_lo, s13
	v_lshrrev_b32_e32 v14, 21, v14
	s_delay_alu instid0(VALU_DEP_2) | instskip(SKIP_2) | instid1(VALU_DEP_4)
	v_cmp_gt_i32_e32 vcc_lo, 32, v13
	v_lshrrev_b32_e32 v12, 24, v12
	v_min_i32_e32 v15, 31, v13
	v_cndmask_b32_e32 v14, 3, v14, vcc_lo
	s_delay_alu instid0(VALU_DEP_3) | instskip(NEXT) | instid1(VALU_DEP_3)
	v_and_b32_e32 v12, 0x80, v12
	v_lshlrev_b32_e32 v15, 2, v15
	s_delay_alu instid0(VALU_DEP_3) | instskip(SKIP_1) | instid1(VALU_DEP_2)
	v_and_b32_e32 v16, 3, v14
	v_or_b32_e32 v13, v13, v14
	v_or3_b32 v12, v15, v12, v16
	s_delay_alu instid0(VALU_DEP_2) | instskip(NEXT) | instid1(VALU_DEP_2)
	v_cmp_ne_u32_e32 vcc_lo, 0, v13
	v_cndmask_b32_e32 v182, 0, v12, vcc_lo
.LBB6_3885:                             ;   in Loop: Header=BB6_3265 Depth=4
	s_or_b32 exec_lo, exec_lo, s36
.LBB6_3886:                             ;   in Loop: Header=BB6_3265 Depth=4
	s_delay_alu instid0(SALU_CYCLE_1) | instskip(SKIP_3) | instid1(VALU_DEP_1)
	s_or_b32 exec_lo, exec_lo, s35
	v_lshrrev_b32_e32 v12, 24, v8
	s_mov_b32 s13, 0
	s_mov_b32 s36, exec_lo
                                        ; implicit-def: $sgpr35
	v_cmpx_lt_i16_e32 0x7f, v12
	s_xor_b32 s36, exec_lo, s36
	s_cbranch_execnz .LBB6_5268
; %bb.3887:                             ;   in Loop: Header=BB6_3265 Depth=4
	s_or_saveexec_b32 s36, s36
	v_mov_b32_e32 v13, s35
	s_xor_b32 exec_lo, exec_lo, s36
	s_cbranch_execnz .LBB6_5271
.LBB6_3888:                             ;   in Loop: Header=BB6_3265 Depth=4
	s_or_b32 exec_lo, exec_lo, s36
	s_and_saveexec_b32 s35, s13
	s_cbranch_execz .LBB6_3890
.LBB6_3889:                             ;   in Loop: Header=BB6_3265 Depth=4
	v_bfe_u32 v13, v8, 24, 2
	s_delay_alu instid0(VALU_DEP_1) | instskip(NEXT) | instid1(VALU_DEP_1)
	v_clz_i32_u32_e32 v14, v13
	v_min_u32_e32 v14, 32, v14
	s_delay_alu instid0(VALU_DEP_1) | instskip(SKIP_1) | instid1(VALU_DEP_2)
	v_subrev_nc_u32_e32 v15, 29, v14
	v_sub_nc_u32_e32 v14, 30, v14
	v_lshlrev_b32_e32 v12, v15, v12
	v_bfe_u32 v15, v8, 26, 5
	v_and_b32_e32 v8, 0x80000000, v8
	s_delay_alu instid0(VALU_DEP_3) | instskip(NEXT) | instid1(VALU_DEP_3)
	v_and_b32_e32 v12, 3, v12
	v_cmp_eq_u32_e32 vcc_lo, 0, v15
	v_cndmask_b32_e32 v14, v15, v14, vcc_lo
	s_delay_alu instid0(VALU_DEP_3) | instskip(NEXT) | instid1(VALU_DEP_2)
	v_cndmask_b32_e32 v12, v13, v12, vcc_lo
	v_lshl_add_u32 v13, v14, 23, 0x37800000
	s_delay_alu instid0(VALU_DEP_2) | instskip(NEXT) | instid1(VALU_DEP_1)
	v_lshlrev_b32_e32 v12, 21, v12
	v_or3_b32 v13, v8, v13, v12
.LBB6_3890:                             ;   in Loop: Header=BB6_3265 Depth=4
	s_or_b32 exec_lo, exec_lo, s35
	s_delay_alu instid0(VALU_DEP_1) | instskip(SKIP_2) | instid1(VALU_DEP_2)
	v_mul_f32_e32 v8, s34, v13
	v_mov_b32_e32 v180, 0x80
	s_mov_b32 s35, exec_lo
	v_and_b32_e32 v12, 0x7f800000, v8
	s_delay_alu instid0(VALU_DEP_1)
	v_cmpx_ne_u32_e32 0x7f800000, v12
	s_cbranch_execz .LBB6_3898
; %bb.3891:                             ;   in Loop: Header=BB6_3265 Depth=4
	v_mov_b32_e32 v180, 0
	s_mov_b32 s36, exec_lo
	v_cmpx_ne_u32_e32 0, v8
	s_cbranch_execz .LBB6_3897
; %bb.3892:                             ;   in Loop: Header=BB6_3265 Depth=4
	v_bfe_u32 v12, v8, 23, 8
	s_delay_alu instid0(VALU_DEP_1) | instskip(SKIP_1) | instid1(VALU_DEP_2)
	v_sub_nc_u32_e32 v14, 0x70, v12
	v_cmp_gt_u32_e32 vcc_lo, 0x71, v12
	v_dual_cndmask_b32 v14, 0, v14 :: v_dual_and_b32 v13, 0x7fffff, v8
	s_delay_alu instid0(VALU_DEP_1) | instskip(SKIP_2) | instid1(VALU_DEP_4)
	v_or_b32_e32 v15, 0x800000, v13
	v_cmp_eq_u32_e32 vcc_lo, 0, v12
	v_add_nc_u32_e32 v12, 0xffffff91, v12
	v_cndmask_b32_e64 v14, v14, 0x6f, vcc_lo
	s_delay_alu instid0(VALU_DEP_4) | instskip(NEXT) | instid1(VALU_DEP_3)
	v_cndmask_b32_e32 v13, v15, v13, vcc_lo
	v_cndmask_b32_e64 v12, v12, 0xffffff92, vcc_lo
	s_delay_alu instid0(VALU_DEP_3) | instskip(NEXT) | instid1(VALU_DEP_3)
	v_lshl_add_u32 v15, 0x200000, v14, -1
	v_lshrrev_b32_e32 v16, v14, v13
	v_lshlrev_b32_e64 v18, v14, 0x100000
	s_delay_alu instid0(VALU_DEP_4) | instskip(NEXT) | instid1(VALU_DEP_4)
	v_add_nc_u32_e32 v14, v14, v12
	v_and_b32_e32 v13, v15, v13
	s_delay_alu instid0(VALU_DEP_4) | instskip(NEXT) | instid1(VALU_DEP_2)
	v_bfe_u32 v17, v16, 21, 1
	v_cmp_eq_u32_e64 s13, v13, v18
	s_delay_alu instid0(VALU_DEP_2) | instskip(NEXT) | instid1(VALU_DEP_1)
	v_add_nc_u32_e32 v15, -1, v17
	v_cndmask_b32_e64 v13, 0, v15, s13
	v_lshrrev_b32_e32 v15, 23, v16
	s_mov_b32 s13, exec_lo
	s_delay_alu instid0(VALU_DEP_2) | instskip(NEXT) | instid1(VALU_DEP_2)
	v_add_nc_u32_e32 v13, v13, v16
	v_xor_b32_e32 v15, 1, v15
	s_delay_alu instid0(VALU_DEP_2) | instskip(NEXT) | instid1(VALU_DEP_1)
	v_and_b32_e32 v12, 0x1fffff, v13
	v_add_nc_u32_e32 v13, v12, v16
                                        ; implicit-def: $vgpr12
	s_delay_alu instid0(VALU_DEP_3)
	v_cmpx_ne_u32_e64 v14, v15
	s_xor_b32 s13, exec_lo, s13
; %bb.3893:                             ;   in Loop: Header=BB6_3265 Depth=4
	s_delay_alu instid0(VALU_DEP_2) | instskip(SKIP_2) | instid1(VALU_DEP_2)
	v_cmp_lt_u32_e32 vcc_lo, 0xffffff, v13
	v_sub_nc_u32_e32 v12, v14, v15
	v_cndmask_b32_e64 v14, 0, 1, vcc_lo
	v_add_co_ci_u32_e32 v12, vcc_lo, 0, v12, vcc_lo
	s_delay_alu instid0(VALU_DEP_2)
	v_lshrrev_b32_e32 v13, v14, v13
; %bb.3894:                             ;   in Loop: Header=BB6_3265 Depth=4
	s_and_not1_saveexec_b32 s13, s13
; %bb.3895:                             ;   in Loop: Header=BB6_3265 Depth=4
	s_delay_alu instid0(VALU_DEP_1)
	v_bfe_u32 v12, v13, 23, 1
; %bb.3896:                             ;   in Loop: Header=BB6_3265 Depth=4
	s_or_b32 exec_lo, exec_lo, s13
	v_lshrrev_b32_e32 v13, 21, v13
	s_delay_alu instid0(VALU_DEP_2) | instskip(SKIP_2) | instid1(VALU_DEP_2)
	v_cmp_gt_i32_e32 vcc_lo, 32, v12
	v_lshrrev_b32_e32 v8, 24, v8
	v_min_i32_e32 v14, 31, v12
	v_dual_cndmask_b32 v13, 3, v13 :: v_dual_and_b32 v8, 0x80, v8
	s_delay_alu instid0(VALU_DEP_2) | instskip(NEXT) | instid1(VALU_DEP_2)
	v_lshlrev_b32_e32 v14, 2, v14
	v_or_b32_e32 v12, v12, v13
	s_delay_alu instid0(VALU_DEP_1) | instskip(SKIP_1) | instid1(VALU_DEP_1)
	v_cmp_ne_u32_e32 vcc_lo, 0, v12
	v_and_b32_e32 v15, 3, v13
	v_or3_b32 v8, v14, v8, v15
	s_delay_alu instid0(VALU_DEP_1)
	v_cndmask_b32_e32 v180, 0, v8, vcc_lo
.LBB6_3897:                             ;   in Loop: Header=BB6_3265 Depth=4
	s_or_b32 exec_lo, exec_lo, s36
.LBB6_3898:                             ;   in Loop: Header=BB6_3265 Depth=4
	s_delay_alu instid0(SALU_CYCLE_1) | instskip(SKIP_3) | instid1(VALU_DEP_1)
	s_or_b32 exec_lo, exec_lo, s35
	v_and_b32_e32 v12, 0xff, v9
	s_mov_b32 s13, 0
	s_mov_b32 s36, exec_lo
                                        ; implicit-def: $sgpr35
	v_cmpx_lt_i16_e32 0x7f, v12
	s_xor_b32 s36, exec_lo, s36
	s_cbranch_execnz .LBB6_5272
; %bb.3899:                             ;   in Loop: Header=BB6_3265 Depth=4
	s_or_saveexec_b32 s36, s36
	v_mov_b32_e32 v8, s35
	s_xor_b32 exec_lo, exec_lo, s36
	s_cbranch_execnz .LBB6_5275
.LBB6_3900:                             ;   in Loop: Header=BB6_3265 Depth=4
	s_or_b32 exec_lo, exec_lo, s36
	s_and_saveexec_b32 s35, s13
	s_cbranch_execz .LBB6_3902
.LBB6_3901:                             ;   in Loop: Header=BB6_3265 Depth=4
	v_and_b32_e32 v8, 3, v9
	v_bfe_u32 v14, v9, 2, 5
	v_lshlrev_b32_e32 v15, 24, v9
	s_delay_alu instid0(VALU_DEP_3) | instskip(NEXT) | instid1(VALU_DEP_3)
	v_clz_i32_u32_e32 v12, v8
	v_cmp_eq_u32_e32 vcc_lo, 0, v14
	s_delay_alu instid0(VALU_DEP_2) | instskip(NEXT) | instid1(VALU_DEP_1)
	v_min_u32_e32 v12, 32, v12
	v_subrev_nc_u32_e32 v13, 29, v12
	v_sub_nc_u32_e32 v12, 30, v12
	s_delay_alu instid0(VALU_DEP_1) | instskip(NEXT) | instid1(VALU_DEP_1)
	v_dual_cndmask_b32 v12, v14, v12 :: v_dual_lshlrev_b32 v13, v13, v9
	v_and_b32_e32 v13, 3, v13
	s_delay_alu instid0(VALU_DEP_2) | instskip(NEXT) | instid1(VALU_DEP_2)
	v_lshl_add_u32 v12, v12, 23, 0x37800000
	v_dual_cndmask_b32 v8, v8, v13 :: v_dual_and_b32 v13, 0x80000000, v15
	s_delay_alu instid0(VALU_DEP_1) | instskip(NEXT) | instid1(VALU_DEP_1)
	v_lshlrev_b32_e32 v8, 21, v8
	v_or3_b32 v8, v13, v12, v8
.LBB6_3902:                             ;   in Loop: Header=BB6_3265 Depth=4
	s_or_b32 exec_lo, exec_lo, s35
	s_delay_alu instid0(VALU_DEP_1) | instskip(SKIP_2) | instid1(VALU_DEP_2)
	v_mul_f32_e32 v8, s34, v8
	v_mov_b32_e32 v52, 0x80
	s_mov_b32 s35, exec_lo
	v_and_b32_e32 v12, 0x7f800000, v8
	s_delay_alu instid0(VALU_DEP_1)
	v_cmpx_ne_u32_e32 0x7f800000, v12
	s_cbranch_execz .LBB6_3910
; %bb.3903:                             ;   in Loop: Header=BB6_3265 Depth=4
	v_mov_b32_e32 v52, 0
	s_mov_b32 s36, exec_lo
	v_cmpx_ne_u32_e32 0, v8
	s_cbranch_execz .LBB6_3909
; %bb.3904:                             ;   in Loop: Header=BB6_3265 Depth=4
	v_bfe_u32 v12, v8, 23, 8
	s_delay_alu instid0(VALU_DEP_1) | instskip(SKIP_1) | instid1(VALU_DEP_2)
	v_sub_nc_u32_e32 v14, 0x70, v12
	v_cmp_gt_u32_e32 vcc_lo, 0x71, v12
	v_dual_cndmask_b32 v14, 0, v14 :: v_dual_and_b32 v13, 0x7fffff, v8
	s_delay_alu instid0(VALU_DEP_1) | instskip(SKIP_2) | instid1(VALU_DEP_4)
	v_or_b32_e32 v15, 0x800000, v13
	v_cmp_eq_u32_e32 vcc_lo, 0, v12
	v_add_nc_u32_e32 v12, 0xffffff91, v12
	v_cndmask_b32_e64 v14, v14, 0x6f, vcc_lo
	s_delay_alu instid0(VALU_DEP_4) | instskip(NEXT) | instid1(VALU_DEP_3)
	v_cndmask_b32_e32 v13, v15, v13, vcc_lo
	v_cndmask_b32_e64 v12, v12, 0xffffff92, vcc_lo
	s_delay_alu instid0(VALU_DEP_3) | instskip(NEXT) | instid1(VALU_DEP_3)
	v_lshl_add_u32 v15, 0x200000, v14, -1
	v_lshrrev_b32_e32 v16, v14, v13
	v_lshlrev_b32_e64 v18, v14, 0x100000
	s_delay_alu instid0(VALU_DEP_4) | instskip(NEXT) | instid1(VALU_DEP_4)
	v_add_nc_u32_e32 v14, v14, v12
	v_and_b32_e32 v13, v15, v13
	s_delay_alu instid0(VALU_DEP_4) | instskip(NEXT) | instid1(VALU_DEP_2)
	v_bfe_u32 v17, v16, 21, 1
	v_cmp_eq_u32_e64 s13, v13, v18
	s_delay_alu instid0(VALU_DEP_2) | instskip(NEXT) | instid1(VALU_DEP_1)
	v_add_nc_u32_e32 v15, -1, v17
	v_cndmask_b32_e64 v13, 0, v15, s13
	v_lshrrev_b32_e32 v15, 23, v16
	s_mov_b32 s13, exec_lo
	s_delay_alu instid0(VALU_DEP_2) | instskip(NEXT) | instid1(VALU_DEP_2)
	v_add_nc_u32_e32 v13, v13, v16
	v_xor_b32_e32 v15, 1, v15
	s_delay_alu instid0(VALU_DEP_2) | instskip(NEXT) | instid1(VALU_DEP_1)
	v_and_b32_e32 v12, 0x1fffff, v13
	v_add_nc_u32_e32 v13, v12, v16
                                        ; implicit-def: $vgpr12
	s_delay_alu instid0(VALU_DEP_3)
	v_cmpx_ne_u32_e64 v14, v15
	s_xor_b32 s13, exec_lo, s13
; %bb.3905:                             ;   in Loop: Header=BB6_3265 Depth=4
	s_delay_alu instid0(VALU_DEP_2) | instskip(SKIP_2) | instid1(VALU_DEP_2)
	v_cmp_lt_u32_e32 vcc_lo, 0xffffff, v13
	v_sub_nc_u32_e32 v12, v14, v15
	v_cndmask_b32_e64 v14, 0, 1, vcc_lo
	v_add_co_ci_u32_e32 v12, vcc_lo, 0, v12, vcc_lo
	s_delay_alu instid0(VALU_DEP_2)
	v_lshrrev_b32_e32 v13, v14, v13
; %bb.3906:                             ;   in Loop: Header=BB6_3265 Depth=4
	s_and_not1_saveexec_b32 s13, s13
; %bb.3907:                             ;   in Loop: Header=BB6_3265 Depth=4
	s_delay_alu instid0(VALU_DEP_1)
	v_bfe_u32 v12, v13, 23, 1
; %bb.3908:                             ;   in Loop: Header=BB6_3265 Depth=4
	s_or_b32 exec_lo, exec_lo, s13
	v_lshrrev_b32_e32 v13, 21, v13
	s_delay_alu instid0(VALU_DEP_2) | instskip(SKIP_2) | instid1(VALU_DEP_2)
	v_cmp_gt_i32_e32 vcc_lo, 32, v12
	v_min_i32_e32 v14, 31, v12
	v_lshrrev_b32_e32 v8, 24, v8
	v_dual_cndmask_b32 v13, 3, v13 :: v_dual_lshlrev_b32 v14, 2, v14
	s_delay_alu instid0(VALU_DEP_2) | instskip(NEXT) | instid1(VALU_DEP_2)
	v_and_b32_e32 v8, 0x80, v8
	v_or_b32_e32 v12, v12, v13
	s_delay_alu instid0(VALU_DEP_3) | instskip(NEXT) | instid1(VALU_DEP_2)
	v_and_b32_e32 v14, 0xfc, v14
	v_cmp_ne_u32_e32 vcc_lo, 0, v12
	v_and_b32_e32 v15, 3, v13
	s_delay_alu instid0(VALU_DEP_1) | instskip(NEXT) | instid1(VALU_DEP_1)
	v_or3_b32 v8, v14, v8, v15
	v_cndmask_b32_e32 v52, 0, v8, vcc_lo
.LBB6_3909:                             ;   in Loop: Header=BB6_3265 Depth=4
	s_or_b32 exec_lo, exec_lo, s36
.LBB6_3910:                             ;   in Loop: Header=BB6_3265 Depth=4
	s_delay_alu instid0(SALU_CYCLE_1) | instskip(SKIP_3) | instid1(VALU_DEP_1)
	s_or_b32 exec_lo, exec_lo, s35
	v_lshrrev_b16 v8, 8, v9
	s_mov_b32 s13, 0
	s_mov_b32 s36, exec_lo
                                        ; implicit-def: $sgpr35
	v_cmpx_lt_i16_e32 0x7f, v8
	s_xor_b32 s36, exec_lo, s36
	s_cbranch_execnz .LBB6_5276
; %bb.3911:                             ;   in Loop: Header=BB6_3265 Depth=4
	s_or_saveexec_b32 s36, s36
	v_mov_b32_e32 v12, s35
	s_xor_b32 exec_lo, exec_lo, s36
	s_cbranch_execnz .LBB6_5279
.LBB6_3912:                             ;   in Loop: Header=BB6_3265 Depth=4
	s_or_b32 exec_lo, exec_lo, s36
	s_and_saveexec_b32 s35, s13
	s_cbranch_execz .LBB6_3914
.LBB6_3913:                             ;   in Loop: Header=BB6_3265 Depth=4
	v_and_b32_e32 v12, 0xffff, v8
	v_lshlrev_b32_e32 v8, 24, v8
	s_delay_alu instid0(VALU_DEP_2) | instskip(NEXT) | instid1(VALU_DEP_2)
	v_and_b32_e32 v13, 3, v12
	v_and_b32_e32 v8, 0x80000000, v8
	s_delay_alu instid0(VALU_DEP_2) | instskip(NEXT) | instid1(VALU_DEP_1)
	v_clz_i32_u32_e32 v14, v13
	v_min_u32_e32 v14, 32, v14
	s_delay_alu instid0(VALU_DEP_1) | instskip(SKIP_1) | instid1(VALU_DEP_2)
	v_subrev_nc_u32_e32 v15, 29, v14
	v_sub_nc_u32_e32 v14, 30, v14
	v_lshlrev_b32_e32 v15, v15, v12
	v_bfe_u32 v12, v12, 2, 5
	s_delay_alu instid0(VALU_DEP_2) | instskip(NEXT) | instid1(VALU_DEP_2)
	v_and_b32_e32 v15, 3, v15
	v_cmp_eq_u32_e32 vcc_lo, 0, v12
	s_delay_alu instid0(VALU_DEP_2) | instskip(NEXT) | instid1(VALU_DEP_1)
	v_dual_cndmask_b32 v12, v12, v14 :: v_dual_cndmask_b32 v13, v13, v15
	v_lshl_add_u32 v12, v12, 23, 0x37800000
	s_delay_alu instid0(VALU_DEP_2) | instskip(NEXT) | instid1(VALU_DEP_1)
	v_lshlrev_b32_e32 v13, 21, v13
	v_or3_b32 v12, v8, v12, v13
.LBB6_3914:                             ;   in Loop: Header=BB6_3265 Depth=4
	s_or_b32 exec_lo, exec_lo, s35
	s_delay_alu instid0(VALU_DEP_1) | instskip(SKIP_1) | instid1(VALU_DEP_1)
	v_dual_mul_f32 v8, s34, v12 :: v_dual_mov_b32 v41, 0x8000
	s_mov_b32 s35, exec_lo
	v_and_b32_e32 v12, 0x7f800000, v8
	s_delay_alu instid0(VALU_DEP_1)
	v_cmpx_ne_u32_e32 0x7f800000, v12
	s_cbranch_execz .LBB6_3922
; %bb.3915:                             ;   in Loop: Header=BB6_3265 Depth=4
	v_mov_b32_e32 v41, 0
	s_mov_b32 s36, exec_lo
	v_cmpx_ne_u32_e32 0, v8
	s_cbranch_execz .LBB6_3921
; %bb.3916:                             ;   in Loop: Header=BB6_3265 Depth=4
	v_bfe_u32 v12, v8, 23, 8
	s_delay_alu instid0(VALU_DEP_1) | instskip(SKIP_1) | instid1(VALU_DEP_2)
	v_sub_nc_u32_e32 v14, 0x70, v12
	v_cmp_gt_u32_e32 vcc_lo, 0x71, v12
	v_dual_cndmask_b32 v14, 0, v14 :: v_dual_and_b32 v13, 0x7fffff, v8
	s_delay_alu instid0(VALU_DEP_1) | instskip(SKIP_2) | instid1(VALU_DEP_4)
	v_or_b32_e32 v15, 0x800000, v13
	v_cmp_eq_u32_e32 vcc_lo, 0, v12
	v_add_nc_u32_e32 v12, 0xffffff91, v12
	v_cndmask_b32_e64 v14, v14, 0x6f, vcc_lo
	s_delay_alu instid0(VALU_DEP_4) | instskip(NEXT) | instid1(VALU_DEP_3)
	v_cndmask_b32_e32 v13, v15, v13, vcc_lo
	v_cndmask_b32_e64 v12, v12, 0xffffff92, vcc_lo
	s_delay_alu instid0(VALU_DEP_3) | instskip(NEXT) | instid1(VALU_DEP_3)
	v_lshl_add_u32 v15, 0x200000, v14, -1
	v_lshrrev_b32_e32 v16, v14, v13
	v_lshlrev_b32_e64 v18, v14, 0x100000
	s_delay_alu instid0(VALU_DEP_4) | instskip(NEXT) | instid1(VALU_DEP_4)
	v_add_nc_u32_e32 v14, v14, v12
	v_and_b32_e32 v13, v15, v13
	s_delay_alu instid0(VALU_DEP_4) | instskip(NEXT) | instid1(VALU_DEP_2)
	v_bfe_u32 v17, v16, 21, 1
	v_cmp_eq_u32_e64 s13, v13, v18
	s_delay_alu instid0(VALU_DEP_2) | instskip(NEXT) | instid1(VALU_DEP_1)
	v_add_nc_u32_e32 v15, -1, v17
	v_cndmask_b32_e64 v13, 0, v15, s13
	v_lshrrev_b32_e32 v15, 23, v16
	s_mov_b32 s13, exec_lo
	s_delay_alu instid0(VALU_DEP_2) | instskip(NEXT) | instid1(VALU_DEP_2)
	v_add_nc_u32_e32 v13, v13, v16
	v_xor_b32_e32 v15, 1, v15
	s_delay_alu instid0(VALU_DEP_2) | instskip(NEXT) | instid1(VALU_DEP_1)
	v_and_b32_e32 v12, 0x1fffff, v13
	v_add_nc_u32_e32 v13, v12, v16
                                        ; implicit-def: $vgpr12
	s_delay_alu instid0(VALU_DEP_3)
	v_cmpx_ne_u32_e64 v14, v15
	s_xor_b32 s13, exec_lo, s13
; %bb.3917:                             ;   in Loop: Header=BB6_3265 Depth=4
	s_delay_alu instid0(VALU_DEP_2) | instskip(SKIP_2) | instid1(VALU_DEP_2)
	v_cmp_lt_u32_e32 vcc_lo, 0xffffff, v13
	v_sub_nc_u32_e32 v12, v14, v15
	v_cndmask_b32_e64 v14, 0, 1, vcc_lo
	v_add_co_ci_u32_e32 v12, vcc_lo, 0, v12, vcc_lo
	s_delay_alu instid0(VALU_DEP_2)
	v_lshrrev_b32_e32 v13, v14, v13
; %bb.3918:                             ;   in Loop: Header=BB6_3265 Depth=4
	s_and_not1_saveexec_b32 s13, s13
; %bb.3919:                             ;   in Loop: Header=BB6_3265 Depth=4
	s_delay_alu instid0(VALU_DEP_1)
	v_bfe_u32 v12, v13, 23, 1
; %bb.3920:                             ;   in Loop: Header=BB6_3265 Depth=4
	s_or_b32 exec_lo, exec_lo, s13
	v_lshrrev_b32_e32 v13, 21, v13
	s_delay_alu instid0(VALU_DEP_2) | instskip(SKIP_2) | instid1(VALU_DEP_2)
	v_cmp_gt_i32_e32 vcc_lo, 32, v12
	v_min_i32_e32 v14, 31, v12
	v_lshrrev_b32_e32 v8, 24, v8
	v_dual_cndmask_b32 v13, 3, v13 :: v_dual_lshlrev_b32 v14, 2, v14
	s_delay_alu instid0(VALU_DEP_2) | instskip(NEXT) | instid1(VALU_DEP_2)
	v_and_b32_e32 v8, 0x80, v8
	v_or_b32_e32 v12, v12, v13
	v_and_b32_e32 v15, 3, v13
	s_delay_alu instid0(VALU_DEP_2) | instskip(SKIP_1) | instid1(VALU_DEP_1)
	v_cmp_ne_u32_e32 vcc_lo, 0, v12
	v_and_b32_e32 v14, 0xfc, v14
	v_or3_b32 v8, v8, v14, v15
	s_delay_alu instid0(VALU_DEP_1) | instskip(NEXT) | instid1(VALU_DEP_1)
	v_lshlrev_b32_e32 v8, 8, v8
	v_cndmask_b32_e32 v41, 0, v8, vcc_lo
.LBB6_3921:                             ;   in Loop: Header=BB6_3265 Depth=4
	s_or_b32 exec_lo, exec_lo, s36
.LBB6_3922:                             ;   in Loop: Header=BB6_3265 Depth=4
	s_delay_alu instid0(SALU_CYCLE_1) | instskip(SKIP_3) | instid1(VALU_DEP_1)
	s_or_b32 exec_lo, exec_lo, s35
	v_lshrrev_b32_e32 v8, 16, v9
	s_mov_b32 s13, 0
	s_mov_b32 s36, exec_lo
                                        ; implicit-def: $sgpr35
	v_and_b32_e32 v13, 0xff, v8
	s_delay_alu instid0(VALU_DEP_1)
	v_cmpx_lt_i16_e32 0x7f, v13
	s_xor_b32 s36, exec_lo, s36
	s_cbranch_execnz .LBB6_5280
; %bb.3923:                             ;   in Loop: Header=BB6_3265 Depth=4
	s_or_saveexec_b32 s36, s36
	v_mov_b32_e32 v12, s35
	s_xor_b32 exec_lo, exec_lo, s36
	s_cbranch_execnz .LBB6_5283
.LBB6_3924:                             ;   in Loop: Header=BB6_3265 Depth=4
	s_or_b32 exec_lo, exec_lo, s36
	s_and_saveexec_b32 s35, s13
	s_cbranch_execz .LBB6_3926
.LBB6_3925:                             ;   in Loop: Header=BB6_3265 Depth=4
	v_bfe_u32 v12, v9, 16, 2
	s_delay_alu instid0(VALU_DEP_1) | instskip(NEXT) | instid1(VALU_DEP_1)
	v_clz_i32_u32_e32 v13, v12
	v_min_u32_e32 v13, 32, v13
	s_delay_alu instid0(VALU_DEP_1) | instskip(SKIP_1) | instid1(VALU_DEP_2)
	v_subrev_nc_u32_e32 v14, 29, v13
	v_sub_nc_u32_e32 v13, 30, v13
	v_lshlrev_b32_e32 v8, v14, v8
	v_bfe_u32 v14, v9, 18, 5
	s_delay_alu instid0(VALU_DEP_1) | instskip(NEXT) | instid1(VALU_DEP_3)
	v_cmp_eq_u32_e32 vcc_lo, 0, v14
	v_dual_cndmask_b32 v13, v14, v13 :: v_dual_and_b32 v8, 3, v8
	s_delay_alu instid0(VALU_DEP_1) | instskip(NEXT) | instid1(VALU_DEP_2)
	v_dual_cndmask_b32 v8, v12, v8 :: v_dual_lshlrev_b32 v15, 8, v9
	v_lshl_add_u32 v13, v13, 23, 0x37800000
	s_delay_alu instid0(VALU_DEP_2) | instskip(NEXT) | instid1(VALU_DEP_3)
	v_and_b32_e32 v12, 0x80000000, v15
	v_lshlrev_b32_e32 v8, 21, v8
	s_delay_alu instid0(VALU_DEP_1)
	v_or3_b32 v12, v12, v13, v8
.LBB6_3926:                             ;   in Loop: Header=BB6_3265 Depth=4
	s_or_b32 exec_lo, exec_lo, s35
	s_delay_alu instid0(VALU_DEP_1) | instskip(SKIP_1) | instid1(VALU_DEP_1)
	v_dual_mul_f32 v8, s34, v12 :: v_dual_mov_b32 v51, 0x80
	s_mov_b32 s35, exec_lo
	v_and_b32_e32 v12, 0x7f800000, v8
	s_delay_alu instid0(VALU_DEP_1)
	v_cmpx_ne_u32_e32 0x7f800000, v12
	s_cbranch_execz .LBB6_3934
; %bb.3927:                             ;   in Loop: Header=BB6_3265 Depth=4
	v_mov_b32_e32 v51, 0
	s_mov_b32 s36, exec_lo
	v_cmpx_ne_u32_e32 0, v8
	s_cbranch_execz .LBB6_3933
; %bb.3928:                             ;   in Loop: Header=BB6_3265 Depth=4
	v_bfe_u32 v12, v8, 23, 8
	s_delay_alu instid0(VALU_DEP_1) | instskip(SKIP_1) | instid1(VALU_DEP_2)
	v_sub_nc_u32_e32 v14, 0x70, v12
	v_cmp_gt_u32_e32 vcc_lo, 0x71, v12
	v_dual_cndmask_b32 v14, 0, v14 :: v_dual_and_b32 v13, 0x7fffff, v8
	s_delay_alu instid0(VALU_DEP_1) | instskip(SKIP_2) | instid1(VALU_DEP_4)
	v_or_b32_e32 v15, 0x800000, v13
	v_cmp_eq_u32_e32 vcc_lo, 0, v12
	v_add_nc_u32_e32 v12, 0xffffff91, v12
	v_cndmask_b32_e64 v14, v14, 0x6f, vcc_lo
	s_delay_alu instid0(VALU_DEP_4) | instskip(NEXT) | instid1(VALU_DEP_3)
	v_cndmask_b32_e32 v13, v15, v13, vcc_lo
	v_cndmask_b32_e64 v12, v12, 0xffffff92, vcc_lo
	s_delay_alu instid0(VALU_DEP_3) | instskip(NEXT) | instid1(VALU_DEP_3)
	v_lshl_add_u32 v15, 0x200000, v14, -1
	v_lshrrev_b32_e32 v16, v14, v13
	v_lshlrev_b32_e64 v18, v14, 0x100000
	s_delay_alu instid0(VALU_DEP_4) | instskip(NEXT) | instid1(VALU_DEP_4)
	v_add_nc_u32_e32 v14, v14, v12
	v_and_b32_e32 v13, v15, v13
	s_delay_alu instid0(VALU_DEP_4) | instskip(NEXT) | instid1(VALU_DEP_2)
	v_bfe_u32 v17, v16, 21, 1
	v_cmp_eq_u32_e64 s13, v13, v18
	s_delay_alu instid0(VALU_DEP_2) | instskip(NEXT) | instid1(VALU_DEP_1)
	v_add_nc_u32_e32 v15, -1, v17
	v_cndmask_b32_e64 v13, 0, v15, s13
	v_lshrrev_b32_e32 v15, 23, v16
	s_mov_b32 s13, exec_lo
	s_delay_alu instid0(VALU_DEP_2) | instskip(NEXT) | instid1(VALU_DEP_2)
	v_add_nc_u32_e32 v13, v13, v16
	v_xor_b32_e32 v15, 1, v15
	s_delay_alu instid0(VALU_DEP_2) | instskip(NEXT) | instid1(VALU_DEP_1)
	v_and_b32_e32 v12, 0x1fffff, v13
	v_add_nc_u32_e32 v13, v12, v16
                                        ; implicit-def: $vgpr12
	s_delay_alu instid0(VALU_DEP_3)
	v_cmpx_ne_u32_e64 v14, v15
	s_xor_b32 s13, exec_lo, s13
; %bb.3929:                             ;   in Loop: Header=BB6_3265 Depth=4
	s_delay_alu instid0(VALU_DEP_2) | instskip(SKIP_2) | instid1(VALU_DEP_2)
	v_cmp_lt_u32_e32 vcc_lo, 0xffffff, v13
	v_sub_nc_u32_e32 v12, v14, v15
	v_cndmask_b32_e64 v14, 0, 1, vcc_lo
	v_add_co_ci_u32_e32 v12, vcc_lo, 0, v12, vcc_lo
	s_delay_alu instid0(VALU_DEP_2)
	v_lshrrev_b32_e32 v13, v14, v13
; %bb.3930:                             ;   in Loop: Header=BB6_3265 Depth=4
	s_and_not1_saveexec_b32 s13, s13
; %bb.3931:                             ;   in Loop: Header=BB6_3265 Depth=4
	s_delay_alu instid0(VALU_DEP_1)
	v_bfe_u32 v12, v13, 23, 1
; %bb.3932:                             ;   in Loop: Header=BB6_3265 Depth=4
	s_or_b32 exec_lo, exec_lo, s13
	v_lshrrev_b32_e32 v13, 21, v13
	s_delay_alu instid0(VALU_DEP_2) | instskip(SKIP_2) | instid1(VALU_DEP_2)
	v_cmp_gt_i32_e32 vcc_lo, 32, v12
	v_min_i32_e32 v14, 31, v12
	v_lshrrev_b32_e32 v8, 24, v8
	v_dual_cndmask_b32 v13, 3, v13 :: v_dual_lshlrev_b32 v14, 2, v14
	s_delay_alu instid0(VALU_DEP_2) | instskip(NEXT) | instid1(VALU_DEP_2)
	v_and_b32_e32 v8, 0x80, v8
	v_or_b32_e32 v12, v12, v13
	v_and_b32_e32 v15, 3, v13
	s_delay_alu instid0(VALU_DEP_2) | instskip(SKIP_1) | instid1(VALU_DEP_1)
	v_cmp_ne_u32_e32 vcc_lo, 0, v12
	v_and_b32_e32 v14, 0xfc, v14
	v_or3_b32 v8, v14, v8, v15
	s_delay_alu instid0(VALU_DEP_1)
	v_cndmask_b32_e32 v51, 0, v8, vcc_lo
.LBB6_3933:                             ;   in Loop: Header=BB6_3265 Depth=4
	s_or_b32 exec_lo, exec_lo, s36
.LBB6_3934:                             ;   in Loop: Header=BB6_3265 Depth=4
	s_delay_alu instid0(SALU_CYCLE_1) | instskip(SKIP_3) | instid1(VALU_DEP_1)
	s_or_b32 exec_lo, exec_lo, s35
	v_lshrrev_b32_e32 v8, 24, v9
	s_mov_b32 s13, 0
	s_mov_b32 s36, exec_lo
                                        ; implicit-def: $sgpr35
	v_cmpx_lt_i16_e32 0x7f, v8
	s_xor_b32 s36, exec_lo, s36
	s_cbranch_execnz .LBB6_5284
; %bb.3935:                             ;   in Loop: Header=BB6_3265 Depth=4
	s_or_saveexec_b32 s36, s36
	v_mov_b32_e32 v12, s35
	s_xor_b32 exec_lo, exec_lo, s36
	s_cbranch_execnz .LBB6_5287
.LBB6_3936:                             ;   in Loop: Header=BB6_3265 Depth=4
	s_or_b32 exec_lo, exec_lo, s36
	s_and_saveexec_b32 s35, s13
	s_cbranch_execz .LBB6_3938
.LBB6_3937:                             ;   in Loop: Header=BB6_3265 Depth=4
	v_bfe_u32 v12, v9, 24, 2
	s_delay_alu instid0(VALU_DEP_1) | instskip(NEXT) | instid1(VALU_DEP_1)
	v_clz_i32_u32_e32 v13, v12
	v_min_u32_e32 v13, 32, v13
	s_delay_alu instid0(VALU_DEP_1) | instskip(SKIP_1) | instid1(VALU_DEP_2)
	v_subrev_nc_u32_e32 v14, 29, v13
	v_sub_nc_u32_e32 v13, 30, v13
	v_lshlrev_b32_e32 v8, v14, v8
	v_bfe_u32 v14, v9, 26, 5
	v_and_b32_e32 v9, 0x80000000, v9
	s_delay_alu instid0(VALU_DEP_2) | instskip(NEXT) | instid1(VALU_DEP_4)
	v_cmp_eq_u32_e32 vcc_lo, 0, v14
	v_dual_cndmask_b32 v13, v14, v13 :: v_dual_and_b32 v8, 3, v8
	s_delay_alu instid0(VALU_DEP_1) | instskip(NEXT) | instid1(VALU_DEP_2)
	v_cndmask_b32_e32 v8, v12, v8, vcc_lo
	v_lshl_add_u32 v12, v13, 23, 0x37800000
	s_delay_alu instid0(VALU_DEP_2) | instskip(NEXT) | instid1(VALU_DEP_1)
	v_lshlrev_b32_e32 v8, 21, v8
	v_or3_b32 v12, v9, v12, v8
.LBB6_3938:                             ;   in Loop: Header=BB6_3265 Depth=4
	s_or_b32 exec_lo, exec_lo, s35
	s_delay_alu instid0(VALU_DEP_1) | instskip(SKIP_1) | instid1(VALU_DEP_1)
	v_dual_mul_f32 v8, s34, v12 :: v_dual_mov_b32 v181, 0x8000
	s_mov_b32 s35, exec_lo
	v_and_b32_e32 v9, 0x7f800000, v8
	s_delay_alu instid0(VALU_DEP_1)
	v_cmpx_ne_u32_e32 0x7f800000, v9
	s_cbranch_execz .LBB6_3946
; %bb.3939:                             ;   in Loop: Header=BB6_3265 Depth=4
	v_mov_b32_e32 v181, 0
	s_mov_b32 s36, exec_lo
	v_cmpx_ne_u32_e32 0, v8
	s_cbranch_execz .LBB6_3945
; %bb.3940:                             ;   in Loop: Header=BB6_3265 Depth=4
	v_bfe_u32 v9, v8, 23, 8
	s_delay_alu instid0(VALU_DEP_1) | instskip(SKIP_1) | instid1(VALU_DEP_2)
	v_sub_nc_u32_e32 v13, 0x70, v9
	v_cmp_gt_u32_e32 vcc_lo, 0x71, v9
	v_dual_cndmask_b32 v13, 0, v13 :: v_dual_and_b32 v12, 0x7fffff, v8
	s_delay_alu instid0(VALU_DEP_1) | instskip(SKIP_2) | instid1(VALU_DEP_4)
	v_or_b32_e32 v14, 0x800000, v12
	v_cmp_eq_u32_e32 vcc_lo, 0, v9
	v_add_nc_u32_e32 v9, 0xffffff91, v9
	v_cndmask_b32_e64 v13, v13, 0x6f, vcc_lo
	s_delay_alu instid0(VALU_DEP_4) | instskip(NEXT) | instid1(VALU_DEP_3)
	v_cndmask_b32_e32 v12, v14, v12, vcc_lo
	v_cndmask_b32_e64 v9, v9, 0xffffff92, vcc_lo
	s_delay_alu instid0(VALU_DEP_3) | instskip(NEXT) | instid1(VALU_DEP_3)
	v_lshl_add_u32 v14, 0x200000, v13, -1
	v_lshrrev_b32_e32 v15, v13, v12
	v_lshlrev_b32_e64 v17, v13, 0x100000
	s_delay_alu instid0(VALU_DEP_4) | instskip(NEXT) | instid1(VALU_DEP_4)
	v_add_nc_u32_e32 v13, v13, v9
	v_and_b32_e32 v12, v14, v12
	s_delay_alu instid0(VALU_DEP_4) | instskip(NEXT) | instid1(VALU_DEP_2)
	v_bfe_u32 v16, v15, 21, 1
	v_cmp_eq_u32_e64 s13, v12, v17
	s_delay_alu instid0(VALU_DEP_2) | instskip(NEXT) | instid1(VALU_DEP_1)
	v_add_nc_u32_e32 v14, -1, v16
	v_cndmask_b32_e64 v12, 0, v14, s13
	v_lshrrev_b32_e32 v14, 23, v15
	s_mov_b32 s13, exec_lo
	s_delay_alu instid0(VALU_DEP_2) | instskip(NEXT) | instid1(VALU_DEP_2)
	v_add_nc_u32_e32 v12, v12, v15
	v_xor_b32_e32 v14, 1, v14
	s_delay_alu instid0(VALU_DEP_2) | instskip(NEXT) | instid1(VALU_DEP_1)
	v_and_b32_e32 v9, 0x1fffff, v12
	v_add_nc_u32_e32 v12, v9, v15
                                        ; implicit-def: $vgpr9
	s_delay_alu instid0(VALU_DEP_3)
	v_cmpx_ne_u32_e64 v13, v14
	s_xor_b32 s13, exec_lo, s13
; %bb.3941:                             ;   in Loop: Header=BB6_3265 Depth=4
	s_delay_alu instid0(VALU_DEP_2) | instskip(SKIP_2) | instid1(VALU_DEP_2)
	v_cmp_lt_u32_e32 vcc_lo, 0xffffff, v12
	v_sub_nc_u32_e32 v9, v13, v14
	v_cndmask_b32_e64 v13, 0, 1, vcc_lo
	v_add_co_ci_u32_e32 v9, vcc_lo, 0, v9, vcc_lo
	s_delay_alu instid0(VALU_DEP_2)
	v_lshrrev_b32_e32 v12, v13, v12
; %bb.3942:                             ;   in Loop: Header=BB6_3265 Depth=4
	s_and_not1_saveexec_b32 s13, s13
; %bb.3943:                             ;   in Loop: Header=BB6_3265 Depth=4
	s_delay_alu instid0(VALU_DEP_1)
	v_bfe_u32 v9, v12, 23, 1
; %bb.3944:                             ;   in Loop: Header=BB6_3265 Depth=4
	s_or_b32 exec_lo, exec_lo, s13
	v_lshrrev_b32_e32 v12, 21, v12
	s_delay_alu instid0(VALU_DEP_2) | instskip(SKIP_2) | instid1(VALU_DEP_3)
	v_min_i32_e32 v13, 31, v9
	v_cmp_gt_i32_e32 vcc_lo, 32, v9
	v_lshrrev_b32_e32 v8, 24, v8
	v_dual_cndmask_b32 v12, 3, v12 :: v_dual_lshlrev_b32 v13, 2, v13
	s_delay_alu instid0(VALU_DEP_2) | instskip(NEXT) | instid1(VALU_DEP_2)
	v_and_b32_e32 v8, 0x80, v8
	v_and_b32_e32 v13, 0xfc, v13
	s_delay_alu instid0(VALU_DEP_3) | instskip(SKIP_1) | instid1(VALU_DEP_2)
	v_and_b32_e32 v14, 3, v12
	v_or_b32_e32 v9, v9, v12
	v_or3_b32 v8, v8, v13, v14
	s_delay_alu instid0(VALU_DEP_2) | instskip(NEXT) | instid1(VALU_DEP_2)
	v_cmp_ne_u32_e32 vcc_lo, 0, v9
	v_lshlrev_b32_e32 v8, 8, v8
	s_delay_alu instid0(VALU_DEP_1)
	v_cndmask_b32_e32 v181, 0, v8, vcc_lo
.LBB6_3945:                             ;   in Loop: Header=BB6_3265 Depth=4
	s_or_b32 exec_lo, exec_lo, s36
.LBB6_3946:                             ;   in Loop: Header=BB6_3265 Depth=4
	s_delay_alu instid0(SALU_CYCLE_1) | instskip(SKIP_3) | instid1(VALU_DEP_1)
	s_or_b32 exec_lo, exec_lo, s35
	v_and_b32_e32 v9, 0xff, v10
	s_mov_b32 s13, 0
	s_mov_b32 s36, exec_lo
                                        ; implicit-def: $sgpr35
	v_cmpx_lt_i16_e32 0x7f, v9
	s_xor_b32 s36, exec_lo, s36
	s_cbranch_execnz .LBB6_5288
; %bb.3947:                             ;   in Loop: Header=BB6_3265 Depth=4
	s_or_saveexec_b32 s36, s36
	v_mov_b32_e32 v8, s35
	s_xor_b32 exec_lo, exec_lo, s36
	s_cbranch_execnz .LBB6_5291
.LBB6_3948:                             ;   in Loop: Header=BB6_3265 Depth=4
	s_or_b32 exec_lo, exec_lo, s36
	s_and_saveexec_b32 s35, s13
	s_cbranch_execz .LBB6_3950
.LBB6_3949:                             ;   in Loop: Header=BB6_3265 Depth=4
	v_bfe_u32 v13, v10, 2, 5
	v_lshlrev_b32_e32 v14, 24, v10
	s_delay_alu instid0(VALU_DEP_2) | instskip(SKIP_1) | instid1(VALU_DEP_1)
	v_cmp_eq_u32_e32 vcc_lo, 0, v13
	v_and_b32_e32 v8, 3, v10
	v_clz_i32_u32_e32 v9, v8
	s_delay_alu instid0(VALU_DEP_1) | instskip(NEXT) | instid1(VALU_DEP_1)
	v_min_u32_e32 v9, 32, v9
	v_subrev_nc_u32_e32 v12, 29, v9
	v_sub_nc_u32_e32 v9, 30, v9
	s_delay_alu instid0(VALU_DEP_1) | instskip(NEXT) | instid1(VALU_DEP_1)
	v_dual_cndmask_b32 v9, v13, v9 :: v_dual_lshlrev_b32 v12, v12, v10
	v_and_b32_e32 v12, 3, v12
	s_delay_alu instid0(VALU_DEP_2) | instskip(NEXT) | instid1(VALU_DEP_2)
	v_lshl_add_u32 v9, v9, 23, 0x37800000
	v_cndmask_b32_e32 v8, v8, v12, vcc_lo
	v_and_b32_e32 v12, 0x80000000, v14
	s_delay_alu instid0(VALU_DEP_2) | instskip(NEXT) | instid1(VALU_DEP_1)
	v_lshlrev_b32_e32 v8, 21, v8
	v_or3_b32 v8, v12, v9, v8
.LBB6_3950:                             ;   in Loop: Header=BB6_3265 Depth=4
	s_or_b32 exec_lo, exec_lo, s35
	s_delay_alu instid0(VALU_DEP_1) | instskip(SKIP_1) | instid1(VALU_DEP_1)
	v_dual_mul_f32 v8, s34, v8 :: v_dual_mov_b32 v177, 0x80
	s_mov_b32 s35, exec_lo
	v_and_b32_e32 v9, 0x7f800000, v8
	s_delay_alu instid0(VALU_DEP_1)
	v_cmpx_ne_u32_e32 0x7f800000, v9
	s_cbranch_execz .LBB6_3958
; %bb.3951:                             ;   in Loop: Header=BB6_3265 Depth=4
	v_mov_b32_e32 v177, 0
	s_mov_b32 s36, exec_lo
	v_cmpx_ne_u32_e32 0, v8
	s_cbranch_execz .LBB6_3957
; %bb.3952:                             ;   in Loop: Header=BB6_3265 Depth=4
	v_bfe_u32 v9, v8, 23, 8
	s_delay_alu instid0(VALU_DEP_1) | instskip(SKIP_1) | instid1(VALU_DEP_2)
	v_sub_nc_u32_e32 v13, 0x70, v9
	v_cmp_gt_u32_e32 vcc_lo, 0x71, v9
	v_dual_cndmask_b32 v13, 0, v13 :: v_dual_and_b32 v12, 0x7fffff, v8
	s_delay_alu instid0(VALU_DEP_1) | instskip(SKIP_2) | instid1(VALU_DEP_4)
	v_or_b32_e32 v14, 0x800000, v12
	v_cmp_eq_u32_e32 vcc_lo, 0, v9
	v_add_nc_u32_e32 v9, 0xffffff91, v9
	v_cndmask_b32_e64 v13, v13, 0x6f, vcc_lo
	s_delay_alu instid0(VALU_DEP_4) | instskip(NEXT) | instid1(VALU_DEP_3)
	v_cndmask_b32_e32 v12, v14, v12, vcc_lo
	v_cndmask_b32_e64 v9, v9, 0xffffff92, vcc_lo
	s_delay_alu instid0(VALU_DEP_3) | instskip(NEXT) | instid1(VALU_DEP_3)
	v_lshl_add_u32 v14, 0x200000, v13, -1
	v_lshrrev_b32_e32 v15, v13, v12
	v_lshlrev_b32_e64 v17, v13, 0x100000
	s_delay_alu instid0(VALU_DEP_4) | instskip(NEXT) | instid1(VALU_DEP_4)
	v_add_nc_u32_e32 v13, v13, v9
	v_and_b32_e32 v12, v14, v12
	s_delay_alu instid0(VALU_DEP_4) | instskip(NEXT) | instid1(VALU_DEP_2)
	v_bfe_u32 v16, v15, 21, 1
	v_cmp_eq_u32_e64 s13, v12, v17
	s_delay_alu instid0(VALU_DEP_2) | instskip(NEXT) | instid1(VALU_DEP_1)
	v_add_nc_u32_e32 v14, -1, v16
	v_cndmask_b32_e64 v12, 0, v14, s13
	v_lshrrev_b32_e32 v14, 23, v15
	s_mov_b32 s13, exec_lo
	s_delay_alu instid0(VALU_DEP_2) | instskip(NEXT) | instid1(VALU_DEP_2)
	v_add_nc_u32_e32 v12, v12, v15
	v_xor_b32_e32 v14, 1, v14
	s_delay_alu instid0(VALU_DEP_2) | instskip(NEXT) | instid1(VALU_DEP_1)
	v_and_b32_e32 v9, 0x1fffff, v12
	v_add_nc_u32_e32 v12, v9, v15
                                        ; implicit-def: $vgpr9
	s_delay_alu instid0(VALU_DEP_3)
	v_cmpx_ne_u32_e64 v13, v14
	s_xor_b32 s13, exec_lo, s13
; %bb.3953:                             ;   in Loop: Header=BB6_3265 Depth=4
	s_delay_alu instid0(VALU_DEP_2) | instskip(SKIP_2) | instid1(VALU_DEP_2)
	v_cmp_lt_u32_e32 vcc_lo, 0xffffff, v12
	v_sub_nc_u32_e32 v9, v13, v14
	v_cndmask_b32_e64 v13, 0, 1, vcc_lo
	v_add_co_ci_u32_e32 v9, vcc_lo, 0, v9, vcc_lo
	s_delay_alu instid0(VALU_DEP_2)
	v_lshrrev_b32_e32 v12, v13, v12
; %bb.3954:                             ;   in Loop: Header=BB6_3265 Depth=4
	s_and_not1_saveexec_b32 s13, s13
; %bb.3955:                             ;   in Loop: Header=BB6_3265 Depth=4
	s_delay_alu instid0(VALU_DEP_1)
	v_bfe_u32 v9, v12, 23, 1
; %bb.3956:                             ;   in Loop: Header=BB6_3265 Depth=4
	s_or_b32 exec_lo, exec_lo, s13
	v_lshrrev_b32_e32 v12, 21, v12
	s_delay_alu instid0(VALU_DEP_2) | instskip(SKIP_2) | instid1(VALU_DEP_4)
	v_cmp_gt_i32_e32 vcc_lo, 32, v9
	v_lshrrev_b32_e32 v8, 24, v8
	v_min_i32_e32 v13, 31, v9
	v_cndmask_b32_e32 v12, 3, v12, vcc_lo
	s_delay_alu instid0(VALU_DEP_3) | instskip(NEXT) | instid1(VALU_DEP_3)
	v_and_b32_e32 v8, 0x80, v8
	v_lshlrev_b32_e32 v13, 2, v13
	s_delay_alu instid0(VALU_DEP_3) | instskip(SKIP_1) | instid1(VALU_DEP_2)
	v_and_b32_e32 v14, 3, v12
	v_or_b32_e32 v9, v9, v12
	v_or3_b32 v8, v13, v8, v14
	s_delay_alu instid0(VALU_DEP_2) | instskip(NEXT) | instid1(VALU_DEP_2)
	v_cmp_ne_u32_e32 vcc_lo, 0, v9
	v_cndmask_b32_e32 v177, 0, v8, vcc_lo
.LBB6_3957:                             ;   in Loop: Header=BB6_3265 Depth=4
	s_or_b32 exec_lo, exec_lo, s36
.LBB6_3958:                             ;   in Loop: Header=BB6_3265 Depth=4
	s_delay_alu instid0(SALU_CYCLE_1) | instskip(SKIP_3) | instid1(VALU_DEP_1)
	s_or_b32 exec_lo, exec_lo, s35
	v_lshrrev_b16 v8, 8, v10
	s_mov_b32 s13, 0
	s_mov_b32 s36, exec_lo
                                        ; implicit-def: $sgpr35
	v_cmpx_lt_i16_e32 0x7f, v8
	s_xor_b32 s36, exec_lo, s36
	s_cbranch_execnz .LBB6_5292
; %bb.3959:                             ;   in Loop: Header=BB6_3265 Depth=4
	s_or_saveexec_b32 s36, s36
	v_mov_b32_e32 v9, s35
	s_xor_b32 exec_lo, exec_lo, s36
	s_cbranch_execnz .LBB6_5295
.LBB6_3960:                             ;   in Loop: Header=BB6_3265 Depth=4
	s_or_b32 exec_lo, exec_lo, s36
	s_and_saveexec_b32 s35, s13
	s_cbranch_execz .LBB6_3962
.LBB6_3961:                             ;   in Loop: Header=BB6_3265 Depth=4
	v_and_b32_e32 v9, 0xffff, v8
	v_lshlrev_b32_e32 v8, 24, v8
	s_delay_alu instid0(VALU_DEP_2) | instskip(NEXT) | instid1(VALU_DEP_2)
	v_and_b32_e32 v12, 3, v9
	v_and_b32_e32 v8, 0x80000000, v8
	s_delay_alu instid0(VALU_DEP_2) | instskip(NEXT) | instid1(VALU_DEP_1)
	v_clz_i32_u32_e32 v13, v12
	v_min_u32_e32 v13, 32, v13
	s_delay_alu instid0(VALU_DEP_1) | instskip(SKIP_1) | instid1(VALU_DEP_2)
	v_subrev_nc_u32_e32 v14, 29, v13
	v_sub_nc_u32_e32 v13, 30, v13
	v_lshlrev_b32_e32 v14, v14, v9
	v_bfe_u32 v9, v9, 2, 5
	s_delay_alu instid0(VALU_DEP_1) | instskip(NEXT) | instid1(VALU_DEP_3)
	v_cmp_eq_u32_e32 vcc_lo, 0, v9
	v_dual_cndmask_b32 v9, v9, v13 :: v_dual_and_b32 v14, 3, v14
	s_delay_alu instid0(VALU_DEP_1) | instskip(NEXT) | instid1(VALU_DEP_2)
	v_cndmask_b32_e32 v12, v12, v14, vcc_lo
	v_lshl_add_u32 v9, v9, 23, 0x37800000
	s_delay_alu instid0(VALU_DEP_2) | instskip(NEXT) | instid1(VALU_DEP_1)
	v_lshlrev_b32_e32 v12, 21, v12
	v_or3_b32 v9, v8, v9, v12
.LBB6_3962:                             ;   in Loop: Header=BB6_3265 Depth=4
	s_or_b32 exec_lo, exec_lo, s35
	s_delay_alu instid0(VALU_DEP_1) | instskip(SKIP_2) | instid1(VALU_DEP_2)
	v_mul_f32_e32 v8, s34, v9
	v_mov_b32_e32 v166, 0x80
	s_mov_b32 s35, exec_lo
	v_and_b32_e32 v9, 0x7f800000, v8
	s_delay_alu instid0(VALU_DEP_1)
	v_cmpx_ne_u32_e32 0x7f800000, v9
	s_cbranch_execz .LBB6_3970
; %bb.3963:                             ;   in Loop: Header=BB6_3265 Depth=4
	v_mov_b32_e32 v166, 0
	s_mov_b32 s36, exec_lo
	v_cmpx_ne_u32_e32 0, v8
	s_cbranch_execz .LBB6_3969
; %bb.3964:                             ;   in Loop: Header=BB6_3265 Depth=4
	v_bfe_u32 v9, v8, 23, 8
	s_delay_alu instid0(VALU_DEP_1) | instskip(SKIP_1) | instid1(VALU_DEP_2)
	v_sub_nc_u32_e32 v13, 0x70, v9
	v_cmp_gt_u32_e32 vcc_lo, 0x71, v9
	v_dual_cndmask_b32 v13, 0, v13 :: v_dual_and_b32 v12, 0x7fffff, v8
	s_delay_alu instid0(VALU_DEP_1) | instskip(SKIP_2) | instid1(VALU_DEP_4)
	v_or_b32_e32 v14, 0x800000, v12
	v_cmp_eq_u32_e32 vcc_lo, 0, v9
	v_add_nc_u32_e32 v9, 0xffffff91, v9
	v_cndmask_b32_e64 v13, v13, 0x6f, vcc_lo
	s_delay_alu instid0(VALU_DEP_4) | instskip(NEXT) | instid1(VALU_DEP_3)
	v_cndmask_b32_e32 v12, v14, v12, vcc_lo
	v_cndmask_b32_e64 v9, v9, 0xffffff92, vcc_lo
	s_delay_alu instid0(VALU_DEP_3) | instskip(NEXT) | instid1(VALU_DEP_3)
	v_lshl_add_u32 v14, 0x200000, v13, -1
	v_lshrrev_b32_e32 v15, v13, v12
	v_lshlrev_b32_e64 v17, v13, 0x100000
	s_delay_alu instid0(VALU_DEP_4) | instskip(NEXT) | instid1(VALU_DEP_4)
	v_add_nc_u32_e32 v13, v13, v9
	v_and_b32_e32 v12, v14, v12
	s_delay_alu instid0(VALU_DEP_4) | instskip(NEXT) | instid1(VALU_DEP_2)
	v_bfe_u32 v16, v15, 21, 1
	v_cmp_eq_u32_e64 s13, v12, v17
	s_delay_alu instid0(VALU_DEP_2) | instskip(NEXT) | instid1(VALU_DEP_1)
	v_add_nc_u32_e32 v14, -1, v16
	v_cndmask_b32_e64 v12, 0, v14, s13
	v_lshrrev_b32_e32 v14, 23, v15
	s_mov_b32 s13, exec_lo
	s_delay_alu instid0(VALU_DEP_2) | instskip(NEXT) | instid1(VALU_DEP_2)
	v_add_nc_u32_e32 v12, v12, v15
	v_xor_b32_e32 v14, 1, v14
	s_delay_alu instid0(VALU_DEP_2) | instskip(NEXT) | instid1(VALU_DEP_1)
	v_and_b32_e32 v9, 0x1fffff, v12
	v_add_nc_u32_e32 v12, v9, v15
                                        ; implicit-def: $vgpr9
	s_delay_alu instid0(VALU_DEP_3)
	v_cmpx_ne_u32_e64 v13, v14
	s_xor_b32 s13, exec_lo, s13
; %bb.3965:                             ;   in Loop: Header=BB6_3265 Depth=4
	s_delay_alu instid0(VALU_DEP_2) | instskip(SKIP_2) | instid1(VALU_DEP_2)
	v_cmp_lt_u32_e32 vcc_lo, 0xffffff, v12
	v_sub_nc_u32_e32 v9, v13, v14
	v_cndmask_b32_e64 v13, 0, 1, vcc_lo
	v_add_co_ci_u32_e32 v9, vcc_lo, 0, v9, vcc_lo
	s_delay_alu instid0(VALU_DEP_2)
	v_lshrrev_b32_e32 v12, v13, v12
; %bb.3966:                             ;   in Loop: Header=BB6_3265 Depth=4
	s_and_not1_saveexec_b32 s13, s13
; %bb.3967:                             ;   in Loop: Header=BB6_3265 Depth=4
	s_delay_alu instid0(VALU_DEP_1)
	v_bfe_u32 v9, v12, 23, 1
; %bb.3968:                             ;   in Loop: Header=BB6_3265 Depth=4
	s_or_b32 exec_lo, exec_lo, s13
	v_lshrrev_b32_e32 v12, 21, v12
	s_delay_alu instid0(VALU_DEP_2) | instskip(SKIP_2) | instid1(VALU_DEP_4)
	v_cmp_gt_i32_e32 vcc_lo, 32, v9
	v_lshrrev_b32_e32 v8, 24, v8
	v_min_i32_e32 v13, 31, v9
	v_cndmask_b32_e32 v12, 3, v12, vcc_lo
	s_delay_alu instid0(VALU_DEP_3) | instskip(NEXT) | instid1(VALU_DEP_3)
	v_and_b32_e32 v8, 0x80, v8
	v_lshlrev_b32_e32 v13, 2, v13
	s_delay_alu instid0(VALU_DEP_3) | instskip(SKIP_1) | instid1(VALU_DEP_2)
	v_and_b32_e32 v14, 3, v12
	v_or_b32_e32 v9, v9, v12
	v_or3_b32 v8, v13, v8, v14
	s_delay_alu instid0(VALU_DEP_2) | instskip(NEXT) | instid1(VALU_DEP_2)
	v_cmp_ne_u32_e32 vcc_lo, 0, v9
	v_cndmask_b32_e32 v166, 0, v8, vcc_lo
.LBB6_3969:                             ;   in Loop: Header=BB6_3265 Depth=4
	s_or_b32 exec_lo, exec_lo, s36
.LBB6_3970:                             ;   in Loop: Header=BB6_3265 Depth=4
	s_delay_alu instid0(SALU_CYCLE_1) | instskip(SKIP_3) | instid1(VALU_DEP_1)
	s_or_b32 exec_lo, exec_lo, s35
	v_lshrrev_b32_e32 v8, 16, v10
	s_mov_b32 s13, 0
	s_mov_b32 s36, exec_lo
                                        ; implicit-def: $sgpr35
	v_and_b32_e32 v12, 0xff, v8
	s_delay_alu instid0(VALU_DEP_1)
	v_cmpx_lt_i16_e32 0x7f, v12
	s_xor_b32 s36, exec_lo, s36
	s_cbranch_execnz .LBB6_5296
; %bb.3971:                             ;   in Loop: Header=BB6_3265 Depth=4
	s_or_saveexec_b32 s36, s36
	v_mov_b32_e32 v9, s35
	s_xor_b32 exec_lo, exec_lo, s36
	s_cbranch_execnz .LBB6_5299
.LBB6_3972:                             ;   in Loop: Header=BB6_3265 Depth=4
	s_or_b32 exec_lo, exec_lo, s36
	s_and_saveexec_b32 s35, s13
	s_cbranch_execz .LBB6_3974
.LBB6_3973:                             ;   in Loop: Header=BB6_3265 Depth=4
	v_bfe_u32 v9, v10, 16, 2
	v_lshlrev_b32_e32 v14, 8, v10
	s_delay_alu instid0(VALU_DEP_2) | instskip(NEXT) | instid1(VALU_DEP_1)
	v_clz_i32_u32_e32 v12, v9
	v_min_u32_e32 v12, 32, v12
	s_delay_alu instid0(VALU_DEP_1) | instskip(SKIP_1) | instid1(VALU_DEP_2)
	v_subrev_nc_u32_e32 v13, 29, v12
	v_sub_nc_u32_e32 v12, 30, v12
	v_lshlrev_b32_e32 v8, v13, v8
	v_bfe_u32 v13, v10, 18, 5
	s_delay_alu instid0(VALU_DEP_2) | instskip(NEXT) | instid1(VALU_DEP_2)
	v_and_b32_e32 v8, 3, v8
	v_cmp_eq_u32_e32 vcc_lo, 0, v13
	v_cndmask_b32_e32 v12, v13, v12, vcc_lo
	s_delay_alu instid0(VALU_DEP_3) | instskip(NEXT) | instid1(VALU_DEP_2)
	v_dual_cndmask_b32 v8, v9, v8 :: v_dual_and_b32 v9, 0x80000000, v14
	v_lshl_add_u32 v12, v12, 23, 0x37800000
	s_delay_alu instid0(VALU_DEP_2) | instskip(NEXT) | instid1(VALU_DEP_1)
	v_lshlrev_b32_e32 v8, 21, v8
	v_or3_b32 v9, v9, v12, v8
.LBB6_3974:                             ;   in Loop: Header=BB6_3265 Depth=4
	s_or_b32 exec_lo, exec_lo, s35
	s_delay_alu instid0(VALU_DEP_1) | instskip(SKIP_1) | instid1(VALU_DEP_1)
	v_dual_mul_f32 v8, s34, v9 :: v_dual_mov_b32 v165, 0x80
	s_mov_b32 s35, exec_lo
	v_and_b32_e32 v9, 0x7f800000, v8
	s_delay_alu instid0(VALU_DEP_1)
	v_cmpx_ne_u32_e32 0x7f800000, v9
	s_cbranch_execz .LBB6_3982
; %bb.3975:                             ;   in Loop: Header=BB6_3265 Depth=4
	v_mov_b32_e32 v165, 0
	s_mov_b32 s36, exec_lo
	v_cmpx_ne_u32_e32 0, v8
	s_cbranch_execz .LBB6_3981
; %bb.3976:                             ;   in Loop: Header=BB6_3265 Depth=4
	v_bfe_u32 v9, v8, 23, 8
	s_delay_alu instid0(VALU_DEP_1) | instskip(SKIP_1) | instid1(VALU_DEP_2)
	v_sub_nc_u32_e32 v13, 0x70, v9
	v_cmp_gt_u32_e32 vcc_lo, 0x71, v9
	v_dual_cndmask_b32 v13, 0, v13 :: v_dual_and_b32 v12, 0x7fffff, v8
	s_delay_alu instid0(VALU_DEP_1) | instskip(SKIP_2) | instid1(VALU_DEP_4)
	v_or_b32_e32 v14, 0x800000, v12
	v_cmp_eq_u32_e32 vcc_lo, 0, v9
	v_add_nc_u32_e32 v9, 0xffffff91, v9
	v_cndmask_b32_e64 v13, v13, 0x6f, vcc_lo
	s_delay_alu instid0(VALU_DEP_4) | instskip(NEXT) | instid1(VALU_DEP_3)
	v_cndmask_b32_e32 v12, v14, v12, vcc_lo
	v_cndmask_b32_e64 v9, v9, 0xffffff92, vcc_lo
	s_delay_alu instid0(VALU_DEP_3) | instskip(NEXT) | instid1(VALU_DEP_3)
	v_lshl_add_u32 v14, 0x200000, v13, -1
	v_lshrrev_b32_e32 v15, v13, v12
	v_lshlrev_b32_e64 v17, v13, 0x100000
	s_delay_alu instid0(VALU_DEP_4) | instskip(NEXT) | instid1(VALU_DEP_4)
	v_add_nc_u32_e32 v13, v13, v9
	v_and_b32_e32 v12, v14, v12
	s_delay_alu instid0(VALU_DEP_4) | instskip(NEXT) | instid1(VALU_DEP_2)
	v_bfe_u32 v16, v15, 21, 1
	v_cmp_eq_u32_e64 s13, v12, v17
	s_delay_alu instid0(VALU_DEP_2) | instskip(NEXT) | instid1(VALU_DEP_1)
	v_add_nc_u32_e32 v14, -1, v16
	v_cndmask_b32_e64 v12, 0, v14, s13
	v_lshrrev_b32_e32 v14, 23, v15
	s_mov_b32 s13, exec_lo
	s_delay_alu instid0(VALU_DEP_2) | instskip(NEXT) | instid1(VALU_DEP_2)
	v_add_nc_u32_e32 v12, v12, v15
	v_xor_b32_e32 v14, 1, v14
	s_delay_alu instid0(VALU_DEP_2) | instskip(NEXT) | instid1(VALU_DEP_1)
	v_and_b32_e32 v9, 0x1fffff, v12
	v_add_nc_u32_e32 v12, v9, v15
                                        ; implicit-def: $vgpr9
	s_delay_alu instid0(VALU_DEP_3)
	v_cmpx_ne_u32_e64 v13, v14
	s_xor_b32 s13, exec_lo, s13
; %bb.3977:                             ;   in Loop: Header=BB6_3265 Depth=4
	s_delay_alu instid0(VALU_DEP_2) | instskip(SKIP_2) | instid1(VALU_DEP_2)
	v_cmp_lt_u32_e32 vcc_lo, 0xffffff, v12
	v_sub_nc_u32_e32 v9, v13, v14
	v_cndmask_b32_e64 v13, 0, 1, vcc_lo
	v_add_co_ci_u32_e32 v9, vcc_lo, 0, v9, vcc_lo
	s_delay_alu instid0(VALU_DEP_2)
	v_lshrrev_b32_e32 v12, v13, v12
; %bb.3978:                             ;   in Loop: Header=BB6_3265 Depth=4
	s_and_not1_saveexec_b32 s13, s13
; %bb.3979:                             ;   in Loop: Header=BB6_3265 Depth=4
	s_delay_alu instid0(VALU_DEP_1)
	v_bfe_u32 v9, v12, 23, 1
; %bb.3980:                             ;   in Loop: Header=BB6_3265 Depth=4
	s_or_b32 exec_lo, exec_lo, s13
	v_lshrrev_b32_e32 v12, 21, v12
	s_delay_alu instid0(VALU_DEP_2) | instskip(SKIP_2) | instid1(VALU_DEP_4)
	v_cmp_gt_i32_e32 vcc_lo, 32, v9
	v_lshrrev_b32_e32 v8, 24, v8
	v_min_i32_e32 v13, 31, v9
	v_cndmask_b32_e32 v12, 3, v12, vcc_lo
	s_delay_alu instid0(VALU_DEP_3) | instskip(NEXT) | instid1(VALU_DEP_3)
	v_and_b32_e32 v8, 0x80, v8
	v_lshlrev_b32_e32 v13, 2, v13
	s_delay_alu instid0(VALU_DEP_3) | instskip(SKIP_1) | instid1(VALU_DEP_2)
	v_and_b32_e32 v14, 3, v12
	v_or_b32_e32 v9, v9, v12
	v_or3_b32 v8, v13, v8, v14
	s_delay_alu instid0(VALU_DEP_2) | instskip(NEXT) | instid1(VALU_DEP_2)
	v_cmp_ne_u32_e32 vcc_lo, 0, v9
	v_cndmask_b32_e32 v165, 0, v8, vcc_lo
.LBB6_3981:                             ;   in Loop: Header=BB6_3265 Depth=4
	s_or_b32 exec_lo, exec_lo, s36
.LBB6_3982:                             ;   in Loop: Header=BB6_3265 Depth=4
	s_delay_alu instid0(SALU_CYCLE_1) | instskip(SKIP_3) | instid1(VALU_DEP_1)
	s_or_b32 exec_lo, exec_lo, s35
	v_lshrrev_b32_e32 v8, 24, v10
	s_mov_b32 s13, 0
	s_mov_b32 s36, exec_lo
                                        ; implicit-def: $sgpr35
	v_cmpx_lt_i16_e32 0x7f, v8
	s_xor_b32 s36, exec_lo, s36
	s_cbranch_execnz .LBB6_5300
; %bb.3983:                             ;   in Loop: Header=BB6_3265 Depth=4
	s_or_saveexec_b32 s36, s36
	v_mov_b32_e32 v9, s35
	s_xor_b32 exec_lo, exec_lo, s36
	s_cbranch_execnz .LBB6_5303
.LBB6_3984:                             ;   in Loop: Header=BB6_3265 Depth=4
	s_or_b32 exec_lo, exec_lo, s36
	s_and_saveexec_b32 s35, s13
	s_cbranch_execz .LBB6_3986
.LBB6_3985:                             ;   in Loop: Header=BB6_3265 Depth=4
	v_bfe_u32 v9, v10, 24, 2
	s_delay_alu instid0(VALU_DEP_1) | instskip(NEXT) | instid1(VALU_DEP_1)
	v_clz_i32_u32_e32 v12, v9
	v_min_u32_e32 v12, 32, v12
	s_delay_alu instid0(VALU_DEP_1) | instskip(SKIP_1) | instid1(VALU_DEP_2)
	v_subrev_nc_u32_e32 v13, 29, v12
	v_sub_nc_u32_e32 v12, 30, v12
	v_lshlrev_b32_e32 v8, v13, v8
	v_bfe_u32 v13, v10, 26, 5
	s_delay_alu instid0(VALU_DEP_2) | instskip(NEXT) | instid1(VALU_DEP_2)
	v_and_b32_e32 v8, 3, v8
	v_cmp_eq_u32_e32 vcc_lo, 0, v13
	v_cndmask_b32_e32 v12, v13, v12, vcc_lo
	s_delay_alu instid0(VALU_DEP_3) | instskip(NEXT) | instid1(VALU_DEP_2)
	v_dual_cndmask_b32 v8, v9, v8 :: v_dual_and_b32 v9, 0x80000000, v10
	v_lshl_add_u32 v10, v12, 23, 0x37800000
	s_delay_alu instid0(VALU_DEP_2) | instskip(NEXT) | instid1(VALU_DEP_1)
	v_lshlrev_b32_e32 v8, 21, v8
	v_or3_b32 v9, v9, v10, v8
.LBB6_3986:                             ;   in Loop: Header=BB6_3265 Depth=4
	s_or_b32 exec_lo, exec_lo, s35
	s_delay_alu instid0(VALU_DEP_1) | instskip(SKIP_1) | instid1(VALU_DEP_1)
	v_dual_mul_f32 v8, s34, v9 :: v_dual_mov_b32 v163, 0x80
	s_mov_b32 s35, exec_lo
	v_and_b32_e32 v9, 0x7f800000, v8
	s_delay_alu instid0(VALU_DEP_1)
	v_cmpx_ne_u32_e32 0x7f800000, v9
	s_cbranch_execz .LBB6_3994
; %bb.3987:                             ;   in Loop: Header=BB6_3265 Depth=4
	v_mov_b32_e32 v163, 0
	s_mov_b32 s36, exec_lo
	v_cmpx_ne_u32_e32 0, v8
	s_cbranch_execz .LBB6_3993
; %bb.3988:                             ;   in Loop: Header=BB6_3265 Depth=4
	v_bfe_u32 v9, v8, 23, 8
	v_and_b32_e32 v10, 0x7fffff, v8
	s_delay_alu instid0(VALU_DEP_2) | instskip(SKIP_1) | instid1(VALU_DEP_3)
	v_sub_nc_u32_e32 v12, 0x70, v9
	v_cmp_gt_u32_e32 vcc_lo, 0x71, v9
	v_or_b32_e32 v13, 0x800000, v10
	s_delay_alu instid0(VALU_DEP_3) | instskip(SKIP_2) | instid1(VALU_DEP_3)
	v_cndmask_b32_e32 v12, 0, v12, vcc_lo
	v_cmp_eq_u32_e32 vcc_lo, 0, v9
	v_add_nc_u32_e32 v9, 0xffffff91, v9
	v_cndmask_b32_e64 v12, v12, 0x6f, vcc_lo
	v_cndmask_b32_e32 v10, v13, v10, vcc_lo
	s_delay_alu instid0(VALU_DEP_3) | instskip(NEXT) | instid1(VALU_DEP_3)
	v_cndmask_b32_e64 v9, v9, 0xffffff92, vcc_lo
	v_lshl_add_u32 v13, 0x200000, v12, -1
	s_delay_alu instid0(VALU_DEP_3) | instskip(SKIP_1) | instid1(VALU_DEP_4)
	v_lshrrev_b32_e32 v14, v12, v10
	v_lshlrev_b32_e64 v16, v12, 0x100000
	v_add_nc_u32_e32 v12, v12, v9
	s_delay_alu instid0(VALU_DEP_4) | instskip(NEXT) | instid1(VALU_DEP_4)
	v_and_b32_e32 v10, v13, v10
	v_bfe_u32 v15, v14, 21, 1
	s_delay_alu instid0(VALU_DEP_2) | instskip(NEXT) | instid1(VALU_DEP_2)
	v_cmp_eq_u32_e64 s13, v10, v16
	v_add_nc_u32_e32 v13, -1, v15
	s_delay_alu instid0(VALU_DEP_1) | instskip(SKIP_2) | instid1(VALU_DEP_2)
	v_cndmask_b32_e64 v10, 0, v13, s13
	v_lshrrev_b32_e32 v13, 23, v14
	s_mov_b32 s13, exec_lo
	v_add_nc_u32_e32 v10, v10, v14
	s_delay_alu instid0(VALU_DEP_2) | instskip(NEXT) | instid1(VALU_DEP_2)
	v_xor_b32_e32 v13, 1, v13
	v_and_b32_e32 v9, 0x1fffff, v10
	s_delay_alu instid0(VALU_DEP_1) | instskip(NEXT) | instid1(VALU_DEP_3)
	v_add_nc_u32_e32 v10, v9, v14
                                        ; implicit-def: $vgpr9
	v_cmpx_ne_u32_e64 v12, v13
	s_xor_b32 s13, exec_lo, s13
; %bb.3989:                             ;   in Loop: Header=BB6_3265 Depth=4
	s_delay_alu instid0(VALU_DEP_2) | instskip(SKIP_2) | instid1(VALU_DEP_2)
	v_cmp_lt_u32_e32 vcc_lo, 0xffffff, v10
	v_sub_nc_u32_e32 v9, v12, v13
	v_cndmask_b32_e64 v12, 0, 1, vcc_lo
	v_add_co_ci_u32_e32 v9, vcc_lo, 0, v9, vcc_lo
	s_delay_alu instid0(VALU_DEP_2)
	v_lshrrev_b32_e32 v10, v12, v10
; %bb.3990:                             ;   in Loop: Header=BB6_3265 Depth=4
	s_and_not1_saveexec_b32 s13, s13
; %bb.3991:                             ;   in Loop: Header=BB6_3265 Depth=4
	s_delay_alu instid0(VALU_DEP_1)
	v_bfe_u32 v9, v10, 23, 1
; %bb.3992:                             ;   in Loop: Header=BB6_3265 Depth=4
	s_or_b32 exec_lo, exec_lo, s13
	v_lshrrev_b32_e32 v10, 21, v10
	s_delay_alu instid0(VALU_DEP_2) | instskip(SKIP_2) | instid1(VALU_DEP_4)
	v_cmp_gt_i32_e32 vcc_lo, 32, v9
	v_lshrrev_b32_e32 v8, 24, v8
	v_min_i32_e32 v12, 31, v9
	v_cndmask_b32_e32 v10, 3, v10, vcc_lo
	s_delay_alu instid0(VALU_DEP_3) | instskip(NEXT) | instid1(VALU_DEP_3)
	v_and_b32_e32 v8, 0x80, v8
	v_lshlrev_b32_e32 v12, 2, v12
	s_delay_alu instid0(VALU_DEP_3) | instskip(SKIP_1) | instid1(VALU_DEP_2)
	v_and_b32_e32 v13, 3, v10
	v_or_b32_e32 v9, v9, v10
	v_or3_b32 v8, v12, v8, v13
	s_delay_alu instid0(VALU_DEP_2) | instskip(NEXT) | instid1(VALU_DEP_2)
	v_cmp_ne_u32_e32 vcc_lo, 0, v9
	v_cndmask_b32_e32 v163, 0, v8, vcc_lo
.LBB6_3993:                             ;   in Loop: Header=BB6_3265 Depth=4
	s_or_b32 exec_lo, exec_lo, s36
.LBB6_3994:                             ;   in Loop: Header=BB6_3265 Depth=4
	s_delay_alu instid0(SALU_CYCLE_1) | instskip(SKIP_3) | instid1(VALU_DEP_1)
	s_or_b32 exec_lo, exec_lo, s35
	v_and_b32_e32 v9, 0xff, v11
	s_mov_b32 s13, 0
	s_mov_b32 s36, exec_lo
                                        ; implicit-def: $sgpr35
	v_cmpx_lt_i16_e32 0x7f, v9
	s_xor_b32 s36, exec_lo, s36
	s_cbranch_execnz .LBB6_5304
; %bb.3995:                             ;   in Loop: Header=BB6_3265 Depth=4
	s_or_saveexec_b32 s36, s36
	v_mov_b32_e32 v8, s35
	s_xor_b32 exec_lo, exec_lo, s36
	s_cbranch_execnz .LBB6_5307
.LBB6_3996:                             ;   in Loop: Header=BB6_3265 Depth=4
	s_or_b32 exec_lo, exec_lo, s36
	s_and_saveexec_b32 s35, s13
	s_cbranch_execz .LBB6_3998
.LBB6_3997:                             ;   in Loop: Header=BB6_3265 Depth=4
	v_bfe_u32 v12, v11, 2, 5
	s_delay_alu instid0(VALU_DEP_1) | instskip(SKIP_1) | instid1(VALU_DEP_1)
	v_cmp_eq_u32_e32 vcc_lo, 0, v12
	v_and_b32_e32 v8, 3, v11
	v_clz_i32_u32_e32 v9, v8
	s_delay_alu instid0(VALU_DEP_1) | instskip(NEXT) | instid1(VALU_DEP_1)
	v_min_u32_e32 v9, 32, v9
	v_subrev_nc_u32_e32 v10, 29, v9
	v_sub_nc_u32_e32 v9, 30, v9
	s_delay_alu instid0(VALU_DEP_1) | instskip(NEXT) | instid1(VALU_DEP_1)
	v_dual_cndmask_b32 v9, v12, v9 :: v_dual_lshlrev_b32 v10, v10, v11
	v_and_b32_e32 v10, 3, v10
	v_lshlrev_b32_e32 v13, 24, v11
	s_delay_alu instid0(VALU_DEP_3) | instskip(NEXT) | instid1(VALU_DEP_3)
	v_lshl_add_u32 v9, v9, 23, 0x37800000
	v_cndmask_b32_e32 v8, v8, v10, vcc_lo
	s_delay_alu instid0(VALU_DEP_3) | instskip(NEXT) | instid1(VALU_DEP_2)
	v_and_b32_e32 v10, 0x80000000, v13
	v_lshlrev_b32_e32 v8, 21, v8
	s_delay_alu instid0(VALU_DEP_1)
	v_or3_b32 v8, v10, v9, v8
.LBB6_3998:                             ;   in Loop: Header=BB6_3265 Depth=4
	s_or_b32 exec_lo, exec_lo, s35
	s_delay_alu instid0(VALU_DEP_1) | instskip(SKIP_1) | instid1(VALU_DEP_1)
	v_dual_mul_f32 v8, s34, v8 :: v_dual_mov_b32 v53, 0x80
	s_mov_b32 s35, exec_lo
	v_and_b32_e32 v9, 0x7f800000, v8
	s_delay_alu instid0(VALU_DEP_1)
	v_cmpx_ne_u32_e32 0x7f800000, v9
	s_cbranch_execz .LBB6_4006
; %bb.3999:                             ;   in Loop: Header=BB6_3265 Depth=4
	v_mov_b32_e32 v53, 0
	s_mov_b32 s36, exec_lo
	v_cmpx_ne_u32_e32 0, v8
	s_cbranch_execz .LBB6_4005
; %bb.4000:                             ;   in Loop: Header=BB6_3265 Depth=4
	v_bfe_u32 v9, v8, 23, 8
	v_and_b32_e32 v10, 0x7fffff, v8
	s_delay_alu instid0(VALU_DEP_2) | instskip(SKIP_1) | instid1(VALU_DEP_3)
	v_sub_nc_u32_e32 v12, 0x70, v9
	v_cmp_gt_u32_e32 vcc_lo, 0x71, v9
	v_or_b32_e32 v13, 0x800000, v10
	s_delay_alu instid0(VALU_DEP_3) | instskip(SKIP_2) | instid1(VALU_DEP_3)
	v_cndmask_b32_e32 v12, 0, v12, vcc_lo
	v_cmp_eq_u32_e32 vcc_lo, 0, v9
	v_add_nc_u32_e32 v9, 0xffffff91, v9
	v_cndmask_b32_e64 v12, v12, 0x6f, vcc_lo
	v_cndmask_b32_e32 v10, v13, v10, vcc_lo
	s_delay_alu instid0(VALU_DEP_3) | instskip(NEXT) | instid1(VALU_DEP_3)
	v_cndmask_b32_e64 v9, v9, 0xffffff92, vcc_lo
	v_lshl_add_u32 v13, 0x200000, v12, -1
	s_delay_alu instid0(VALU_DEP_3) | instskip(SKIP_1) | instid1(VALU_DEP_4)
	v_lshrrev_b32_e32 v14, v12, v10
	v_lshlrev_b32_e64 v16, v12, 0x100000
	v_add_nc_u32_e32 v12, v12, v9
	s_delay_alu instid0(VALU_DEP_4) | instskip(NEXT) | instid1(VALU_DEP_4)
	v_and_b32_e32 v10, v13, v10
	v_bfe_u32 v15, v14, 21, 1
	s_delay_alu instid0(VALU_DEP_2) | instskip(NEXT) | instid1(VALU_DEP_2)
	v_cmp_eq_u32_e64 s13, v10, v16
	v_add_nc_u32_e32 v13, -1, v15
	s_delay_alu instid0(VALU_DEP_1) | instskip(SKIP_2) | instid1(VALU_DEP_2)
	v_cndmask_b32_e64 v10, 0, v13, s13
	v_lshrrev_b32_e32 v13, 23, v14
	s_mov_b32 s13, exec_lo
	v_add_nc_u32_e32 v10, v10, v14
	s_delay_alu instid0(VALU_DEP_2) | instskip(NEXT) | instid1(VALU_DEP_2)
	v_xor_b32_e32 v13, 1, v13
	v_and_b32_e32 v9, 0x1fffff, v10
	s_delay_alu instid0(VALU_DEP_1) | instskip(NEXT) | instid1(VALU_DEP_3)
	v_add_nc_u32_e32 v10, v9, v14
                                        ; implicit-def: $vgpr9
	v_cmpx_ne_u32_e64 v12, v13
	s_xor_b32 s13, exec_lo, s13
; %bb.4001:                             ;   in Loop: Header=BB6_3265 Depth=4
	s_delay_alu instid0(VALU_DEP_2) | instskip(SKIP_2) | instid1(VALU_DEP_2)
	v_cmp_lt_u32_e32 vcc_lo, 0xffffff, v10
	v_sub_nc_u32_e32 v9, v12, v13
	v_cndmask_b32_e64 v12, 0, 1, vcc_lo
	v_add_co_ci_u32_e32 v9, vcc_lo, 0, v9, vcc_lo
	s_delay_alu instid0(VALU_DEP_2)
	v_lshrrev_b32_e32 v10, v12, v10
; %bb.4002:                             ;   in Loop: Header=BB6_3265 Depth=4
	s_and_not1_saveexec_b32 s13, s13
; %bb.4003:                             ;   in Loop: Header=BB6_3265 Depth=4
	s_delay_alu instid0(VALU_DEP_1)
	v_bfe_u32 v9, v10, 23, 1
; %bb.4004:                             ;   in Loop: Header=BB6_3265 Depth=4
	s_or_b32 exec_lo, exec_lo, s13
	v_lshrrev_b32_e32 v10, 21, v10
	s_delay_alu instid0(VALU_DEP_2) | instskip(SKIP_2) | instid1(VALU_DEP_3)
	v_min_i32_e32 v12, 31, v9
	v_cmp_gt_i32_e32 vcc_lo, 32, v9
	v_lshrrev_b32_e32 v8, 24, v8
	v_lshlrev_b32_e32 v12, 2, v12
	v_cndmask_b32_e32 v10, 3, v10, vcc_lo
	s_delay_alu instid0(VALU_DEP_3) | instskip(NEXT) | instid1(VALU_DEP_3)
	v_and_b32_e32 v8, 0x80, v8
	v_and_b32_e32 v12, 0xfc, v12
	s_delay_alu instid0(VALU_DEP_3) | instskip(SKIP_1) | instid1(VALU_DEP_2)
	v_and_b32_e32 v13, 3, v10
	v_or_b32_e32 v9, v9, v10
	v_or3_b32 v8, v12, v8, v13
	s_delay_alu instid0(VALU_DEP_2) | instskip(NEXT) | instid1(VALU_DEP_2)
	v_cmp_ne_u32_e32 vcc_lo, 0, v9
	v_cndmask_b32_e32 v53, 0, v8, vcc_lo
.LBB6_4005:                             ;   in Loop: Header=BB6_3265 Depth=4
	s_or_b32 exec_lo, exec_lo, s36
.LBB6_4006:                             ;   in Loop: Header=BB6_3265 Depth=4
	s_delay_alu instid0(SALU_CYCLE_1) | instskip(SKIP_3) | instid1(VALU_DEP_1)
	s_or_b32 exec_lo, exec_lo, s35
	v_lshrrev_b16 v8, 8, v11
	s_mov_b32 s13, 0
	s_mov_b32 s36, exec_lo
                                        ; implicit-def: $sgpr35
	v_cmpx_lt_i16_e32 0x7f, v8
	s_xor_b32 s36, exec_lo, s36
	s_cbranch_execnz .LBB6_5308
; %bb.4007:                             ;   in Loop: Header=BB6_3265 Depth=4
	s_or_saveexec_b32 s36, s36
	v_mov_b32_e32 v9, s35
	s_xor_b32 exec_lo, exec_lo, s36
	s_cbranch_execnz .LBB6_5311
.LBB6_4008:                             ;   in Loop: Header=BB6_3265 Depth=4
	s_or_b32 exec_lo, exec_lo, s36
	s_and_saveexec_b32 s35, s13
	s_cbranch_execz .LBB6_4010
.LBB6_4009:                             ;   in Loop: Header=BB6_3265 Depth=4
	v_and_b32_e32 v9, 0xffff, v8
	v_lshlrev_b32_e32 v8, 24, v8
	s_delay_alu instid0(VALU_DEP_2) | instskip(NEXT) | instid1(VALU_DEP_2)
	v_and_b32_e32 v10, 3, v9
	v_and_b32_e32 v8, 0x80000000, v8
	s_delay_alu instid0(VALU_DEP_2) | instskip(NEXT) | instid1(VALU_DEP_1)
	v_clz_i32_u32_e32 v12, v10
	v_min_u32_e32 v12, 32, v12
	s_delay_alu instid0(VALU_DEP_1) | instskip(SKIP_1) | instid1(VALU_DEP_2)
	v_subrev_nc_u32_e32 v13, 29, v12
	v_sub_nc_u32_e32 v12, 30, v12
	v_lshlrev_b32_e32 v13, v13, v9
	v_bfe_u32 v9, v9, 2, 5
	s_delay_alu instid0(VALU_DEP_2) | instskip(NEXT) | instid1(VALU_DEP_2)
	v_and_b32_e32 v13, 3, v13
	v_cmp_eq_u32_e32 vcc_lo, 0, v9
	s_delay_alu instid0(VALU_DEP_2) | instskip(NEXT) | instid1(VALU_DEP_1)
	v_dual_cndmask_b32 v9, v9, v12 :: v_dual_cndmask_b32 v10, v10, v13
	v_lshl_add_u32 v9, v9, 23, 0x37800000
	s_delay_alu instid0(VALU_DEP_2) | instskip(NEXT) | instid1(VALU_DEP_1)
	v_lshlrev_b32_e32 v10, 21, v10
	v_or3_b32 v9, v8, v9, v10
.LBB6_4010:                             ;   in Loop: Header=BB6_3265 Depth=4
	s_or_b32 exec_lo, exec_lo, s35
	s_delay_alu instid0(VALU_DEP_1) | instskip(SKIP_2) | instid1(VALU_DEP_2)
	v_mul_f32_e32 v8, s34, v9
	v_mov_b32_e32 v54, 0x8000
	s_mov_b32 s35, exec_lo
	v_and_b32_e32 v9, 0x7f800000, v8
	s_delay_alu instid0(VALU_DEP_1)
	v_cmpx_ne_u32_e32 0x7f800000, v9
	s_cbranch_execz .LBB6_4018
; %bb.4011:                             ;   in Loop: Header=BB6_3265 Depth=4
	v_mov_b32_e32 v54, 0
	s_mov_b32 s36, exec_lo
	v_cmpx_ne_u32_e32 0, v8
	s_cbranch_execz .LBB6_4017
; %bb.4012:                             ;   in Loop: Header=BB6_3265 Depth=4
	v_bfe_u32 v9, v8, 23, 8
	v_and_b32_e32 v10, 0x7fffff, v8
	s_delay_alu instid0(VALU_DEP_2) | instskip(SKIP_1) | instid1(VALU_DEP_3)
	v_sub_nc_u32_e32 v12, 0x70, v9
	v_cmp_gt_u32_e32 vcc_lo, 0x71, v9
	v_or_b32_e32 v13, 0x800000, v10
	s_delay_alu instid0(VALU_DEP_3) | instskip(SKIP_2) | instid1(VALU_DEP_3)
	v_cndmask_b32_e32 v12, 0, v12, vcc_lo
	v_cmp_eq_u32_e32 vcc_lo, 0, v9
	v_add_nc_u32_e32 v9, 0xffffff91, v9
	v_cndmask_b32_e64 v12, v12, 0x6f, vcc_lo
	v_cndmask_b32_e32 v10, v13, v10, vcc_lo
	s_delay_alu instid0(VALU_DEP_3) | instskip(NEXT) | instid1(VALU_DEP_3)
	v_cndmask_b32_e64 v9, v9, 0xffffff92, vcc_lo
	v_lshl_add_u32 v13, 0x200000, v12, -1
	s_delay_alu instid0(VALU_DEP_3) | instskip(SKIP_1) | instid1(VALU_DEP_4)
	v_lshrrev_b32_e32 v14, v12, v10
	v_lshlrev_b32_e64 v16, v12, 0x100000
	v_add_nc_u32_e32 v12, v12, v9
	s_delay_alu instid0(VALU_DEP_4) | instskip(NEXT) | instid1(VALU_DEP_4)
	v_and_b32_e32 v10, v13, v10
	v_bfe_u32 v15, v14, 21, 1
	s_delay_alu instid0(VALU_DEP_2) | instskip(NEXT) | instid1(VALU_DEP_2)
	v_cmp_eq_u32_e64 s13, v10, v16
	v_add_nc_u32_e32 v13, -1, v15
	s_delay_alu instid0(VALU_DEP_1) | instskip(SKIP_2) | instid1(VALU_DEP_2)
	v_cndmask_b32_e64 v10, 0, v13, s13
	v_lshrrev_b32_e32 v13, 23, v14
	s_mov_b32 s13, exec_lo
	v_add_nc_u32_e32 v10, v10, v14
	s_delay_alu instid0(VALU_DEP_2) | instskip(NEXT) | instid1(VALU_DEP_2)
	v_xor_b32_e32 v13, 1, v13
	v_and_b32_e32 v9, 0x1fffff, v10
	s_delay_alu instid0(VALU_DEP_1) | instskip(NEXT) | instid1(VALU_DEP_3)
	v_add_nc_u32_e32 v10, v9, v14
                                        ; implicit-def: $vgpr9
	v_cmpx_ne_u32_e64 v12, v13
	s_xor_b32 s13, exec_lo, s13
; %bb.4013:                             ;   in Loop: Header=BB6_3265 Depth=4
	s_delay_alu instid0(VALU_DEP_2) | instskip(SKIP_2) | instid1(VALU_DEP_2)
	v_cmp_lt_u32_e32 vcc_lo, 0xffffff, v10
	v_sub_nc_u32_e32 v9, v12, v13
	v_cndmask_b32_e64 v12, 0, 1, vcc_lo
	v_add_co_ci_u32_e32 v9, vcc_lo, 0, v9, vcc_lo
	s_delay_alu instid0(VALU_DEP_2)
	v_lshrrev_b32_e32 v10, v12, v10
; %bb.4014:                             ;   in Loop: Header=BB6_3265 Depth=4
	s_and_not1_saveexec_b32 s13, s13
; %bb.4015:                             ;   in Loop: Header=BB6_3265 Depth=4
	s_delay_alu instid0(VALU_DEP_1)
	v_bfe_u32 v9, v10, 23, 1
; %bb.4016:                             ;   in Loop: Header=BB6_3265 Depth=4
	s_or_b32 exec_lo, exec_lo, s13
	v_lshrrev_b32_e32 v10, 21, v10
	s_delay_alu instid0(VALU_DEP_2) | instskip(SKIP_2) | instid1(VALU_DEP_4)
	v_cmp_gt_i32_e32 vcc_lo, 32, v9
	v_min_i32_e32 v12, 31, v9
	v_lshrrev_b32_e32 v8, 24, v8
	v_cndmask_b32_e32 v10, 3, v10, vcc_lo
	s_delay_alu instid0(VALU_DEP_3) | instskip(NEXT) | instid1(VALU_DEP_3)
	v_lshlrev_b32_e32 v12, 2, v12
	v_and_b32_e32 v8, 0x80, v8
	s_delay_alu instid0(VALU_DEP_3) | instskip(NEXT) | instid1(VALU_DEP_3)
	v_or_b32_e32 v9, v9, v10
	v_and_b32_e32 v12, 0xfc, v12
	s_delay_alu instid0(VALU_DEP_2) | instskip(SKIP_1) | instid1(VALU_DEP_1)
	v_cmp_ne_u32_e32 vcc_lo, 0, v9
	v_and_b32_e32 v13, 3, v10
	v_or3_b32 v8, v8, v12, v13
	s_delay_alu instid0(VALU_DEP_1) | instskip(NEXT) | instid1(VALU_DEP_1)
	v_lshlrev_b32_e32 v8, 8, v8
	v_cndmask_b32_e32 v54, 0, v8, vcc_lo
.LBB6_4017:                             ;   in Loop: Header=BB6_3265 Depth=4
	s_or_b32 exec_lo, exec_lo, s36
.LBB6_4018:                             ;   in Loop: Header=BB6_3265 Depth=4
	s_delay_alu instid0(SALU_CYCLE_1) | instskip(SKIP_3) | instid1(VALU_DEP_1)
	s_or_b32 exec_lo, exec_lo, s35
	v_lshrrev_b32_e32 v8, 16, v11
	s_mov_b32 s13, 0
	s_mov_b32 s36, exec_lo
                                        ; implicit-def: $sgpr35
	v_and_b32_e32 v10, 0xff, v8
	s_delay_alu instid0(VALU_DEP_1)
	v_cmpx_lt_i16_e32 0x7f, v10
	s_xor_b32 s36, exec_lo, s36
	s_cbranch_execnz .LBB6_5312
; %bb.4019:                             ;   in Loop: Header=BB6_3265 Depth=4
	s_or_saveexec_b32 s36, s36
	v_mov_b32_e32 v9, s35
	s_xor_b32 exec_lo, exec_lo, s36
	s_cbranch_execnz .LBB6_5315
.LBB6_4020:                             ;   in Loop: Header=BB6_3265 Depth=4
	s_or_b32 exec_lo, exec_lo, s36
	s_and_saveexec_b32 s35, s13
	s_cbranch_execz .LBB6_4022
.LBB6_4021:                             ;   in Loop: Header=BB6_3265 Depth=4
	v_bfe_u32 v9, v11, 16, 2
	s_delay_alu instid0(VALU_DEP_1) | instskip(NEXT) | instid1(VALU_DEP_1)
	v_clz_i32_u32_e32 v10, v9
	v_min_u32_e32 v10, 32, v10
	s_delay_alu instid0(VALU_DEP_1) | instskip(SKIP_1) | instid1(VALU_DEP_2)
	v_subrev_nc_u32_e32 v12, 29, v10
	v_sub_nc_u32_e32 v10, 30, v10
	v_lshlrev_b32_e32 v8, v12, v8
	v_bfe_u32 v12, v11, 18, 5
	s_delay_alu instid0(VALU_DEP_2) | instskip(NEXT) | instid1(VALU_DEP_2)
	v_and_b32_e32 v8, 3, v8
	v_cmp_eq_u32_e32 vcc_lo, 0, v12
	v_dual_cndmask_b32 v10, v12, v10 :: v_dual_lshlrev_b32 v13, 8, v11
	s_delay_alu instid0(VALU_DEP_1) | instskip(NEXT) | instid1(VALU_DEP_2)
	v_dual_cndmask_b32 v8, v9, v8 :: v_dual_and_b32 v9, 0x80000000, v13
	v_lshl_add_u32 v10, v10, 23, 0x37800000
	s_delay_alu instid0(VALU_DEP_2) | instskip(NEXT) | instid1(VALU_DEP_1)
	v_lshlrev_b32_e32 v8, 21, v8
	v_or3_b32 v9, v9, v10, v8
.LBB6_4022:                             ;   in Loop: Header=BB6_3265 Depth=4
	s_or_b32 exec_lo, exec_lo, s35
	s_delay_alu instid0(VALU_DEP_1) | instskip(SKIP_2) | instid1(VALU_DEP_2)
	v_mul_f32_e32 v8, s34, v9
	v_mov_b32_e32 v160, 0x80
	s_mov_b32 s35, exec_lo
	v_and_b32_e32 v9, 0x7f800000, v8
	s_delay_alu instid0(VALU_DEP_1)
	v_cmpx_ne_u32_e32 0x7f800000, v9
	s_cbranch_execz .LBB6_4030
; %bb.4023:                             ;   in Loop: Header=BB6_3265 Depth=4
	v_mov_b32_e32 v160, 0
	s_mov_b32 s36, exec_lo
	v_cmpx_ne_u32_e32 0, v8
	s_cbranch_execz .LBB6_4029
; %bb.4024:                             ;   in Loop: Header=BB6_3265 Depth=4
	v_bfe_u32 v9, v8, 23, 8
	v_and_b32_e32 v10, 0x7fffff, v8
	s_delay_alu instid0(VALU_DEP_2) | instskip(SKIP_1) | instid1(VALU_DEP_3)
	v_sub_nc_u32_e32 v12, 0x70, v9
	v_cmp_gt_u32_e32 vcc_lo, 0x71, v9
	v_or_b32_e32 v13, 0x800000, v10
	s_delay_alu instid0(VALU_DEP_3) | instskip(SKIP_2) | instid1(VALU_DEP_3)
	v_cndmask_b32_e32 v12, 0, v12, vcc_lo
	v_cmp_eq_u32_e32 vcc_lo, 0, v9
	v_add_nc_u32_e32 v9, 0xffffff91, v9
	v_cndmask_b32_e64 v12, v12, 0x6f, vcc_lo
	v_cndmask_b32_e32 v10, v13, v10, vcc_lo
	s_delay_alu instid0(VALU_DEP_3) | instskip(NEXT) | instid1(VALU_DEP_3)
	v_cndmask_b32_e64 v9, v9, 0xffffff92, vcc_lo
	v_lshl_add_u32 v13, 0x200000, v12, -1
	s_delay_alu instid0(VALU_DEP_3) | instskip(SKIP_1) | instid1(VALU_DEP_4)
	v_lshrrev_b32_e32 v14, v12, v10
	v_lshlrev_b32_e64 v16, v12, 0x100000
	v_add_nc_u32_e32 v12, v12, v9
	s_delay_alu instid0(VALU_DEP_4) | instskip(NEXT) | instid1(VALU_DEP_4)
	v_and_b32_e32 v10, v13, v10
	v_bfe_u32 v15, v14, 21, 1
	s_delay_alu instid0(VALU_DEP_2) | instskip(NEXT) | instid1(VALU_DEP_2)
	v_cmp_eq_u32_e64 s13, v10, v16
	v_add_nc_u32_e32 v13, -1, v15
	s_delay_alu instid0(VALU_DEP_1) | instskip(SKIP_2) | instid1(VALU_DEP_2)
	v_cndmask_b32_e64 v10, 0, v13, s13
	v_lshrrev_b32_e32 v13, 23, v14
	s_mov_b32 s13, exec_lo
	v_add_nc_u32_e32 v10, v10, v14
	s_delay_alu instid0(VALU_DEP_2) | instskip(NEXT) | instid1(VALU_DEP_2)
	v_xor_b32_e32 v13, 1, v13
	v_and_b32_e32 v9, 0x1fffff, v10
	s_delay_alu instid0(VALU_DEP_1) | instskip(NEXT) | instid1(VALU_DEP_3)
	v_add_nc_u32_e32 v10, v9, v14
                                        ; implicit-def: $vgpr9
	v_cmpx_ne_u32_e64 v12, v13
	s_xor_b32 s13, exec_lo, s13
; %bb.4025:                             ;   in Loop: Header=BB6_3265 Depth=4
	s_delay_alu instid0(VALU_DEP_2) | instskip(SKIP_2) | instid1(VALU_DEP_2)
	v_cmp_lt_u32_e32 vcc_lo, 0xffffff, v10
	v_sub_nc_u32_e32 v9, v12, v13
	v_cndmask_b32_e64 v12, 0, 1, vcc_lo
	v_add_co_ci_u32_e32 v9, vcc_lo, 0, v9, vcc_lo
	s_delay_alu instid0(VALU_DEP_2)
	v_lshrrev_b32_e32 v10, v12, v10
; %bb.4026:                             ;   in Loop: Header=BB6_3265 Depth=4
	s_and_not1_saveexec_b32 s13, s13
; %bb.4027:                             ;   in Loop: Header=BB6_3265 Depth=4
	s_delay_alu instid0(VALU_DEP_1)
	v_bfe_u32 v9, v10, 23, 1
; %bb.4028:                             ;   in Loop: Header=BB6_3265 Depth=4
	s_or_b32 exec_lo, exec_lo, s13
	v_lshrrev_b32_e32 v10, 21, v10
	s_delay_alu instid0(VALU_DEP_2) | instskip(SKIP_2) | instid1(VALU_DEP_4)
	v_cmp_gt_i32_e32 vcc_lo, 32, v9
	v_min_i32_e32 v12, 31, v9
	v_lshrrev_b32_e32 v8, 24, v8
	v_cndmask_b32_e32 v10, 3, v10, vcc_lo
	s_delay_alu instid0(VALU_DEP_3) | instskip(NEXT) | instid1(VALU_DEP_3)
	v_lshlrev_b32_e32 v12, 2, v12
	v_and_b32_e32 v8, 0x80, v8
	s_delay_alu instid0(VALU_DEP_3) | instskip(NEXT) | instid1(VALU_DEP_3)
	v_or_b32_e32 v9, v9, v10
	v_and_b32_e32 v12, 0xfc, v12
	s_delay_alu instid0(VALU_DEP_2) | instskip(SKIP_1) | instid1(VALU_DEP_1)
	v_cmp_ne_u32_e32 vcc_lo, 0, v9
	v_and_b32_e32 v13, 3, v10
	v_or3_b32 v8, v12, v8, v13
	s_delay_alu instid0(VALU_DEP_1)
	v_cndmask_b32_e32 v160, 0, v8, vcc_lo
.LBB6_4029:                             ;   in Loop: Header=BB6_3265 Depth=4
	s_or_b32 exec_lo, exec_lo, s36
.LBB6_4030:                             ;   in Loop: Header=BB6_3265 Depth=4
	s_delay_alu instid0(SALU_CYCLE_1) | instskip(SKIP_3) | instid1(VALU_DEP_1)
	s_or_b32 exec_lo, exec_lo, s35
	v_lshrrev_b32_e32 v8, 24, v11
	s_mov_b32 s13, 0
	s_mov_b32 s36, exec_lo
                                        ; implicit-def: $sgpr35
	v_cmpx_lt_i16_e32 0x7f, v8
	s_xor_b32 s36, exec_lo, s36
	s_cbranch_execnz .LBB6_5316
; %bb.4031:                             ;   in Loop: Header=BB6_3265 Depth=4
	s_or_saveexec_b32 s36, s36
	v_mov_b32_e32 v9, s35
	s_xor_b32 exec_lo, exec_lo, s36
	s_cbranch_execnz .LBB6_5319
.LBB6_4032:                             ;   in Loop: Header=BB6_3265 Depth=4
	s_or_b32 exec_lo, exec_lo, s36
	s_and_saveexec_b32 s35, s13
	s_cbranch_execz .LBB6_4034
.LBB6_4033:                             ;   in Loop: Header=BB6_3265 Depth=4
	v_bfe_u32 v9, v11, 24, 2
	s_delay_alu instid0(VALU_DEP_1) | instskip(NEXT) | instid1(VALU_DEP_1)
	v_clz_i32_u32_e32 v10, v9
	v_min_u32_e32 v10, 32, v10
	s_delay_alu instid0(VALU_DEP_1) | instskip(SKIP_1) | instid1(VALU_DEP_2)
	v_subrev_nc_u32_e32 v12, 29, v10
	v_sub_nc_u32_e32 v10, 30, v10
	v_lshlrev_b32_e32 v8, v12, v8
	v_bfe_u32 v12, v11, 26, 5
	s_delay_alu instid0(VALU_DEP_2) | instskip(NEXT) | instid1(VALU_DEP_2)
	v_and_b32_e32 v8, 3, v8
	v_cmp_eq_u32_e32 vcc_lo, 0, v12
	v_cndmask_b32_e32 v10, v12, v10, vcc_lo
	s_delay_alu instid0(VALU_DEP_3) | instskip(NEXT) | instid1(VALU_DEP_2)
	v_dual_cndmask_b32 v8, v9, v8 :: v_dual_and_b32 v9, 0x80000000, v11
	v_lshl_add_u32 v10, v10, 23, 0x37800000
	s_delay_alu instid0(VALU_DEP_2) | instskip(NEXT) | instid1(VALU_DEP_1)
	v_lshlrev_b32_e32 v8, 21, v8
	v_or3_b32 v9, v9, v10, v8
.LBB6_4034:                             ;   in Loop: Header=BB6_3265 Depth=4
	s_or_b32 exec_lo, exec_lo, s35
	s_delay_alu instid0(VALU_DEP_1) | instskip(SKIP_1) | instid1(VALU_DEP_1)
	v_dual_mul_f32 v8, s34, v9 :: v_dual_mov_b32 v55, 0x8000
	s_mov_b32 s34, exec_lo
	v_and_b32_e32 v9, 0x7f800000, v8
	s_delay_alu instid0(VALU_DEP_1)
	v_cmpx_ne_u32_e32 0x7f800000, v9
	s_cbranch_execz .LBB6_4042
; %bb.4035:                             ;   in Loop: Header=BB6_3265 Depth=4
	v_mov_b32_e32 v55, 0
	s_mov_b32 s35, exec_lo
	v_cmpx_ne_u32_e32 0, v8
	s_cbranch_execz .LBB6_4041
; %bb.4036:                             ;   in Loop: Header=BB6_3265 Depth=4
	v_bfe_u32 v9, v8, 23, 8
	s_delay_alu instid0(VALU_DEP_1) | instskip(SKIP_1) | instid1(VALU_DEP_2)
	v_sub_nc_u32_e32 v11, 0x70, v9
	v_cmp_gt_u32_e32 vcc_lo, 0x71, v9
	v_dual_cndmask_b32 v11, 0, v11 :: v_dual_and_b32 v10, 0x7fffff, v8
	s_delay_alu instid0(VALU_DEP_1) | instskip(SKIP_2) | instid1(VALU_DEP_4)
	v_or_b32_e32 v12, 0x800000, v10
	v_cmp_eq_u32_e32 vcc_lo, 0, v9
	v_add_nc_u32_e32 v9, 0xffffff91, v9
	v_cndmask_b32_e64 v11, v11, 0x6f, vcc_lo
	s_delay_alu instid0(VALU_DEP_4) | instskip(NEXT) | instid1(VALU_DEP_3)
	v_cndmask_b32_e32 v10, v12, v10, vcc_lo
	v_cndmask_b32_e64 v9, v9, 0xffffff92, vcc_lo
	s_delay_alu instid0(VALU_DEP_3) | instskip(NEXT) | instid1(VALU_DEP_3)
	v_lshl_add_u32 v12, 0x200000, v11, -1
	v_lshrrev_b32_e32 v13, v11, v10
	v_lshlrev_b32_e64 v15, v11, 0x100000
	s_delay_alu instid0(VALU_DEP_4) | instskip(NEXT) | instid1(VALU_DEP_4)
	v_add_nc_u32_e32 v11, v11, v9
	v_and_b32_e32 v10, v12, v10
	s_delay_alu instid0(VALU_DEP_4) | instskip(NEXT) | instid1(VALU_DEP_2)
	v_bfe_u32 v14, v13, 21, 1
	v_cmp_eq_u32_e64 s13, v10, v15
	s_delay_alu instid0(VALU_DEP_2) | instskip(NEXT) | instid1(VALU_DEP_1)
	v_add_nc_u32_e32 v12, -1, v14
	v_cndmask_b32_e64 v10, 0, v12, s13
	v_lshrrev_b32_e32 v12, 23, v13
	s_mov_b32 s13, exec_lo
	s_delay_alu instid0(VALU_DEP_2) | instskip(NEXT) | instid1(VALU_DEP_2)
	v_add_nc_u32_e32 v10, v10, v13
	v_xor_b32_e32 v12, 1, v12
	s_delay_alu instid0(VALU_DEP_2) | instskip(NEXT) | instid1(VALU_DEP_1)
	v_and_b32_e32 v9, 0x1fffff, v10
	v_add_nc_u32_e32 v10, v9, v13
                                        ; implicit-def: $vgpr9
	s_delay_alu instid0(VALU_DEP_3)
	v_cmpx_ne_u32_e64 v11, v12
	s_xor_b32 s13, exec_lo, s13
; %bb.4037:                             ;   in Loop: Header=BB6_3265 Depth=4
	s_delay_alu instid0(VALU_DEP_2) | instskip(SKIP_2) | instid1(VALU_DEP_2)
	v_cmp_lt_u32_e32 vcc_lo, 0xffffff, v10
	v_sub_nc_u32_e32 v9, v11, v12
	v_cndmask_b32_e64 v11, 0, 1, vcc_lo
	v_add_co_ci_u32_e32 v9, vcc_lo, 0, v9, vcc_lo
	s_delay_alu instid0(VALU_DEP_2)
	v_lshrrev_b32_e32 v10, v11, v10
; %bb.4038:                             ;   in Loop: Header=BB6_3265 Depth=4
	s_and_not1_saveexec_b32 s13, s13
; %bb.4039:                             ;   in Loop: Header=BB6_3265 Depth=4
	s_delay_alu instid0(VALU_DEP_1)
	v_bfe_u32 v9, v10, 23, 1
; %bb.4040:                             ;   in Loop: Header=BB6_3265 Depth=4
	s_or_b32 exec_lo, exec_lo, s13
	v_lshrrev_b32_e32 v10, 21, v10
	s_delay_alu instid0(VALU_DEP_2) | instskip(SKIP_2) | instid1(VALU_DEP_2)
	v_cmp_gt_i32_e32 vcc_lo, 32, v9
	v_min_i32_e32 v11, 31, v9
	v_lshrrev_b32_e32 v8, 24, v8
	v_dual_cndmask_b32 v10, 3, v10 :: v_dual_lshlrev_b32 v11, 2, v11
	s_delay_alu instid0(VALU_DEP_2) | instskip(NEXT) | instid1(VALU_DEP_2)
	v_and_b32_e32 v8, 0x80, v8
	v_or_b32_e32 v9, v9, v10
	s_delay_alu instid0(VALU_DEP_3) | instskip(NEXT) | instid1(VALU_DEP_2)
	v_and_b32_e32 v11, 0xfc, v11
	v_cmp_ne_u32_e32 vcc_lo, 0, v9
	v_and_b32_e32 v12, 3, v10
	s_delay_alu instid0(VALU_DEP_1) | instskip(NEXT) | instid1(VALU_DEP_1)
	v_or3_b32 v8, v8, v11, v12
	v_lshlrev_b32_e32 v8, 8, v8
	s_delay_alu instid0(VALU_DEP_1)
	v_cndmask_b32_e32 v55, 0, v8, vcc_lo
.LBB6_4041:                             ;   in Loop: Header=BB6_3265 Depth=4
	s_or_b32 exec_lo, exec_lo, s35
.LBB6_4042:                             ;   in Loop: Header=BB6_3265 Depth=4
	s_delay_alu instid0(SALU_CYCLE_1)
	s_or_b32 exec_lo, exec_lo, s34
	s_clause 0x3
	global_load_b128 v[20:23], v[82:83], off slc dlc
	global_load_b128 v[16:19], v[82:83], off offset:512 slc dlc
	global_load_b128 v[12:15], v[82:83], off offset:1024 slc dlc
	global_load_b128 v[8:11], v[82:83], off offset:1536 slc dlc
	v_and_b32_e32 v27, 0xff, v151
	s_mov_b32 s13, 0
	s_mov_b32 s35, exec_lo
                                        ; implicit-def: $sgpr34
	s_delay_alu instid0(VALU_DEP_1)
	v_cmpx_lt_i16_e32 0x7f, v27
	s_xor_b32 s35, exec_lo, s35
	s_cbranch_execnz .LBB6_5320
; %bb.4043:                             ;   in Loop: Header=BB6_3265 Depth=4
	s_or_saveexec_b32 s35, s35
	v_mov_b32_e32 v26, s34
	s_xor_b32 exec_lo, exec_lo, s35
	s_cbranch_execnz .LBB6_5323
.LBB6_4044:                             ;   in Loop: Header=BB6_3265 Depth=4
	s_or_b32 exec_lo, exec_lo, s35
	s_and_saveexec_b32 s34, s13
	s_cbranch_execz .LBB6_4046
.LBB6_4045:                             ;   in Loop: Header=BB6_3265 Depth=4
	v_and_b32_e32 v26, 3, v151
	v_bfe_u32 v37, v151, 2, 5
	v_lshlrev_b32_e32 v38, 24, v151
	s_delay_alu instid0(VALU_DEP_3) | instskip(NEXT) | instid1(VALU_DEP_3)
	v_clz_i32_u32_e32 v27, v26
	v_cmp_eq_u32_e32 vcc_lo, 0, v37
	s_delay_alu instid0(VALU_DEP_2) | instskip(NEXT) | instid1(VALU_DEP_1)
	v_min_u32_e32 v27, 32, v27
	v_subrev_nc_u32_e32 v36, 29, v27
	v_sub_nc_u32_e32 v27, 30, v27
	s_delay_alu instid0(VALU_DEP_2) | instskip(NEXT) | instid1(VALU_DEP_1)
	v_lshlrev_b32_e32 v36, v36, v151
	v_dual_cndmask_b32 v27, v37, v27 :: v_dual_and_b32 v36, 3, v36
	s_delay_alu instid0(VALU_DEP_1) | instskip(NEXT) | instid1(VALU_DEP_2)
	v_lshl_add_u32 v27, v27, 23, 0x37800000
	v_cndmask_b32_e32 v26, v26, v36, vcc_lo
	v_and_b32_e32 v36, 0x80000000, v38
	s_delay_alu instid0(VALU_DEP_2) | instskip(NEXT) | instid1(VALU_DEP_1)
	v_lshlrev_b32_e32 v26, 21, v26
	v_or3_b32 v26, v36, v27, v26
.LBB6_4046:                             ;   in Loop: Header=BB6_3265 Depth=4
	s_or_b32 exec_lo, exec_lo, s34
	s_waitcnt vmcnt(3)
	v_and_b32_e32 v36, 0xff, v20
	s_mov_b32 s13, 0
	s_mov_b32 s35, exec_lo
                                        ; implicit-def: $sgpr34
	s_delay_alu instid0(VALU_DEP_1)
	v_cmpx_lt_i16_e32 0x7f, v36
	s_xor_b32 s35, exec_lo, s35
	s_cbranch_execnz .LBB6_5324
; %bb.4047:                             ;   in Loop: Header=BB6_3265 Depth=4
	s_or_saveexec_b32 s35, s35
	v_mov_b32_e32 v27, s34
	s_xor_b32 exec_lo, exec_lo, s35
	s_cbranch_execnz .LBB6_5327
.LBB6_4048:                             ;   in Loop: Header=BB6_3265 Depth=4
	s_or_b32 exec_lo, exec_lo, s35
	s_and_saveexec_b32 s34, s13
	s_cbranch_execz .LBB6_4050
.LBB6_4049:                             ;   in Loop: Header=BB6_3265 Depth=4
	v_and_b32_e32 v27, 3, v20
	v_bfe_u32 v38, v20, 2, 5
	v_lshlrev_b32_e32 v39, 24, v20
	s_delay_alu instid0(VALU_DEP_3) | instskip(NEXT) | instid1(VALU_DEP_3)
	v_clz_i32_u32_e32 v36, v27
	v_cmp_eq_u32_e32 vcc_lo, 0, v38
	s_delay_alu instid0(VALU_DEP_2) | instskip(NEXT) | instid1(VALU_DEP_1)
	v_min_u32_e32 v36, 32, v36
	v_subrev_nc_u32_e32 v37, 29, v36
	v_sub_nc_u32_e32 v36, 30, v36
	s_delay_alu instid0(VALU_DEP_2) | instskip(NEXT) | instid1(VALU_DEP_1)
	v_lshlrev_b32_e32 v37, v37, v20
	v_dual_cndmask_b32 v36, v38, v36 :: v_dual_and_b32 v37, 3, v37
	s_delay_alu instid0(VALU_DEP_1) | instskip(NEXT) | instid1(VALU_DEP_2)
	v_lshl_add_u32 v36, v36, 23, 0x37800000
	v_cndmask_b32_e32 v27, v27, v37, vcc_lo
	v_and_b32_e32 v37, 0x80000000, v39
	s_delay_alu instid0(VALU_DEP_2) | instskip(NEXT) | instid1(VALU_DEP_1)
	v_lshlrev_b32_e32 v27, 21, v27
	v_or3_b32 v27, v37, v36, v27
.LBB6_4050:                             ;   in Loop: Header=BB6_3265 Depth=4
	s_or_b32 exec_lo, exec_lo, s34
	s_delay_alu instid0(VALU_DEP_1) | instskip(SKIP_1) | instid1(VALU_DEP_1)
	v_dual_add_f32 v26, v26, v27 :: v_dual_mov_b32 v151, 0x80
	s_mov_b32 s34, exec_lo
	v_and_b32_e32 v27, 0x7f800000, v26
	s_delay_alu instid0(VALU_DEP_1)
	v_cmpx_ne_u32_e32 0x7f800000, v27
	s_cbranch_execz .LBB6_4058
; %bb.4051:                             ;   in Loop: Header=BB6_3265 Depth=4
	v_mov_b32_e32 v151, 0
	s_mov_b32 s35, exec_lo
	v_cmpx_ne_u32_e32 0, v26
	s_cbranch_execz .LBB6_4057
; %bb.4052:                             ;   in Loop: Header=BB6_3265 Depth=4
	v_bfe_u32 v27, v26, 23, 8
	s_delay_alu instid0(VALU_DEP_1) | instskip(SKIP_1) | instid1(VALU_DEP_2)
	v_sub_nc_u32_e32 v37, 0x70, v27
	v_cmp_gt_u32_e32 vcc_lo, 0x71, v27
	v_dual_cndmask_b32 v37, 0, v37 :: v_dual_and_b32 v36, 0x7fffff, v26
	s_delay_alu instid0(VALU_DEP_1) | instskip(SKIP_2) | instid1(VALU_DEP_4)
	v_or_b32_e32 v38, 0x800000, v36
	v_cmp_eq_u32_e32 vcc_lo, 0, v27
	v_add_nc_u32_e32 v27, 0xffffff91, v27
	v_cndmask_b32_e64 v37, v37, 0x6f, vcc_lo
	s_delay_alu instid0(VALU_DEP_4) | instskip(NEXT) | instid1(VALU_DEP_3)
	v_cndmask_b32_e32 v36, v38, v36, vcc_lo
	v_cndmask_b32_e64 v27, v27, 0xffffff92, vcc_lo
	s_delay_alu instid0(VALU_DEP_3) | instskip(NEXT) | instid1(VALU_DEP_3)
	v_lshl_add_u32 v38, 0x200000, v37, -1
	v_lshrrev_b32_e32 v39, v37, v36
	v_lshlrev_b32_e64 v49, v37, 0x100000
	s_delay_alu instid0(VALU_DEP_4) | instskip(NEXT) | instid1(VALU_DEP_4)
	v_add_nc_u32_e32 v37, v37, v27
	v_and_b32_e32 v36, v38, v36
	s_delay_alu instid0(VALU_DEP_4) | instskip(NEXT) | instid1(VALU_DEP_2)
	v_bfe_u32 v48, v39, 21, 1
	v_cmp_eq_u32_e64 s13, v36, v49
	s_delay_alu instid0(VALU_DEP_2) | instskip(NEXT) | instid1(VALU_DEP_1)
	v_add_nc_u32_e32 v38, -1, v48
	v_cndmask_b32_e64 v36, 0, v38, s13
	v_lshrrev_b32_e32 v38, 23, v39
	s_mov_b32 s13, exec_lo
	s_delay_alu instid0(VALU_DEP_2) | instskip(NEXT) | instid1(VALU_DEP_2)
	v_add_nc_u32_e32 v36, v36, v39
	v_xor_b32_e32 v38, 1, v38
	s_delay_alu instid0(VALU_DEP_2) | instskip(NEXT) | instid1(VALU_DEP_1)
	v_and_b32_e32 v27, 0x1fffff, v36
	v_add_nc_u32_e32 v36, v27, v39
                                        ; implicit-def: $vgpr27
	s_delay_alu instid0(VALU_DEP_3)
	v_cmpx_ne_u32_e64 v37, v38
	s_xor_b32 s13, exec_lo, s13
; %bb.4053:                             ;   in Loop: Header=BB6_3265 Depth=4
	s_delay_alu instid0(VALU_DEP_2) | instskip(SKIP_2) | instid1(VALU_DEP_2)
	v_cmp_lt_u32_e32 vcc_lo, 0xffffff, v36
	v_sub_nc_u32_e32 v27, v37, v38
	v_cndmask_b32_e64 v37, 0, 1, vcc_lo
	v_add_co_ci_u32_e32 v27, vcc_lo, 0, v27, vcc_lo
	s_delay_alu instid0(VALU_DEP_2)
	v_lshrrev_b32_e32 v36, v37, v36
; %bb.4054:                             ;   in Loop: Header=BB6_3265 Depth=4
	s_and_not1_saveexec_b32 s13, s13
; %bb.4055:                             ;   in Loop: Header=BB6_3265 Depth=4
	s_delay_alu instid0(VALU_DEP_1)
	v_bfe_u32 v27, v36, 23, 1
; %bb.4056:                             ;   in Loop: Header=BB6_3265 Depth=4
	s_or_b32 exec_lo, exec_lo, s13
	v_lshrrev_b32_e32 v36, 21, v36
	s_delay_alu instid0(VALU_DEP_2) | instskip(SKIP_2) | instid1(VALU_DEP_2)
	v_cmp_gt_i32_e32 vcc_lo, 32, v27
	v_min_i32_e32 v37, 31, v27
	v_lshrrev_b32_e32 v26, 24, v26
	v_dual_cndmask_b32 v36, 3, v36 :: v_dual_lshlrev_b32 v37, 2, v37
	s_delay_alu instid0(VALU_DEP_2) | instskip(NEXT) | instid1(VALU_DEP_2)
	v_and_b32_e32 v26, 0x80, v26
	v_or_b32_e32 v27, v27, v36
	s_delay_alu instid0(VALU_DEP_1) | instskip(SKIP_1) | instid1(VALU_DEP_1)
	v_cmp_ne_u32_e32 vcc_lo, 0, v27
	v_and_b32_e32 v38, 3, v36
	v_or3_b32 v26, v37, v26, v38
	s_delay_alu instid0(VALU_DEP_1)
	v_cndmask_b32_e32 v151, 0, v26, vcc_lo
.LBB6_4057:                             ;   in Loop: Header=BB6_3265 Depth=4
	s_or_b32 exec_lo, exec_lo, s35
.LBB6_4058:                             ;   in Loop: Header=BB6_3265 Depth=4
	s_delay_alu instid0(SALU_CYCLE_1) | instskip(SKIP_3) | instid1(VALU_DEP_1)
	s_or_b32 exec_lo, exec_lo, s34
	v_and_b32_e32 v27, 0xff, v161
	s_mov_b32 s13, 0
	s_mov_b32 s35, exec_lo
                                        ; implicit-def: $sgpr34
	v_cmpx_lt_i16_e32 0x7f, v27
	s_xor_b32 s35, exec_lo, s35
	s_cbranch_execnz .LBB6_5328
; %bb.4059:                             ;   in Loop: Header=BB6_3265 Depth=4
	s_or_saveexec_b32 s35, s35
	v_mov_b32_e32 v26, s34
	s_xor_b32 exec_lo, exec_lo, s35
	s_cbranch_execnz .LBB6_5331
.LBB6_4060:                             ;   in Loop: Header=BB6_3265 Depth=4
	s_or_b32 exec_lo, exec_lo, s35
	s_and_saveexec_b32 s34, s13
	s_cbranch_execz .LBB6_4062
.LBB6_4061:                             ;   in Loop: Header=BB6_3265 Depth=4
	v_bfe_u32 v37, v161, 2, 5
	v_lshlrev_b32_e32 v38, 24, v161
	s_delay_alu instid0(VALU_DEP_2) | instskip(SKIP_1) | instid1(VALU_DEP_1)
	v_cmp_eq_u32_e32 vcc_lo, 0, v37
	v_and_b32_e32 v26, 3, v161
	v_clz_i32_u32_e32 v27, v26
	s_delay_alu instid0(VALU_DEP_1) | instskip(NEXT) | instid1(VALU_DEP_1)
	v_min_u32_e32 v27, 32, v27
	v_subrev_nc_u32_e32 v36, 29, v27
	v_sub_nc_u32_e32 v27, 30, v27
	s_delay_alu instid0(VALU_DEP_1) | instskip(NEXT) | instid1(VALU_DEP_1)
	v_dual_cndmask_b32 v27, v37, v27 :: v_dual_lshlrev_b32 v36, v36, v161
	v_and_b32_e32 v36, 3, v36
	s_delay_alu instid0(VALU_DEP_2) | instskip(NEXT) | instid1(VALU_DEP_2)
	v_lshl_add_u32 v27, v27, 23, 0x37800000
	v_cndmask_b32_e32 v26, v26, v36, vcc_lo
	v_and_b32_e32 v36, 0x80000000, v38
	s_delay_alu instid0(VALU_DEP_2) | instskip(NEXT) | instid1(VALU_DEP_1)
	v_lshlrev_b32_e32 v26, 21, v26
	v_or3_b32 v26, v36, v27, v26
.LBB6_4062:                             ;   in Loop: Header=BB6_3265 Depth=4
	s_or_b32 exec_lo, exec_lo, s34
	v_lshrrev_b16 v27, 8, v20
	s_mov_b32 s13, 0
	s_mov_b32 s35, exec_lo
                                        ; implicit-def: $sgpr34
	s_delay_alu instid0(VALU_DEP_1)
	v_cmpx_lt_i16_e32 0x7f, v27
	s_xor_b32 s35, exec_lo, s35
	s_cbranch_execnz .LBB6_5332
; %bb.4063:                             ;   in Loop: Header=BB6_3265 Depth=4
	s_or_saveexec_b32 s35, s35
	v_mov_b32_e32 v36, s34
	s_xor_b32 exec_lo, exec_lo, s35
	s_cbranch_execnz .LBB6_5335
.LBB6_4064:                             ;   in Loop: Header=BB6_3265 Depth=4
	s_or_b32 exec_lo, exec_lo, s35
	s_and_saveexec_b32 s34, s13
	s_cbranch_execz .LBB6_4066
.LBB6_4065:                             ;   in Loop: Header=BB6_3265 Depth=4
	v_and_b32_e32 v36, 0xffff, v27
	v_lshlrev_b32_e32 v27, 24, v27
	s_delay_alu instid0(VALU_DEP_2) | instskip(NEXT) | instid1(VALU_DEP_2)
	v_and_b32_e32 v37, 3, v36
	v_and_b32_e32 v27, 0x80000000, v27
	s_delay_alu instid0(VALU_DEP_2) | instskip(NEXT) | instid1(VALU_DEP_1)
	v_clz_i32_u32_e32 v38, v37
	v_min_u32_e32 v38, 32, v38
	s_delay_alu instid0(VALU_DEP_1) | instskip(SKIP_1) | instid1(VALU_DEP_2)
	v_subrev_nc_u32_e32 v39, 29, v38
	v_sub_nc_u32_e32 v38, 30, v38
	v_lshlrev_b32_e32 v39, v39, v36
	v_bfe_u32 v36, v36, 2, 5
	s_delay_alu instid0(VALU_DEP_2) | instskip(NEXT) | instid1(VALU_DEP_2)
	v_and_b32_e32 v39, 3, v39
	v_cmp_eq_u32_e32 vcc_lo, 0, v36
	s_delay_alu instid0(VALU_DEP_2) | instskip(NEXT) | instid1(VALU_DEP_1)
	v_dual_cndmask_b32 v36, v36, v38 :: v_dual_cndmask_b32 v37, v37, v39
	v_lshl_add_u32 v36, v36, 23, 0x37800000
	s_delay_alu instid0(VALU_DEP_2) | instskip(NEXT) | instid1(VALU_DEP_1)
	v_lshlrev_b32_e32 v37, 21, v37
	v_or3_b32 v36, v27, v36, v37
.LBB6_4066:                             ;   in Loop: Header=BB6_3265 Depth=4
	s_or_b32 exec_lo, exec_lo, s34
	s_delay_alu instid0(VALU_DEP_1) | instskip(SKIP_1) | instid1(VALU_DEP_1)
	v_dual_add_f32 v26, v26, v36 :: v_dual_mov_b32 v161, 0x80
	s_mov_b32 s34, exec_lo
	v_and_b32_e32 v27, 0x7f800000, v26
	s_delay_alu instid0(VALU_DEP_1)
	v_cmpx_ne_u32_e32 0x7f800000, v27
	s_cbranch_execz .LBB6_4074
; %bb.4067:                             ;   in Loop: Header=BB6_3265 Depth=4
	v_mov_b32_e32 v161, 0
	s_mov_b32 s35, exec_lo
	v_cmpx_ne_u32_e32 0, v26
	s_cbranch_execz .LBB6_4073
; %bb.4068:                             ;   in Loop: Header=BB6_3265 Depth=4
	v_bfe_u32 v27, v26, 23, 8
	s_delay_alu instid0(VALU_DEP_1) | instskip(SKIP_1) | instid1(VALU_DEP_2)
	v_sub_nc_u32_e32 v37, 0x70, v27
	v_cmp_gt_u32_e32 vcc_lo, 0x71, v27
	v_dual_cndmask_b32 v37, 0, v37 :: v_dual_and_b32 v36, 0x7fffff, v26
	s_delay_alu instid0(VALU_DEP_1) | instskip(SKIP_2) | instid1(VALU_DEP_4)
	v_or_b32_e32 v38, 0x800000, v36
	v_cmp_eq_u32_e32 vcc_lo, 0, v27
	v_add_nc_u32_e32 v27, 0xffffff91, v27
	v_cndmask_b32_e64 v37, v37, 0x6f, vcc_lo
	s_delay_alu instid0(VALU_DEP_4) | instskip(NEXT) | instid1(VALU_DEP_3)
	v_cndmask_b32_e32 v36, v38, v36, vcc_lo
	v_cndmask_b32_e64 v27, v27, 0xffffff92, vcc_lo
	s_delay_alu instid0(VALU_DEP_3) | instskip(NEXT) | instid1(VALU_DEP_3)
	v_lshl_add_u32 v38, 0x200000, v37, -1
	v_lshrrev_b32_e32 v39, v37, v36
	v_lshlrev_b32_e64 v49, v37, 0x100000
	s_delay_alu instid0(VALU_DEP_4) | instskip(NEXT) | instid1(VALU_DEP_4)
	v_add_nc_u32_e32 v37, v37, v27
	v_and_b32_e32 v36, v38, v36
	s_delay_alu instid0(VALU_DEP_4) | instskip(NEXT) | instid1(VALU_DEP_2)
	v_bfe_u32 v48, v39, 21, 1
	v_cmp_eq_u32_e64 s13, v36, v49
	s_delay_alu instid0(VALU_DEP_2) | instskip(NEXT) | instid1(VALU_DEP_1)
	v_add_nc_u32_e32 v38, -1, v48
	v_cndmask_b32_e64 v36, 0, v38, s13
	v_lshrrev_b32_e32 v38, 23, v39
	s_mov_b32 s13, exec_lo
	s_delay_alu instid0(VALU_DEP_2) | instskip(NEXT) | instid1(VALU_DEP_2)
	v_add_nc_u32_e32 v36, v36, v39
	v_xor_b32_e32 v38, 1, v38
	s_delay_alu instid0(VALU_DEP_2) | instskip(NEXT) | instid1(VALU_DEP_1)
	v_and_b32_e32 v27, 0x1fffff, v36
	v_add_nc_u32_e32 v36, v27, v39
                                        ; implicit-def: $vgpr27
	s_delay_alu instid0(VALU_DEP_3)
	v_cmpx_ne_u32_e64 v37, v38
	s_xor_b32 s13, exec_lo, s13
; %bb.4069:                             ;   in Loop: Header=BB6_3265 Depth=4
	s_delay_alu instid0(VALU_DEP_2) | instskip(SKIP_2) | instid1(VALU_DEP_2)
	v_cmp_lt_u32_e32 vcc_lo, 0xffffff, v36
	v_sub_nc_u32_e32 v27, v37, v38
	v_cndmask_b32_e64 v37, 0, 1, vcc_lo
	v_add_co_ci_u32_e32 v27, vcc_lo, 0, v27, vcc_lo
	s_delay_alu instid0(VALU_DEP_2)
	v_lshrrev_b32_e32 v36, v37, v36
; %bb.4070:                             ;   in Loop: Header=BB6_3265 Depth=4
	s_and_not1_saveexec_b32 s13, s13
; %bb.4071:                             ;   in Loop: Header=BB6_3265 Depth=4
	s_delay_alu instid0(VALU_DEP_1)
	v_bfe_u32 v27, v36, 23, 1
; %bb.4072:                             ;   in Loop: Header=BB6_3265 Depth=4
	s_or_b32 exec_lo, exec_lo, s13
	v_lshrrev_b32_e32 v36, 21, v36
	s_delay_alu instid0(VALU_DEP_2) | instskip(SKIP_2) | instid1(VALU_DEP_2)
	v_cmp_gt_i32_e32 vcc_lo, 32, v27
	v_min_i32_e32 v37, 31, v27
	v_lshrrev_b32_e32 v26, 24, v26
	v_dual_cndmask_b32 v36, 3, v36 :: v_dual_lshlrev_b32 v37, 2, v37
	s_delay_alu instid0(VALU_DEP_2) | instskip(NEXT) | instid1(VALU_DEP_2)
	v_and_b32_e32 v26, 0x80, v26
	v_or_b32_e32 v27, v27, v36
	s_delay_alu instid0(VALU_DEP_1) | instskip(SKIP_1) | instid1(VALU_DEP_1)
	v_cmp_ne_u32_e32 vcc_lo, 0, v27
	v_and_b32_e32 v38, 3, v36
	v_or3_b32 v26, v37, v26, v38
	s_delay_alu instid0(VALU_DEP_1)
	v_cndmask_b32_e32 v161, 0, v26, vcc_lo
.LBB6_4073:                             ;   in Loop: Header=BB6_3265 Depth=4
	s_or_b32 exec_lo, exec_lo, s35
.LBB6_4074:                             ;   in Loop: Header=BB6_3265 Depth=4
	s_delay_alu instid0(SALU_CYCLE_1) | instskip(SKIP_3) | instid1(VALU_DEP_1)
	s_or_b32 exec_lo, exec_lo, s34
	v_and_b32_e32 v27, 0xff, v176
	s_mov_b32 s13, 0
	s_mov_b32 s35, exec_lo
                                        ; implicit-def: $sgpr34
	v_cmpx_lt_i16_e32 0x7f, v27
	s_xor_b32 s35, exec_lo, s35
	s_cbranch_execnz .LBB6_5336
; %bb.4075:                             ;   in Loop: Header=BB6_3265 Depth=4
	s_or_saveexec_b32 s35, s35
	v_mov_b32_e32 v26, s34
	s_xor_b32 exec_lo, exec_lo, s35
	s_cbranch_execnz .LBB6_5339
.LBB6_4076:                             ;   in Loop: Header=BB6_3265 Depth=4
	s_or_b32 exec_lo, exec_lo, s35
	s_and_saveexec_b32 s34, s13
	s_cbranch_execz .LBB6_4078
.LBB6_4077:                             ;   in Loop: Header=BB6_3265 Depth=4
	v_bfe_u32 v37, v176, 2, 5
	v_lshlrev_b32_e32 v38, 24, v176
	s_delay_alu instid0(VALU_DEP_2) | instskip(SKIP_1) | instid1(VALU_DEP_1)
	v_cmp_eq_u32_e32 vcc_lo, 0, v37
	v_and_b32_e32 v26, 3, v176
	v_clz_i32_u32_e32 v27, v26
	s_delay_alu instid0(VALU_DEP_1) | instskip(NEXT) | instid1(VALU_DEP_1)
	v_min_u32_e32 v27, 32, v27
	v_subrev_nc_u32_e32 v36, 29, v27
	v_sub_nc_u32_e32 v27, 30, v27
	s_delay_alu instid0(VALU_DEP_1) | instskip(NEXT) | instid1(VALU_DEP_1)
	v_dual_cndmask_b32 v27, v37, v27 :: v_dual_lshlrev_b32 v36, v36, v176
	v_and_b32_e32 v36, 3, v36
	s_delay_alu instid0(VALU_DEP_2) | instskip(NEXT) | instid1(VALU_DEP_2)
	v_lshl_add_u32 v27, v27, 23, 0x37800000
	v_cndmask_b32_e32 v26, v26, v36, vcc_lo
	v_and_b32_e32 v36, 0x80000000, v38
	s_delay_alu instid0(VALU_DEP_2) | instskip(NEXT) | instid1(VALU_DEP_1)
	v_lshlrev_b32_e32 v26, 21, v26
	v_or3_b32 v26, v36, v27, v26
.LBB6_4078:                             ;   in Loop: Header=BB6_3265 Depth=4
	s_or_b32 exec_lo, exec_lo, s34
	v_lshrrev_b32_e32 v27, 16, v20
	s_mov_b32 s13, 0
	s_mov_b32 s35, exec_lo
                                        ; implicit-def: $sgpr34
	s_delay_alu instid0(VALU_DEP_1) | instskip(NEXT) | instid1(VALU_DEP_1)
	v_and_b32_e32 v37, 0xff, v27
	v_cmpx_lt_i16_e32 0x7f, v37
	s_xor_b32 s35, exec_lo, s35
	s_cbranch_execnz .LBB6_5340
; %bb.4079:                             ;   in Loop: Header=BB6_3265 Depth=4
	s_or_saveexec_b32 s35, s35
	v_mov_b32_e32 v36, s34
	s_xor_b32 exec_lo, exec_lo, s35
	s_cbranch_execnz .LBB6_5343
.LBB6_4080:                             ;   in Loop: Header=BB6_3265 Depth=4
	s_or_b32 exec_lo, exec_lo, s35
	s_and_saveexec_b32 s34, s13
	s_cbranch_execz .LBB6_4082
.LBB6_4081:                             ;   in Loop: Header=BB6_3265 Depth=4
	v_bfe_u32 v36, v20, 16, 2
	v_lshlrev_b32_e32 v39, 8, v20
	s_delay_alu instid0(VALU_DEP_2) | instskip(NEXT) | instid1(VALU_DEP_1)
	v_clz_i32_u32_e32 v37, v36
	v_min_u32_e32 v37, 32, v37
	s_delay_alu instid0(VALU_DEP_1) | instskip(SKIP_1) | instid1(VALU_DEP_2)
	v_subrev_nc_u32_e32 v38, 29, v37
	v_sub_nc_u32_e32 v37, 30, v37
	v_lshlrev_b32_e32 v27, v38, v27
	v_bfe_u32 v38, v20, 18, 5
	s_delay_alu instid0(VALU_DEP_2) | instskip(NEXT) | instid1(VALU_DEP_2)
	v_and_b32_e32 v27, 3, v27
	v_cmp_eq_u32_e32 vcc_lo, 0, v38
	v_cndmask_b32_e32 v37, v38, v37, vcc_lo
	s_delay_alu instid0(VALU_DEP_3) | instskip(SKIP_1) | instid1(VALU_DEP_3)
	v_cndmask_b32_e32 v27, v36, v27, vcc_lo
	v_and_b32_e32 v36, 0x80000000, v39
	v_lshl_add_u32 v37, v37, 23, 0x37800000
	s_delay_alu instid0(VALU_DEP_3) | instskip(NEXT) | instid1(VALU_DEP_1)
	v_lshlrev_b32_e32 v27, 21, v27
	v_or3_b32 v36, v36, v37, v27
.LBB6_4082:                             ;   in Loop: Header=BB6_3265 Depth=4
	s_or_b32 exec_lo, exec_lo, s34
	s_delay_alu instid0(VALU_DEP_1) | instskip(SKIP_2) | instid1(VALU_DEP_2)
	v_add_f32_e32 v26, v26, v36
	v_mov_b32_e32 v176, 0x80
	s_mov_b32 s34, exec_lo
	v_and_b32_e32 v27, 0x7f800000, v26
	s_delay_alu instid0(VALU_DEP_1)
	v_cmpx_ne_u32_e32 0x7f800000, v27
	s_cbranch_execz .LBB6_4090
; %bb.4083:                             ;   in Loop: Header=BB6_3265 Depth=4
	v_mov_b32_e32 v176, 0
	s_mov_b32 s35, exec_lo
	v_cmpx_ne_u32_e32 0, v26
	s_cbranch_execz .LBB6_4089
; %bb.4084:                             ;   in Loop: Header=BB6_3265 Depth=4
	v_bfe_u32 v27, v26, 23, 8
	s_delay_alu instid0(VALU_DEP_1) | instskip(SKIP_1) | instid1(VALU_DEP_2)
	v_sub_nc_u32_e32 v37, 0x70, v27
	v_cmp_gt_u32_e32 vcc_lo, 0x71, v27
	v_dual_cndmask_b32 v37, 0, v37 :: v_dual_and_b32 v36, 0x7fffff, v26
	s_delay_alu instid0(VALU_DEP_1) | instskip(SKIP_2) | instid1(VALU_DEP_4)
	v_or_b32_e32 v38, 0x800000, v36
	v_cmp_eq_u32_e32 vcc_lo, 0, v27
	v_add_nc_u32_e32 v27, 0xffffff91, v27
	v_cndmask_b32_e64 v37, v37, 0x6f, vcc_lo
	s_delay_alu instid0(VALU_DEP_4) | instskip(NEXT) | instid1(VALU_DEP_3)
	v_cndmask_b32_e32 v36, v38, v36, vcc_lo
	v_cndmask_b32_e64 v27, v27, 0xffffff92, vcc_lo
	s_delay_alu instid0(VALU_DEP_3) | instskip(NEXT) | instid1(VALU_DEP_3)
	v_lshl_add_u32 v38, 0x200000, v37, -1
	v_lshrrev_b32_e32 v39, v37, v36
	v_lshlrev_b32_e64 v49, v37, 0x100000
	s_delay_alu instid0(VALU_DEP_4) | instskip(NEXT) | instid1(VALU_DEP_4)
	v_add_nc_u32_e32 v37, v37, v27
	v_and_b32_e32 v36, v38, v36
	s_delay_alu instid0(VALU_DEP_4) | instskip(NEXT) | instid1(VALU_DEP_2)
	v_bfe_u32 v48, v39, 21, 1
	v_cmp_eq_u32_e64 s13, v36, v49
	s_delay_alu instid0(VALU_DEP_2) | instskip(NEXT) | instid1(VALU_DEP_1)
	v_add_nc_u32_e32 v38, -1, v48
	v_cndmask_b32_e64 v36, 0, v38, s13
	v_lshrrev_b32_e32 v38, 23, v39
	s_mov_b32 s13, exec_lo
	s_delay_alu instid0(VALU_DEP_2) | instskip(NEXT) | instid1(VALU_DEP_2)
	v_add_nc_u32_e32 v36, v36, v39
	v_xor_b32_e32 v38, 1, v38
	s_delay_alu instid0(VALU_DEP_2) | instskip(NEXT) | instid1(VALU_DEP_1)
	v_and_b32_e32 v27, 0x1fffff, v36
	v_add_nc_u32_e32 v36, v27, v39
                                        ; implicit-def: $vgpr27
	s_delay_alu instid0(VALU_DEP_3)
	v_cmpx_ne_u32_e64 v37, v38
	s_xor_b32 s13, exec_lo, s13
; %bb.4085:                             ;   in Loop: Header=BB6_3265 Depth=4
	s_delay_alu instid0(VALU_DEP_2) | instskip(SKIP_2) | instid1(VALU_DEP_2)
	v_cmp_lt_u32_e32 vcc_lo, 0xffffff, v36
	v_sub_nc_u32_e32 v27, v37, v38
	v_cndmask_b32_e64 v37, 0, 1, vcc_lo
	v_add_co_ci_u32_e32 v27, vcc_lo, 0, v27, vcc_lo
	s_delay_alu instid0(VALU_DEP_2)
	v_lshrrev_b32_e32 v36, v37, v36
; %bb.4086:                             ;   in Loop: Header=BB6_3265 Depth=4
	s_and_not1_saveexec_b32 s13, s13
; %bb.4087:                             ;   in Loop: Header=BB6_3265 Depth=4
	s_delay_alu instid0(VALU_DEP_1)
	v_bfe_u32 v27, v36, 23, 1
; %bb.4088:                             ;   in Loop: Header=BB6_3265 Depth=4
	s_or_b32 exec_lo, exec_lo, s13
	v_lshrrev_b32_e32 v36, 21, v36
	s_delay_alu instid0(VALU_DEP_2) | instskip(SKIP_2) | instid1(VALU_DEP_4)
	v_cmp_gt_i32_e32 vcc_lo, 32, v27
	v_lshrrev_b32_e32 v26, 24, v26
	v_min_i32_e32 v37, 31, v27
	v_cndmask_b32_e32 v36, 3, v36, vcc_lo
	s_delay_alu instid0(VALU_DEP_3) | instskip(NEXT) | instid1(VALU_DEP_3)
	v_and_b32_e32 v26, 0x80, v26
	v_lshlrev_b32_e32 v37, 2, v37
	s_delay_alu instid0(VALU_DEP_3) | instskip(SKIP_1) | instid1(VALU_DEP_2)
	v_and_b32_e32 v38, 3, v36
	v_or_b32_e32 v27, v27, v36
	v_or3_b32 v26, v37, v26, v38
	s_delay_alu instid0(VALU_DEP_2) | instskip(NEXT) | instid1(VALU_DEP_2)
	v_cmp_ne_u32_e32 vcc_lo, 0, v27
	v_cndmask_b32_e32 v176, 0, v26, vcc_lo
.LBB6_4089:                             ;   in Loop: Header=BB6_3265 Depth=4
	s_or_b32 exec_lo, exec_lo, s35
.LBB6_4090:                             ;   in Loop: Header=BB6_3265 Depth=4
	s_delay_alu instid0(SALU_CYCLE_1) | instskip(SKIP_3) | instid1(VALU_DEP_1)
	s_or_b32 exec_lo, exec_lo, s34
	v_and_b32_e32 v27, 0xff, v43
	s_mov_b32 s13, 0
	s_mov_b32 s35, exec_lo
                                        ; implicit-def: $sgpr34
	v_cmpx_lt_i16_e32 0x7f, v27
	s_xor_b32 s35, exec_lo, s35
	s_cbranch_execnz .LBB6_5344
; %bb.4091:                             ;   in Loop: Header=BB6_3265 Depth=4
	s_or_saveexec_b32 s35, s35
	v_mov_b32_e32 v26, s34
	s_xor_b32 exec_lo, exec_lo, s35
	s_cbranch_execnz .LBB6_5347
.LBB6_4092:                             ;   in Loop: Header=BB6_3265 Depth=4
	s_or_b32 exec_lo, exec_lo, s35
	s_and_saveexec_b32 s34, s13
	s_cbranch_execz .LBB6_4094
.LBB6_4093:                             ;   in Loop: Header=BB6_3265 Depth=4
	v_lshlrev_b32_e32 v26, 8, v43
	s_delay_alu instid0(VALU_DEP_1) | instskip(SKIP_1) | instid1(VALU_DEP_2)
	v_and_b32_e32 v36, 0xff00, v26
	v_bfe_u32 v26, v26, 10, 5
	v_bfe_u32 v37, v36, 8, 2
	s_delay_alu instid0(VALU_DEP_2) | instskip(NEXT) | instid1(VALU_DEP_2)
	v_cmp_eq_u32_e32 vcc_lo, 0, v26
	v_clz_i32_u32_e32 v38, v37
	s_delay_alu instid0(VALU_DEP_1) | instskip(NEXT) | instid1(VALU_DEP_1)
	v_min_u32_e32 v38, 32, v38
	v_subrev_nc_u32_e32 v39, 29, v38
	v_sub_nc_u32_e32 v38, 30, v38
	s_delay_alu instid0(VALU_DEP_1) | instskip(NEXT) | instid1(VALU_DEP_1)
	v_dual_cndmask_b32 v26, v26, v38 :: v_dual_lshlrev_b32 v27, v39, v27
	v_and_b32_e32 v27, 3, v27
	s_delay_alu instid0(VALU_DEP_2) | instskip(NEXT) | instid1(VALU_DEP_2)
	v_lshl_add_u32 v26, v26, 23, 0x37800000
	v_dual_cndmask_b32 v27, v37, v27 :: v_dual_lshlrev_b32 v36, 16, v36
	s_delay_alu instid0(VALU_DEP_1) | instskip(NEXT) | instid1(VALU_DEP_2)
	v_lshlrev_b32_e32 v27, 21, v27
	v_and_b32_e32 v36, 0x80000000, v36
	s_delay_alu instid0(VALU_DEP_1)
	v_or3_b32 v26, v36, v26, v27
.LBB6_4094:                             ;   in Loop: Header=BB6_3265 Depth=4
	s_or_b32 exec_lo, exec_lo, s34
	v_lshrrev_b32_e32 v27, 24, v20
	s_mov_b32 s13, 0
	s_mov_b32 s35, exec_lo
                                        ; implicit-def: $sgpr34
	s_delay_alu instid0(VALU_DEP_1)
	v_cmpx_lt_i16_e32 0x7f, v27
	s_xor_b32 s35, exec_lo, s35
	s_cbranch_execnz .LBB6_5348
; %bb.4095:                             ;   in Loop: Header=BB6_3265 Depth=4
	s_or_saveexec_b32 s35, s35
	v_mov_b32_e32 v36, s34
	s_xor_b32 exec_lo, exec_lo, s35
	s_cbranch_execnz .LBB6_5351
.LBB6_4096:                             ;   in Loop: Header=BB6_3265 Depth=4
	s_or_b32 exec_lo, exec_lo, s35
	s_and_saveexec_b32 s34, s13
	s_cbranch_execz .LBB6_4098
.LBB6_4097:                             ;   in Loop: Header=BB6_3265 Depth=4
	v_bfe_u32 v36, v20, 24, 2
	s_delay_alu instid0(VALU_DEP_1) | instskip(NEXT) | instid1(VALU_DEP_1)
	v_clz_i32_u32_e32 v37, v36
	v_min_u32_e32 v37, 32, v37
	s_delay_alu instid0(VALU_DEP_1) | instskip(SKIP_1) | instid1(VALU_DEP_2)
	v_subrev_nc_u32_e32 v38, 29, v37
	v_sub_nc_u32_e32 v37, 30, v37
	v_lshlrev_b32_e32 v27, v38, v27
	v_bfe_u32 v38, v20, 26, 5
	v_and_b32_e32 v20, 0x80000000, v20
	s_delay_alu instid0(VALU_DEP_3) | instskip(NEXT) | instid1(VALU_DEP_3)
	v_and_b32_e32 v27, 3, v27
	v_cmp_eq_u32_e32 vcc_lo, 0, v38
	v_cndmask_b32_e32 v37, v38, v37, vcc_lo
	s_delay_alu instid0(VALU_DEP_3) | instskip(NEXT) | instid1(VALU_DEP_2)
	v_cndmask_b32_e32 v27, v36, v27, vcc_lo
	v_lshl_add_u32 v36, v37, 23, 0x37800000
	s_delay_alu instid0(VALU_DEP_2) | instskip(NEXT) | instid1(VALU_DEP_1)
	v_lshlrev_b32_e32 v27, 21, v27
	v_or3_b32 v36, v20, v36, v27
.LBB6_4098:                             ;   in Loop: Header=BB6_3265 Depth=4
	s_or_b32 exec_lo, exec_lo, s34
	s_delay_alu instid0(VALU_DEP_1) | instskip(NEXT) | instid1(VALU_DEP_1)
	v_add_f32_e32 v26, v26, v36
	v_and_b32_e32 v20, 0x7f800000, v26
	s_delay_alu instid0(VALU_DEP_1)
	v_cmp_ne_u32_e32 vcc_lo, 0x7f800000, v20
	v_mov_b32_e32 v20, 0x80
	s_and_saveexec_b32 s34, vcc_lo
	s_cbranch_execz .LBB6_4106
; %bb.4099:                             ;   in Loop: Header=BB6_3265 Depth=4
	v_mov_b32_e32 v20, 0
	s_mov_b32 s35, exec_lo
	v_cmpx_ne_u32_e32 0, v26
	s_cbranch_execz .LBB6_4105
; %bb.4100:                             ;   in Loop: Header=BB6_3265 Depth=4
	v_bfe_u32 v20, v26, 23, 8
	s_delay_alu instid0(VALU_DEP_1) | instskip(SKIP_1) | instid1(VALU_DEP_2)
	v_sub_nc_u32_e32 v36, 0x70, v20
	v_cmp_gt_u32_e32 vcc_lo, 0x71, v20
	v_dual_cndmask_b32 v36, 0, v36 :: v_dual_and_b32 v27, 0x7fffff, v26
	s_delay_alu instid0(VALU_DEP_1) | instskip(SKIP_2) | instid1(VALU_DEP_4)
	v_or_b32_e32 v37, 0x800000, v27
	v_cmp_eq_u32_e32 vcc_lo, 0, v20
	v_add_nc_u32_e32 v20, 0xffffff91, v20
	v_cndmask_b32_e64 v36, v36, 0x6f, vcc_lo
	s_delay_alu instid0(VALU_DEP_4) | instskip(NEXT) | instid1(VALU_DEP_3)
	v_cndmask_b32_e32 v27, v37, v27, vcc_lo
	v_cndmask_b32_e64 v20, v20, 0xffffff92, vcc_lo
	s_delay_alu instid0(VALU_DEP_3) | instskip(NEXT) | instid1(VALU_DEP_3)
	v_lshl_add_u32 v37, 0x200000, v36, -1
	v_lshrrev_b32_e32 v38, v36, v27
	v_lshlrev_b32_e64 v48, v36, 0x100000
	s_delay_alu instid0(VALU_DEP_4) | instskip(NEXT) | instid1(VALU_DEP_4)
	v_add_nc_u32_e32 v36, v36, v20
	v_and_b32_e32 v27, v37, v27
	s_delay_alu instid0(VALU_DEP_4) | instskip(NEXT) | instid1(VALU_DEP_2)
	v_bfe_u32 v39, v38, 21, 1
	v_cmp_eq_u32_e64 s13, v27, v48
	s_delay_alu instid0(VALU_DEP_2) | instskip(NEXT) | instid1(VALU_DEP_1)
	v_add_nc_u32_e32 v37, -1, v39
	v_cndmask_b32_e64 v27, 0, v37, s13
	v_lshrrev_b32_e32 v37, 23, v38
	s_mov_b32 s13, exec_lo
	s_delay_alu instid0(VALU_DEP_2) | instskip(NEXT) | instid1(VALU_DEP_2)
	v_add_nc_u32_e32 v27, v27, v38
	v_xor_b32_e32 v37, 1, v37
	s_delay_alu instid0(VALU_DEP_2) | instskip(NEXT) | instid1(VALU_DEP_1)
	v_and_b32_e32 v20, 0x1fffff, v27
	v_add_nc_u32_e32 v27, v20, v38
                                        ; implicit-def: $vgpr20
	s_delay_alu instid0(VALU_DEP_3)
	v_cmpx_ne_u32_e64 v36, v37
	s_xor_b32 s13, exec_lo, s13
; %bb.4101:                             ;   in Loop: Header=BB6_3265 Depth=4
	s_delay_alu instid0(VALU_DEP_2) | instskip(SKIP_2) | instid1(VALU_DEP_2)
	v_cmp_lt_u32_e32 vcc_lo, 0xffffff, v27
	v_sub_nc_u32_e32 v20, v36, v37
	v_cndmask_b32_e64 v36, 0, 1, vcc_lo
	v_add_co_ci_u32_e32 v20, vcc_lo, 0, v20, vcc_lo
	s_delay_alu instid0(VALU_DEP_2)
	v_lshrrev_b32_e32 v27, v36, v27
; %bb.4102:                             ;   in Loop: Header=BB6_3265 Depth=4
	s_and_not1_saveexec_b32 s13, s13
; %bb.4103:                             ;   in Loop: Header=BB6_3265 Depth=4
	s_delay_alu instid0(VALU_DEP_1)
	v_bfe_u32 v20, v27, 23, 1
; %bb.4104:                             ;   in Loop: Header=BB6_3265 Depth=4
	s_or_b32 exec_lo, exec_lo, s13
	v_lshrrev_b32_e32 v27, 21, v27
	s_delay_alu instid0(VALU_DEP_2) | instskip(SKIP_2) | instid1(VALU_DEP_2)
	v_cmp_gt_i32_e32 vcc_lo, 32, v20
	v_lshrrev_b32_e32 v26, 24, v26
	v_min_i32_e32 v36, 31, v20
	v_dual_cndmask_b32 v27, 3, v27 :: v_dual_and_b32 v26, 0x80, v26
	s_delay_alu instid0(VALU_DEP_2) | instskip(NEXT) | instid1(VALU_DEP_2)
	v_lshlrev_b32_e32 v36, 2, v36
	v_or_b32_e32 v20, v20, v27
	s_delay_alu instid0(VALU_DEP_1) | instskip(SKIP_1) | instid1(VALU_DEP_1)
	v_cmp_ne_u32_e32 vcc_lo, 0, v20
	v_and_b32_e32 v37, 3, v27
	v_or3_b32 v26, v36, v26, v37
	s_delay_alu instid0(VALU_DEP_1)
	v_cndmask_b32_e32 v20, 0, v26, vcc_lo
.LBB6_4105:                             ;   in Loop: Header=BB6_3265 Depth=4
	s_or_b32 exec_lo, exec_lo, s35
.LBB6_4106:                             ;   in Loop: Header=BB6_3265 Depth=4
	s_delay_alu instid0(SALU_CYCLE_1) | instskip(SKIP_3) | instid1(VALU_DEP_1)
	s_or_b32 exec_lo, exec_lo, s34
	v_or_b32_e32 v26, v126, v183
	s_mov_b32 s13, 0
	s_mov_b32 s35, exec_lo
                                        ; implicit-def: $sgpr34
	v_and_b32_e32 v36, 0xff, v26
	s_delay_alu instid0(VALU_DEP_1)
	v_cmpx_lt_i16_e32 0x7f, v36
	s_xor_b32 s35, exec_lo, s35
	s_cbranch_execnz .LBB6_5352
; %bb.4107:                             ;   in Loop: Header=BB6_3265 Depth=4
	s_or_saveexec_b32 s35, s35
	v_mov_b32_e32 v27, s34
	s_xor_b32 exec_lo, exec_lo, s35
	s_cbranch_execnz .LBB6_5355
.LBB6_4108:                             ;   in Loop: Header=BB6_3265 Depth=4
	s_or_b32 exec_lo, exec_lo, s35
	s_and_saveexec_b32 s34, s13
	s_cbranch_execz .LBB6_4110
.LBB6_4109:                             ;   in Loop: Header=BB6_3265 Depth=4
	v_bfe_u32 v38, v26, 2, 5
	v_lshlrev_b32_e32 v39, 24, v26
	s_delay_alu instid0(VALU_DEP_2) | instskip(SKIP_1) | instid1(VALU_DEP_1)
	v_cmp_eq_u32_e32 vcc_lo, 0, v38
	v_and_b32_e32 v27, 3, v26
	v_clz_i32_u32_e32 v36, v27
	s_delay_alu instid0(VALU_DEP_1) | instskip(NEXT) | instid1(VALU_DEP_1)
	v_min_u32_e32 v36, 32, v36
	v_subrev_nc_u32_e32 v37, 29, v36
	v_sub_nc_u32_e32 v36, 30, v36
	s_delay_alu instid0(VALU_DEP_1) | instskip(NEXT) | instid1(VALU_DEP_1)
	v_dual_cndmask_b32 v36, v38, v36 :: v_dual_lshlrev_b32 v37, v37, v26
	v_and_b32_e32 v37, 3, v37
	s_delay_alu instid0(VALU_DEP_2) | instskip(NEXT) | instid1(VALU_DEP_2)
	v_lshl_add_u32 v36, v36, 23, 0x37800000
	v_cndmask_b32_e32 v27, v27, v37, vcc_lo
	v_and_b32_e32 v37, 0x80000000, v39
	s_delay_alu instid0(VALU_DEP_2) | instskip(NEXT) | instid1(VALU_DEP_1)
	v_lshlrev_b32_e32 v27, 21, v27
	v_or3_b32 v27, v37, v36, v27
.LBB6_4110:                             ;   in Loop: Header=BB6_3265 Depth=4
	s_or_b32 exec_lo, exec_lo, s34
	v_and_b32_e32 v37, 0xff, v21
	s_mov_b32 s13, 0
	s_mov_b32 s35, exec_lo
                                        ; implicit-def: $sgpr34
	s_delay_alu instid0(VALU_DEP_1)
	v_cmpx_lt_i16_e32 0x7f, v37
	s_xor_b32 s35, exec_lo, s35
	s_cbranch_execnz .LBB6_5356
; %bb.4111:                             ;   in Loop: Header=BB6_3265 Depth=4
	s_or_saveexec_b32 s35, s35
	v_mov_b32_e32 v36, s34
	s_xor_b32 exec_lo, exec_lo, s35
	s_cbranch_execnz .LBB6_5359
.LBB6_4112:                             ;   in Loop: Header=BB6_3265 Depth=4
	s_or_b32 exec_lo, exec_lo, s35
	s_and_saveexec_b32 s34, s13
	s_cbranch_execz .LBB6_4114
.LBB6_4113:                             ;   in Loop: Header=BB6_3265 Depth=4
	v_and_b32_e32 v36, 3, v21
	v_bfe_u32 v39, v21, 2, 5
	v_lshlrev_b32_e32 v48, 24, v21
	s_delay_alu instid0(VALU_DEP_3) | instskip(NEXT) | instid1(VALU_DEP_3)
	v_clz_i32_u32_e32 v37, v36
	v_cmp_eq_u32_e32 vcc_lo, 0, v39
	s_delay_alu instid0(VALU_DEP_2) | instskip(NEXT) | instid1(VALU_DEP_1)
	v_min_u32_e32 v37, 32, v37
	v_subrev_nc_u32_e32 v38, 29, v37
	v_sub_nc_u32_e32 v37, 30, v37
	s_delay_alu instid0(VALU_DEP_2) | instskip(NEXT) | instid1(VALU_DEP_1)
	v_lshlrev_b32_e32 v38, v38, v21
	v_dual_cndmask_b32 v37, v39, v37 :: v_dual_and_b32 v38, 3, v38
	s_delay_alu instid0(VALU_DEP_1) | instskip(NEXT) | instid1(VALU_DEP_2)
	v_lshl_add_u32 v37, v37, 23, 0x37800000
	v_cndmask_b32_e32 v36, v36, v38, vcc_lo
	v_and_b32_e32 v38, 0x80000000, v48
	s_delay_alu instid0(VALU_DEP_2) | instskip(NEXT) | instid1(VALU_DEP_1)
	v_lshlrev_b32_e32 v36, 21, v36
	v_or3_b32 v36, v38, v37, v36
.LBB6_4114:                             ;   in Loop: Header=BB6_3265 Depth=4
	s_or_b32 exec_lo, exec_lo, s34
	s_delay_alu instid0(VALU_DEP_1) | instskip(SKIP_2) | instid1(VALU_DEP_2)
	v_add_f32_e32 v27, v27, v36
	v_mov_b32_e32 v183, 0x80
	s_mov_b32 s34, exec_lo
	v_and_b32_e32 v36, 0x7f800000, v27
	s_delay_alu instid0(VALU_DEP_1)
	v_cmpx_ne_u32_e32 0x7f800000, v36
	s_cbranch_execz .LBB6_4122
; %bb.4115:                             ;   in Loop: Header=BB6_3265 Depth=4
	v_mov_b32_e32 v183, 0
	s_mov_b32 s35, exec_lo
	v_cmpx_ne_u32_e32 0, v27
	s_cbranch_execz .LBB6_4121
; %bb.4116:                             ;   in Loop: Header=BB6_3265 Depth=4
	v_bfe_u32 v36, v27, 23, 8
	s_delay_alu instid0(VALU_DEP_1) | instskip(SKIP_1) | instid1(VALU_DEP_2)
	v_sub_nc_u32_e32 v38, 0x70, v36
	v_cmp_gt_u32_e32 vcc_lo, 0x71, v36
	v_dual_cndmask_b32 v38, 0, v38 :: v_dual_and_b32 v37, 0x7fffff, v27
	s_delay_alu instid0(VALU_DEP_1) | instskip(SKIP_2) | instid1(VALU_DEP_4)
	v_or_b32_e32 v39, 0x800000, v37
	v_cmp_eq_u32_e32 vcc_lo, 0, v36
	v_add_nc_u32_e32 v36, 0xffffff91, v36
	v_cndmask_b32_e64 v38, v38, 0x6f, vcc_lo
	s_delay_alu instid0(VALU_DEP_4) | instskip(NEXT) | instid1(VALU_DEP_3)
	v_cndmask_b32_e32 v37, v39, v37, vcc_lo
	v_cndmask_b32_e64 v36, v36, 0xffffff92, vcc_lo
	s_delay_alu instid0(VALU_DEP_3) | instskip(NEXT) | instid1(VALU_DEP_3)
	v_lshl_add_u32 v39, 0x200000, v38, -1
	v_lshrrev_b32_e32 v48, v38, v37
	v_lshlrev_b32_e64 v50, v38, 0x100000
	s_delay_alu instid0(VALU_DEP_4) | instskip(NEXT) | instid1(VALU_DEP_4)
	v_add_nc_u32_e32 v38, v38, v36
	v_and_b32_e32 v37, v39, v37
	s_delay_alu instid0(VALU_DEP_4) | instskip(NEXT) | instid1(VALU_DEP_2)
	v_bfe_u32 v49, v48, 21, 1
	v_cmp_eq_u32_e64 s13, v37, v50
	s_delay_alu instid0(VALU_DEP_2) | instskip(NEXT) | instid1(VALU_DEP_1)
	v_add_nc_u32_e32 v39, -1, v49
	v_cndmask_b32_e64 v37, 0, v39, s13
	v_lshrrev_b32_e32 v39, 23, v48
	s_mov_b32 s13, exec_lo
	s_delay_alu instid0(VALU_DEP_2) | instskip(NEXT) | instid1(VALU_DEP_2)
	v_add_nc_u32_e32 v37, v37, v48
	v_xor_b32_e32 v39, 1, v39
	s_delay_alu instid0(VALU_DEP_2) | instskip(NEXT) | instid1(VALU_DEP_1)
	v_and_b32_e32 v36, 0x1fffff, v37
	v_add_nc_u32_e32 v37, v36, v48
                                        ; implicit-def: $vgpr36
	s_delay_alu instid0(VALU_DEP_3)
	v_cmpx_ne_u32_e64 v38, v39
	s_xor_b32 s13, exec_lo, s13
; %bb.4117:                             ;   in Loop: Header=BB6_3265 Depth=4
	s_delay_alu instid0(VALU_DEP_2) | instskip(SKIP_2) | instid1(VALU_DEP_2)
	v_cmp_lt_u32_e32 vcc_lo, 0xffffff, v37
	v_sub_nc_u32_e32 v36, v38, v39
	v_cndmask_b32_e64 v38, 0, 1, vcc_lo
	v_add_co_ci_u32_e32 v36, vcc_lo, 0, v36, vcc_lo
	s_delay_alu instid0(VALU_DEP_2)
	v_lshrrev_b32_e32 v37, v38, v37
; %bb.4118:                             ;   in Loop: Header=BB6_3265 Depth=4
	s_and_not1_saveexec_b32 s13, s13
; %bb.4119:                             ;   in Loop: Header=BB6_3265 Depth=4
	s_delay_alu instid0(VALU_DEP_1)
	v_bfe_u32 v36, v37, 23, 1
; %bb.4120:                             ;   in Loop: Header=BB6_3265 Depth=4
	s_or_b32 exec_lo, exec_lo, s13
	v_lshrrev_b32_e32 v37, 21, v37
	s_delay_alu instid0(VALU_DEP_2) | instskip(SKIP_2) | instid1(VALU_DEP_4)
	v_cmp_gt_i32_e32 vcc_lo, 32, v36
	v_lshrrev_b32_e32 v27, 24, v27
	v_min_i32_e32 v38, 31, v36
	v_cndmask_b32_e32 v37, 3, v37, vcc_lo
	s_delay_alu instid0(VALU_DEP_3) | instskip(NEXT) | instid1(VALU_DEP_3)
	v_and_b32_e32 v27, 0x80, v27
	v_lshlrev_b32_e32 v38, 2, v38
	s_delay_alu instid0(VALU_DEP_3) | instskip(SKIP_1) | instid1(VALU_DEP_2)
	v_and_b32_e32 v39, 3, v37
	v_or_b32_e32 v36, v36, v37
	v_or3_b32 v27, v38, v27, v39
	s_delay_alu instid0(VALU_DEP_2) | instskip(NEXT) | instid1(VALU_DEP_2)
	v_cmp_ne_u32_e32 vcc_lo, 0, v36
	v_cndmask_b32_e32 v183, 0, v27, vcc_lo
.LBB6_4121:                             ;   in Loop: Header=BB6_3265 Depth=4
	s_or_b32 exec_lo, exec_lo, s35
.LBB6_4122:                             ;   in Loop: Header=BB6_3265 Depth=4
	s_delay_alu instid0(SALU_CYCLE_1) | instskip(SKIP_3) | instid1(VALU_DEP_1)
	s_or_b32 exec_lo, exec_lo, s34
	v_lshrrev_b16 v36, 8, v26
	s_mov_b32 s13, 0
	s_mov_b32 s35, exec_lo
                                        ; implicit-def: $sgpr34
	v_cmpx_lt_i16_e32 0x7f, v36
	s_xor_b32 s35, exec_lo, s35
	s_cbranch_execnz .LBB6_5360
; %bb.4123:                             ;   in Loop: Header=BB6_3265 Depth=4
	s_or_saveexec_b32 s35, s35
	v_mov_b32_e32 v27, s34
	s_xor_b32 exec_lo, exec_lo, s35
	s_cbranch_execnz .LBB6_5363
.LBB6_4124:                             ;   in Loop: Header=BB6_3265 Depth=4
	s_or_b32 exec_lo, exec_lo, s35
	s_and_saveexec_b32 s34, s13
	s_cbranch_execz .LBB6_4126
.LBB6_4125:                             ;   in Loop: Header=BB6_3265 Depth=4
	v_and_b32_e32 v27, 0xffff, v36
	s_delay_alu instid0(VALU_DEP_1) | instskip(NEXT) | instid1(VALU_DEP_1)
	v_and_b32_e32 v37, 3, v27
	v_clz_i32_u32_e32 v38, v37
	s_delay_alu instid0(VALU_DEP_1) | instskip(NEXT) | instid1(VALU_DEP_1)
	v_min_u32_e32 v38, 32, v38
	v_subrev_nc_u32_e32 v39, 29, v38
	v_sub_nc_u32_e32 v38, 30, v38
	s_delay_alu instid0(VALU_DEP_2) | instskip(SKIP_1) | instid1(VALU_DEP_2)
	v_lshlrev_b32_e32 v39, v39, v27
	v_bfe_u32 v27, v27, 2, 5
	v_and_b32_e32 v39, 3, v39
	s_delay_alu instid0(VALU_DEP_2) | instskip(SKIP_1) | instid1(VALU_DEP_1)
	v_cmp_eq_u32_e32 vcc_lo, 0, v27
	v_dual_cndmask_b32 v27, v27, v38 :: v_dual_lshlrev_b32 v36, 24, v36
	v_dual_cndmask_b32 v37, v37, v39 :: v_dual_and_b32 v36, 0x80000000, v36
	s_delay_alu instid0(VALU_DEP_2) | instskip(NEXT) | instid1(VALU_DEP_2)
	v_lshl_add_u32 v27, v27, 23, 0x37800000
	v_lshlrev_b32_e32 v37, 21, v37
	s_delay_alu instid0(VALU_DEP_1)
	v_or3_b32 v27, v36, v27, v37
.LBB6_4126:                             ;   in Loop: Header=BB6_3265 Depth=4
	s_or_b32 exec_lo, exec_lo, s34
	v_lshrrev_b16 v36, 8, v21
	s_mov_b32 s13, 0
	s_mov_b32 s35, exec_lo
                                        ; implicit-def: $sgpr34
	s_delay_alu instid0(VALU_DEP_1)
	v_cmpx_lt_i16_e32 0x7f, v36
	s_xor_b32 s35, exec_lo, s35
	s_cbranch_execnz .LBB6_5364
; %bb.4127:                             ;   in Loop: Header=BB6_3265 Depth=4
	s_or_saveexec_b32 s35, s35
	v_mov_b32_e32 v37, s34
	s_xor_b32 exec_lo, exec_lo, s35
	s_cbranch_execnz .LBB6_5367
.LBB6_4128:                             ;   in Loop: Header=BB6_3265 Depth=4
	s_or_b32 exec_lo, exec_lo, s35
	s_and_saveexec_b32 s34, s13
	s_cbranch_execz .LBB6_4130
.LBB6_4129:                             ;   in Loop: Header=BB6_3265 Depth=4
	v_and_b32_e32 v37, 0xffff, v36
	v_lshlrev_b32_e32 v36, 24, v36
	s_delay_alu instid0(VALU_DEP_2) | instskip(NEXT) | instid1(VALU_DEP_2)
	v_and_b32_e32 v38, 3, v37
	v_and_b32_e32 v36, 0x80000000, v36
	s_delay_alu instid0(VALU_DEP_2) | instskip(NEXT) | instid1(VALU_DEP_1)
	v_clz_i32_u32_e32 v39, v38
	v_min_u32_e32 v39, 32, v39
	s_delay_alu instid0(VALU_DEP_1) | instskip(SKIP_1) | instid1(VALU_DEP_2)
	v_subrev_nc_u32_e32 v48, 29, v39
	v_sub_nc_u32_e32 v39, 30, v39
	v_lshlrev_b32_e32 v48, v48, v37
	v_bfe_u32 v37, v37, 2, 5
	s_delay_alu instid0(VALU_DEP_2) | instskip(NEXT) | instid1(VALU_DEP_2)
	v_and_b32_e32 v48, 3, v48
	v_cmp_eq_u32_e32 vcc_lo, 0, v37
	s_delay_alu instid0(VALU_DEP_2) | instskip(NEXT) | instid1(VALU_DEP_1)
	v_dual_cndmask_b32 v37, v37, v39 :: v_dual_cndmask_b32 v38, v38, v48
	v_lshl_add_u32 v37, v37, 23, 0x37800000
	s_delay_alu instid0(VALU_DEP_2) | instskip(NEXT) | instid1(VALU_DEP_1)
	v_lshlrev_b32_e32 v38, 21, v38
	v_or3_b32 v37, v36, v37, v38
.LBB6_4130:                             ;   in Loop: Header=BB6_3265 Depth=4
	s_or_b32 exec_lo, exec_lo, s34
	s_delay_alu instid0(VALU_DEP_1) | instskip(SKIP_2) | instid1(VALU_DEP_2)
	v_add_f32_e32 v27, v27, v37
	v_mov_b32_e32 v43, 0x8000
	s_mov_b32 s34, exec_lo
	v_and_b32_e32 v36, 0x7f800000, v27
	s_delay_alu instid0(VALU_DEP_1)
	v_cmpx_ne_u32_e32 0x7f800000, v36
	s_cbranch_execz .LBB6_4138
; %bb.4131:                             ;   in Loop: Header=BB6_3265 Depth=4
	v_mov_b32_e32 v43, 0
	s_mov_b32 s35, exec_lo
	v_cmpx_ne_u32_e32 0, v27
	s_cbranch_execz .LBB6_4137
; %bb.4132:                             ;   in Loop: Header=BB6_3265 Depth=4
	v_bfe_u32 v36, v27, 23, 8
	s_delay_alu instid0(VALU_DEP_1) | instskip(SKIP_1) | instid1(VALU_DEP_2)
	v_sub_nc_u32_e32 v38, 0x70, v36
	v_cmp_gt_u32_e32 vcc_lo, 0x71, v36
	v_dual_cndmask_b32 v38, 0, v38 :: v_dual_and_b32 v37, 0x7fffff, v27
	s_delay_alu instid0(VALU_DEP_1) | instskip(SKIP_2) | instid1(VALU_DEP_4)
	v_or_b32_e32 v39, 0x800000, v37
	v_cmp_eq_u32_e32 vcc_lo, 0, v36
	v_add_nc_u32_e32 v36, 0xffffff91, v36
	v_cndmask_b32_e64 v38, v38, 0x6f, vcc_lo
	s_delay_alu instid0(VALU_DEP_4) | instskip(NEXT) | instid1(VALU_DEP_3)
	v_cndmask_b32_e32 v37, v39, v37, vcc_lo
	v_cndmask_b32_e64 v36, v36, 0xffffff92, vcc_lo
	s_delay_alu instid0(VALU_DEP_3) | instskip(NEXT) | instid1(VALU_DEP_3)
	v_lshl_add_u32 v39, 0x200000, v38, -1
	v_lshrrev_b32_e32 v48, v38, v37
	v_lshlrev_b32_e64 v50, v38, 0x100000
	s_delay_alu instid0(VALU_DEP_4) | instskip(NEXT) | instid1(VALU_DEP_4)
	v_add_nc_u32_e32 v38, v38, v36
	v_and_b32_e32 v37, v39, v37
	s_delay_alu instid0(VALU_DEP_4) | instskip(NEXT) | instid1(VALU_DEP_2)
	v_bfe_u32 v49, v48, 21, 1
	v_cmp_eq_u32_e64 s13, v37, v50
	s_delay_alu instid0(VALU_DEP_2) | instskip(NEXT) | instid1(VALU_DEP_1)
	v_add_nc_u32_e32 v39, -1, v49
	v_cndmask_b32_e64 v37, 0, v39, s13
	v_lshrrev_b32_e32 v39, 23, v48
	s_mov_b32 s13, exec_lo
	s_delay_alu instid0(VALU_DEP_2) | instskip(NEXT) | instid1(VALU_DEP_2)
	v_add_nc_u32_e32 v37, v37, v48
	v_xor_b32_e32 v39, 1, v39
	s_delay_alu instid0(VALU_DEP_2) | instskip(NEXT) | instid1(VALU_DEP_1)
	v_and_b32_e32 v36, 0x1fffff, v37
	v_add_nc_u32_e32 v37, v36, v48
                                        ; implicit-def: $vgpr36
	s_delay_alu instid0(VALU_DEP_3)
	v_cmpx_ne_u32_e64 v38, v39
	s_xor_b32 s13, exec_lo, s13
; %bb.4133:                             ;   in Loop: Header=BB6_3265 Depth=4
	s_delay_alu instid0(VALU_DEP_2) | instskip(SKIP_2) | instid1(VALU_DEP_2)
	v_cmp_lt_u32_e32 vcc_lo, 0xffffff, v37
	v_sub_nc_u32_e32 v36, v38, v39
	v_cndmask_b32_e64 v38, 0, 1, vcc_lo
	v_add_co_ci_u32_e32 v36, vcc_lo, 0, v36, vcc_lo
	s_delay_alu instid0(VALU_DEP_2)
	v_lshrrev_b32_e32 v37, v38, v37
; %bb.4134:                             ;   in Loop: Header=BB6_3265 Depth=4
	s_and_not1_saveexec_b32 s13, s13
; %bb.4135:                             ;   in Loop: Header=BB6_3265 Depth=4
	s_delay_alu instid0(VALU_DEP_1)
	v_bfe_u32 v36, v37, 23, 1
; %bb.4136:                             ;   in Loop: Header=BB6_3265 Depth=4
	s_or_b32 exec_lo, exec_lo, s13
	v_lshrrev_b32_e32 v37, 21, v37
	s_delay_alu instid0(VALU_DEP_2) | instskip(SKIP_2) | instid1(VALU_DEP_2)
	v_cmp_gt_i32_e32 vcc_lo, 32, v36
	v_min_i32_e32 v38, 31, v36
	v_lshrrev_b32_e32 v27, 24, v27
	v_dual_cndmask_b32 v37, 3, v37 :: v_dual_lshlrev_b32 v38, 2, v38
	s_delay_alu instid0(VALU_DEP_2) | instskip(NEXT) | instid1(VALU_DEP_2)
	v_and_b32_e32 v27, 0x80, v27
	v_or_b32_e32 v36, v36, v37
	v_and_b32_e32 v39, 3, v37
	s_delay_alu instid0(VALU_DEP_2) | instskip(SKIP_1) | instid1(VALU_DEP_1)
	v_cmp_ne_u32_e32 vcc_lo, 0, v36
	v_and_b32_e32 v38, 0xfc, v38
	v_or3_b32 v27, v27, v38, v39
	s_delay_alu instid0(VALU_DEP_1) | instskip(NEXT) | instid1(VALU_DEP_1)
	v_lshlrev_b32_e32 v27, 8, v27
	v_cndmask_b32_e32 v43, 0, v27, vcc_lo
.LBB6_4137:                             ;   in Loop: Header=BB6_3265 Depth=4
	s_or_b32 exec_lo, exec_lo, s35
.LBB6_4138:                             ;   in Loop: Header=BB6_3265 Depth=4
	s_delay_alu instid0(SALU_CYCLE_1) | instskip(SKIP_3) | instid1(VALU_DEP_1)
	s_or_b32 exec_lo, exec_lo, s34
	v_or_b32_e32 v36, v125, v56
	s_mov_b32 s13, 0
	s_mov_b32 s35, exec_lo
                                        ; implicit-def: $sgpr34
	v_and_b32_e32 v37, 0xff, v36
	s_delay_alu instid0(VALU_DEP_1)
	v_cmpx_lt_i16_e32 0x7f, v37
	s_xor_b32 s35, exec_lo, s35
	s_cbranch_execnz .LBB6_5368
; %bb.4139:                             ;   in Loop: Header=BB6_3265 Depth=4
	s_or_saveexec_b32 s35, s35
	v_mov_b32_e32 v27, s34
	s_xor_b32 exec_lo, exec_lo, s35
	s_cbranch_execnz .LBB6_5371
.LBB6_4140:                             ;   in Loop: Header=BB6_3265 Depth=4
	s_or_b32 exec_lo, exec_lo, s35
	v_lshl_or_b32 v26, v36, 16, v26
	s_and_saveexec_b32 s34, s13
	s_cbranch_execz .LBB6_4142
.LBB6_4141:                             ;   in Loop: Header=BB6_3265 Depth=4
	s_delay_alu instid0(VALU_DEP_1) | instskip(SKIP_2) | instid1(VALU_DEP_3)
	v_bfe_u32 v27, v26, 16, 2
	v_lshrrev_b32_e32 v37, 16, v26
	v_lshlrev_b32_e32 v39, 8, v26
	v_clz_i32_u32_e32 v36, v27
	s_delay_alu instid0(VALU_DEP_1) | instskip(NEXT) | instid1(VALU_DEP_1)
	v_min_u32_e32 v36, 32, v36
	v_subrev_nc_u32_e32 v38, 29, v36
	v_sub_nc_u32_e32 v36, 30, v36
	s_delay_alu instid0(VALU_DEP_2) | instskip(SKIP_1) | instid1(VALU_DEP_1)
	v_lshlrev_b32_e32 v37, v38, v37
	v_bfe_u32 v38, v26, 18, 5
	v_cmp_eq_u32_e32 vcc_lo, 0, v38
	s_delay_alu instid0(VALU_DEP_3) | instskip(NEXT) | instid1(VALU_DEP_1)
	v_dual_cndmask_b32 v36, v38, v36 :: v_dual_and_b32 v37, 3, v37
	v_cndmask_b32_e32 v27, v27, v37, vcc_lo
	v_and_b32_e32 v37, 0x80000000, v39
	s_delay_alu instid0(VALU_DEP_3) | instskip(NEXT) | instid1(VALU_DEP_3)
	v_lshl_add_u32 v36, v36, 23, 0x37800000
	v_lshlrev_b32_e32 v27, 21, v27
	s_delay_alu instid0(VALU_DEP_1)
	v_or3_b32 v27, v37, v36, v27
.LBB6_4142:                             ;   in Loop: Header=BB6_3265 Depth=4
	s_or_b32 exec_lo, exec_lo, s34
	v_lshrrev_b32_e32 v36, 16, v21
	s_mov_b32 s13, 0
	s_mov_b32 s35, exec_lo
                                        ; implicit-def: $sgpr34
	s_delay_alu instid0(VALU_DEP_1) | instskip(NEXT) | instid1(VALU_DEP_1)
	v_and_b32_e32 v38, 0xff, v36
	v_cmpx_lt_i16_e32 0x7f, v38
	s_xor_b32 s35, exec_lo, s35
	s_cbranch_execnz .LBB6_5372
; %bb.4143:                             ;   in Loop: Header=BB6_3265 Depth=4
	s_or_saveexec_b32 s35, s35
	v_mov_b32_e32 v37, s34
	s_xor_b32 exec_lo, exec_lo, s35
	s_cbranch_execnz .LBB6_5375
.LBB6_4144:                             ;   in Loop: Header=BB6_3265 Depth=4
	s_or_b32 exec_lo, exec_lo, s35
	s_and_saveexec_b32 s34, s13
	s_cbranch_execz .LBB6_4146
.LBB6_4145:                             ;   in Loop: Header=BB6_3265 Depth=4
	v_bfe_u32 v37, v21, 16, 2
	v_lshlrev_b32_e32 v48, 8, v21
	s_delay_alu instid0(VALU_DEP_2) | instskip(NEXT) | instid1(VALU_DEP_1)
	v_clz_i32_u32_e32 v38, v37
	v_min_u32_e32 v38, 32, v38
	s_delay_alu instid0(VALU_DEP_1) | instskip(SKIP_1) | instid1(VALU_DEP_2)
	v_subrev_nc_u32_e32 v39, 29, v38
	v_sub_nc_u32_e32 v38, 30, v38
	v_lshlrev_b32_e32 v36, v39, v36
	v_bfe_u32 v39, v21, 18, 5
	s_delay_alu instid0(VALU_DEP_2) | instskip(NEXT) | instid1(VALU_DEP_2)
	v_and_b32_e32 v36, 3, v36
	v_cmp_eq_u32_e32 vcc_lo, 0, v39
	v_cndmask_b32_e32 v38, v39, v38, vcc_lo
	s_delay_alu instid0(VALU_DEP_3) | instskip(SKIP_1) | instid1(VALU_DEP_3)
	v_cndmask_b32_e32 v36, v37, v36, vcc_lo
	v_and_b32_e32 v37, 0x80000000, v48
	v_lshl_add_u32 v38, v38, 23, 0x37800000
	s_delay_alu instid0(VALU_DEP_3) | instskip(NEXT) | instid1(VALU_DEP_1)
	v_lshlrev_b32_e32 v36, 21, v36
	v_or3_b32 v37, v37, v38, v36
.LBB6_4146:                             ;   in Loop: Header=BB6_3265 Depth=4
	s_or_b32 exec_lo, exec_lo, s34
	s_delay_alu instid0(VALU_DEP_1) | instskip(SKIP_1) | instid1(VALU_DEP_1)
	v_dual_add_f32 v27, v27, v37 :: v_dual_mov_b32 v56, 0x80
	s_mov_b32 s34, exec_lo
	v_and_b32_e32 v36, 0x7f800000, v27
	s_delay_alu instid0(VALU_DEP_1)
	v_cmpx_ne_u32_e32 0x7f800000, v36
	s_cbranch_execz .LBB6_4154
; %bb.4147:                             ;   in Loop: Header=BB6_3265 Depth=4
	v_mov_b32_e32 v56, 0
	s_mov_b32 s35, exec_lo
	v_cmpx_ne_u32_e32 0, v27
	s_cbranch_execz .LBB6_4153
; %bb.4148:                             ;   in Loop: Header=BB6_3265 Depth=4
	v_bfe_u32 v36, v27, 23, 8
	s_delay_alu instid0(VALU_DEP_1) | instskip(SKIP_1) | instid1(VALU_DEP_2)
	v_sub_nc_u32_e32 v38, 0x70, v36
	v_cmp_gt_u32_e32 vcc_lo, 0x71, v36
	v_dual_cndmask_b32 v38, 0, v38 :: v_dual_and_b32 v37, 0x7fffff, v27
	s_delay_alu instid0(VALU_DEP_1) | instskip(SKIP_2) | instid1(VALU_DEP_4)
	v_or_b32_e32 v39, 0x800000, v37
	v_cmp_eq_u32_e32 vcc_lo, 0, v36
	v_add_nc_u32_e32 v36, 0xffffff91, v36
	v_cndmask_b32_e64 v38, v38, 0x6f, vcc_lo
	s_delay_alu instid0(VALU_DEP_4) | instskip(NEXT) | instid1(VALU_DEP_3)
	v_cndmask_b32_e32 v37, v39, v37, vcc_lo
	v_cndmask_b32_e64 v36, v36, 0xffffff92, vcc_lo
	s_delay_alu instid0(VALU_DEP_3) | instskip(NEXT) | instid1(VALU_DEP_3)
	v_lshl_add_u32 v39, 0x200000, v38, -1
	v_lshrrev_b32_e32 v48, v38, v37
	v_lshlrev_b32_e64 v50, v38, 0x100000
	s_delay_alu instid0(VALU_DEP_4) | instskip(NEXT) | instid1(VALU_DEP_4)
	v_add_nc_u32_e32 v38, v38, v36
	v_and_b32_e32 v37, v39, v37
	s_delay_alu instid0(VALU_DEP_4) | instskip(NEXT) | instid1(VALU_DEP_2)
	v_bfe_u32 v49, v48, 21, 1
	v_cmp_eq_u32_e64 s13, v37, v50
	s_delay_alu instid0(VALU_DEP_2) | instskip(NEXT) | instid1(VALU_DEP_1)
	v_add_nc_u32_e32 v39, -1, v49
	v_cndmask_b32_e64 v37, 0, v39, s13
	v_lshrrev_b32_e32 v39, 23, v48
	s_mov_b32 s13, exec_lo
	s_delay_alu instid0(VALU_DEP_2) | instskip(NEXT) | instid1(VALU_DEP_2)
	v_add_nc_u32_e32 v37, v37, v48
	v_xor_b32_e32 v39, 1, v39
	s_delay_alu instid0(VALU_DEP_2) | instskip(NEXT) | instid1(VALU_DEP_1)
	v_and_b32_e32 v36, 0x1fffff, v37
	v_add_nc_u32_e32 v37, v36, v48
                                        ; implicit-def: $vgpr36
	s_delay_alu instid0(VALU_DEP_3)
	v_cmpx_ne_u32_e64 v38, v39
	s_xor_b32 s13, exec_lo, s13
; %bb.4149:                             ;   in Loop: Header=BB6_3265 Depth=4
	s_delay_alu instid0(VALU_DEP_2) | instskip(SKIP_2) | instid1(VALU_DEP_2)
	v_cmp_lt_u32_e32 vcc_lo, 0xffffff, v37
	v_sub_nc_u32_e32 v36, v38, v39
	v_cndmask_b32_e64 v38, 0, 1, vcc_lo
	v_add_co_ci_u32_e32 v36, vcc_lo, 0, v36, vcc_lo
	s_delay_alu instid0(VALU_DEP_2)
	v_lshrrev_b32_e32 v37, v38, v37
; %bb.4150:                             ;   in Loop: Header=BB6_3265 Depth=4
	s_and_not1_saveexec_b32 s13, s13
; %bb.4151:                             ;   in Loop: Header=BB6_3265 Depth=4
	s_delay_alu instid0(VALU_DEP_1)
	v_bfe_u32 v36, v37, 23, 1
; %bb.4152:                             ;   in Loop: Header=BB6_3265 Depth=4
	s_or_b32 exec_lo, exec_lo, s13
	v_lshrrev_b32_e32 v37, 21, v37
	s_delay_alu instid0(VALU_DEP_2) | instskip(SKIP_2) | instid1(VALU_DEP_2)
	v_cmp_gt_i32_e32 vcc_lo, 32, v36
	v_min_i32_e32 v38, 31, v36
	v_lshrrev_b32_e32 v27, 24, v27
	v_dual_cndmask_b32 v37, 3, v37 :: v_dual_lshlrev_b32 v38, 2, v38
	s_delay_alu instid0(VALU_DEP_2) | instskip(NEXT) | instid1(VALU_DEP_2)
	v_and_b32_e32 v27, 0x80, v27
	v_or_b32_e32 v36, v36, v37
	s_delay_alu instid0(VALU_DEP_3) | instskip(NEXT) | instid1(VALU_DEP_2)
	v_and_b32_e32 v38, 0xfc, v38
	v_cmp_ne_u32_e32 vcc_lo, 0, v36
	v_and_b32_e32 v39, 3, v37
	s_delay_alu instid0(VALU_DEP_1) | instskip(NEXT) | instid1(VALU_DEP_1)
	v_or3_b32 v27, v38, v27, v39
	v_cndmask_b32_e32 v56, 0, v27, vcc_lo
.LBB6_4153:                             ;   in Loop: Header=BB6_3265 Depth=4
	s_or_b32 exec_lo, exec_lo, s35
.LBB6_4154:                             ;   in Loop: Header=BB6_3265 Depth=4
	s_delay_alu instid0(SALU_CYCLE_1) | instskip(SKIP_3) | instid1(VALU_DEP_1)
	s_or_b32 exec_lo, exec_lo, s34
	v_lshrrev_b32_e32 v36, 24, v26
	s_mov_b32 s13, 0
	s_mov_b32 s35, exec_lo
                                        ; implicit-def: $sgpr34
	v_cmpx_lt_i16_e32 0x7f, v36
	s_xor_b32 s35, exec_lo, s35
	s_cbranch_execnz .LBB6_5376
; %bb.4155:                             ;   in Loop: Header=BB6_3265 Depth=4
	s_or_saveexec_b32 s35, s35
	v_mov_b32_e32 v27, s34
	s_xor_b32 exec_lo, exec_lo, s35
	s_cbranch_execnz .LBB6_5379
.LBB6_4156:                             ;   in Loop: Header=BB6_3265 Depth=4
	s_or_b32 exec_lo, exec_lo, s35
	s_and_saveexec_b32 s34, s13
	s_cbranch_execz .LBB6_4158
.LBB6_4157:                             ;   in Loop: Header=BB6_3265 Depth=4
	v_bfe_u32 v27, v26, 24, 2
	s_delay_alu instid0(VALU_DEP_1) | instskip(NEXT) | instid1(VALU_DEP_1)
	v_clz_i32_u32_e32 v37, v27
	v_min_u32_e32 v37, 32, v37
	s_delay_alu instid0(VALU_DEP_1) | instskip(SKIP_1) | instid1(VALU_DEP_2)
	v_subrev_nc_u32_e32 v38, 29, v37
	v_sub_nc_u32_e32 v37, 30, v37
	v_lshlrev_b32_e32 v36, v38, v36
	v_bfe_u32 v38, v26, 26, 5
	v_and_b32_e32 v26, 0x80000000, v26
	s_delay_alu instid0(VALU_DEP_2) | instskip(NEXT) | instid1(VALU_DEP_4)
	v_cmp_eq_u32_e32 vcc_lo, 0, v38
	v_dual_cndmask_b32 v37, v38, v37 :: v_dual_and_b32 v36, 3, v36
	s_delay_alu instid0(VALU_DEP_1) | instskip(NEXT) | instid1(VALU_DEP_2)
	v_cndmask_b32_e32 v27, v27, v36, vcc_lo
	v_lshl_add_u32 v36, v37, 23, 0x37800000
	s_delay_alu instid0(VALU_DEP_2) | instskip(NEXT) | instid1(VALU_DEP_1)
	v_lshlrev_b32_e32 v27, 21, v27
	v_or3_b32 v27, v26, v36, v27
.LBB6_4158:                             ;   in Loop: Header=BB6_3265 Depth=4
	s_or_b32 exec_lo, exec_lo, s34
	v_lshrrev_b32_e32 v26, 24, v21
	s_mov_b32 s13, 0
	s_mov_b32 s35, exec_lo
                                        ; implicit-def: $sgpr34
	s_delay_alu instid0(VALU_DEP_1)
	v_cmpx_lt_i16_e32 0x7f, v26
	s_xor_b32 s35, exec_lo, s35
	s_cbranch_execnz .LBB6_5380
; %bb.4159:                             ;   in Loop: Header=BB6_3265 Depth=4
	s_or_saveexec_b32 s35, s35
	v_mov_b32_e32 v36, s34
	s_xor_b32 exec_lo, exec_lo, s35
	s_cbranch_execnz .LBB6_5383
.LBB6_4160:                             ;   in Loop: Header=BB6_3265 Depth=4
	s_or_b32 exec_lo, exec_lo, s35
	s_and_saveexec_b32 s34, s13
	s_cbranch_execz .LBB6_4162
.LBB6_4161:                             ;   in Loop: Header=BB6_3265 Depth=4
	v_bfe_u32 v36, v21, 24, 2
	s_delay_alu instid0(VALU_DEP_1) | instskip(NEXT) | instid1(VALU_DEP_1)
	v_clz_i32_u32_e32 v37, v36
	v_min_u32_e32 v37, 32, v37
	s_delay_alu instid0(VALU_DEP_1) | instskip(SKIP_1) | instid1(VALU_DEP_2)
	v_subrev_nc_u32_e32 v38, 29, v37
	v_sub_nc_u32_e32 v37, 30, v37
	v_lshlrev_b32_e32 v26, v38, v26
	v_bfe_u32 v38, v21, 26, 5
	v_and_b32_e32 v21, 0x80000000, v21
	s_delay_alu instid0(VALU_DEP_2) | instskip(NEXT) | instid1(VALU_DEP_4)
	v_cmp_eq_u32_e32 vcc_lo, 0, v38
	v_dual_cndmask_b32 v37, v38, v37 :: v_dual_and_b32 v26, 3, v26
	s_delay_alu instid0(VALU_DEP_1) | instskip(NEXT) | instid1(VALU_DEP_2)
	v_cndmask_b32_e32 v26, v36, v26, vcc_lo
	v_lshl_add_u32 v36, v37, 23, 0x37800000
	s_delay_alu instid0(VALU_DEP_2) | instskip(NEXT) | instid1(VALU_DEP_1)
	v_lshlrev_b32_e32 v26, 21, v26
	v_or3_b32 v36, v21, v36, v26
.LBB6_4162:                             ;   in Loop: Header=BB6_3265 Depth=4
	s_or_b32 exec_lo, exec_lo, s34
	s_delay_alu instid0(VALU_DEP_1) | instskip(NEXT) | instid1(VALU_DEP_1)
	v_add_f32_e32 v26, v27, v36
	v_and_b32_e32 v21, 0x7f800000, v26
	s_delay_alu instid0(VALU_DEP_1)
	v_cmp_ne_u32_e32 vcc_lo, 0x7f800000, v21
	v_mov_b32_e32 v21, 0x8000
	s_and_saveexec_b32 s34, vcc_lo
	s_cbranch_execz .LBB6_4170
; %bb.4163:                             ;   in Loop: Header=BB6_3265 Depth=4
	v_mov_b32_e32 v21, 0
	s_mov_b32 s35, exec_lo
	v_cmpx_ne_u32_e32 0, v26
	s_cbranch_execz .LBB6_4169
; %bb.4164:                             ;   in Loop: Header=BB6_3265 Depth=4
	v_bfe_u32 v21, v26, 23, 8
	s_delay_alu instid0(VALU_DEP_1) | instskip(SKIP_1) | instid1(VALU_DEP_2)
	v_sub_nc_u32_e32 v36, 0x70, v21
	v_cmp_gt_u32_e32 vcc_lo, 0x71, v21
	v_dual_cndmask_b32 v36, 0, v36 :: v_dual_and_b32 v27, 0x7fffff, v26
	s_delay_alu instid0(VALU_DEP_1) | instskip(SKIP_2) | instid1(VALU_DEP_4)
	v_or_b32_e32 v37, 0x800000, v27
	v_cmp_eq_u32_e32 vcc_lo, 0, v21
	v_add_nc_u32_e32 v21, 0xffffff91, v21
	v_cndmask_b32_e64 v36, v36, 0x6f, vcc_lo
	s_delay_alu instid0(VALU_DEP_2) | instskip(SKIP_1) | instid1(VALU_DEP_3)
	v_cndmask_b32_e64 v21, v21, 0xffffff92, vcc_lo
	v_cndmask_b32_e32 v27, v37, v27, vcc_lo
	v_lshl_add_u32 v37, 0x200000, v36, -1
	v_lshlrev_b32_e64 v48, v36, 0x100000
	s_delay_alu instid0(VALU_DEP_3) | instskip(SKIP_1) | instid1(VALU_DEP_4)
	v_lshrrev_b32_e32 v38, v36, v27
	v_add_nc_u32_e32 v36, v36, v21
	v_and_b32_e32 v27, v37, v27
	s_delay_alu instid0(VALU_DEP_3) | instskip(NEXT) | instid1(VALU_DEP_2)
	v_bfe_u32 v39, v38, 21, 1
	v_cmp_eq_u32_e64 s13, v27, v48
	s_delay_alu instid0(VALU_DEP_2) | instskip(NEXT) | instid1(VALU_DEP_1)
	v_add_nc_u32_e32 v37, -1, v39
	v_cndmask_b32_e64 v27, 0, v37, s13
	v_lshrrev_b32_e32 v37, 23, v38
	s_mov_b32 s13, exec_lo
	s_delay_alu instid0(VALU_DEP_2) | instskip(NEXT) | instid1(VALU_DEP_2)
	v_add_nc_u32_e32 v27, v27, v38
	v_xor_b32_e32 v37, 1, v37
	s_delay_alu instid0(VALU_DEP_2) | instskip(NEXT) | instid1(VALU_DEP_1)
	v_and_b32_e32 v21, 0x1fffff, v27
	v_add_nc_u32_e32 v27, v21, v38
                                        ; implicit-def: $vgpr21
	s_delay_alu instid0(VALU_DEP_3)
	v_cmpx_ne_u32_e64 v36, v37
	s_xor_b32 s13, exec_lo, s13
; %bb.4165:                             ;   in Loop: Header=BB6_3265 Depth=4
	s_delay_alu instid0(VALU_DEP_2) | instskip(SKIP_2) | instid1(VALU_DEP_2)
	v_cmp_lt_u32_e32 vcc_lo, 0xffffff, v27
	v_sub_nc_u32_e32 v21, v36, v37
	v_cndmask_b32_e64 v36, 0, 1, vcc_lo
	v_add_co_ci_u32_e32 v21, vcc_lo, 0, v21, vcc_lo
	s_delay_alu instid0(VALU_DEP_2)
	v_lshrrev_b32_e32 v27, v36, v27
; %bb.4166:                             ;   in Loop: Header=BB6_3265 Depth=4
	s_and_not1_saveexec_b32 s13, s13
; %bb.4167:                             ;   in Loop: Header=BB6_3265 Depth=4
	s_delay_alu instid0(VALU_DEP_1)
	v_bfe_u32 v21, v27, 23, 1
; %bb.4168:                             ;   in Loop: Header=BB6_3265 Depth=4
	s_or_b32 exec_lo, exec_lo, s13
	v_lshrrev_b32_e32 v27, 21, v27
	s_delay_alu instid0(VALU_DEP_2) | instskip(SKIP_2) | instid1(VALU_DEP_2)
	v_cmp_gt_i32_e32 vcc_lo, 32, v21
	v_min_i32_e32 v36, 31, v21
	v_lshrrev_b32_e32 v26, 24, v26
	v_dual_cndmask_b32 v27, 3, v27 :: v_dual_lshlrev_b32 v36, 2, v36
	s_delay_alu instid0(VALU_DEP_2) | instskip(NEXT) | instid1(VALU_DEP_2)
	v_and_b32_e32 v26, 0x80, v26
	v_or_b32_e32 v21, v21, v27
	v_and_b32_e32 v37, 3, v27
	s_delay_alu instid0(VALU_DEP_2) | instskip(SKIP_1) | instid1(VALU_DEP_1)
	v_cmp_ne_u32_e32 vcc_lo, 0, v21
	v_and_b32_e32 v36, 0xfc, v36
	v_or3_b32 v26, v26, v36, v37
	s_delay_alu instid0(VALU_DEP_1) | instskip(NEXT) | instid1(VALU_DEP_1)
	v_lshlrev_b32_e32 v26, 8, v26
	v_cndmask_b32_e32 v21, 0, v26, vcc_lo
.LBB6_4169:                             ;   in Loop: Header=BB6_3265 Depth=4
	s_or_b32 exec_lo, exec_lo, s35
.LBB6_4170:                             ;   in Loop: Header=BB6_3265 Depth=4
	s_delay_alu instid0(SALU_CYCLE_1) | instskip(SKIP_3) | instid1(VALU_DEP_1)
	s_or_b32 exec_lo, exec_lo, s34
	v_and_b32_e32 v27, 0xff, v62
	s_mov_b32 s13, 0
	s_mov_b32 s35, exec_lo
                                        ; implicit-def: $sgpr34
	v_cmpx_lt_i16_e32 0x7f, v27
	s_xor_b32 s35, exec_lo, s35
	s_cbranch_execnz .LBB6_5384
; %bb.4171:                             ;   in Loop: Header=BB6_3265 Depth=4
	s_or_saveexec_b32 s35, s35
	v_mov_b32_e32 v26, s34
	s_xor_b32 exec_lo, exec_lo, s35
	s_cbranch_execnz .LBB6_5387
.LBB6_4172:                             ;   in Loop: Header=BB6_3265 Depth=4
	s_or_b32 exec_lo, exec_lo, s35
	s_and_saveexec_b32 s34, s13
	s_cbranch_execz .LBB6_4174
.LBB6_4173:                             ;   in Loop: Header=BB6_3265 Depth=4
	v_bfe_u32 v37, v62, 2, 5
	v_lshlrev_b32_e32 v38, 24, v62
	s_delay_alu instid0(VALU_DEP_2) | instskip(SKIP_1) | instid1(VALU_DEP_1)
	v_cmp_eq_u32_e32 vcc_lo, 0, v37
	v_and_b32_e32 v26, 3, v62
	v_clz_i32_u32_e32 v27, v26
	s_delay_alu instid0(VALU_DEP_1) | instskip(NEXT) | instid1(VALU_DEP_1)
	v_min_u32_e32 v27, 32, v27
	v_subrev_nc_u32_e32 v36, 29, v27
	v_sub_nc_u32_e32 v27, 30, v27
	s_delay_alu instid0(VALU_DEP_1) | instskip(NEXT) | instid1(VALU_DEP_1)
	v_dual_cndmask_b32 v27, v37, v27 :: v_dual_lshlrev_b32 v36, v36, v62
	v_and_b32_e32 v36, 3, v36
	s_delay_alu instid0(VALU_DEP_2) | instskip(NEXT) | instid1(VALU_DEP_2)
	v_lshl_add_u32 v27, v27, 23, 0x37800000
	v_cndmask_b32_e32 v26, v26, v36, vcc_lo
	v_and_b32_e32 v36, 0x80000000, v38
	s_delay_alu instid0(VALU_DEP_2) | instskip(NEXT) | instid1(VALU_DEP_1)
	v_lshlrev_b32_e32 v26, 21, v26
	v_or3_b32 v26, v36, v27, v26
.LBB6_4174:                             ;   in Loop: Header=BB6_3265 Depth=4
	s_or_b32 exec_lo, exec_lo, s34
	v_and_b32_e32 v36, 0xff, v22
	s_mov_b32 s13, 0
	s_mov_b32 s35, exec_lo
                                        ; implicit-def: $sgpr34
	s_delay_alu instid0(VALU_DEP_1)
	v_cmpx_lt_i16_e32 0x7f, v36
	s_xor_b32 s35, exec_lo, s35
	s_cbranch_execnz .LBB6_5388
; %bb.4175:                             ;   in Loop: Header=BB6_3265 Depth=4
	s_or_saveexec_b32 s35, s35
	v_mov_b32_e32 v27, s34
	s_xor_b32 exec_lo, exec_lo, s35
	s_cbranch_execnz .LBB6_5391
.LBB6_4176:                             ;   in Loop: Header=BB6_3265 Depth=4
	s_or_b32 exec_lo, exec_lo, s35
	s_and_saveexec_b32 s34, s13
	s_cbranch_execz .LBB6_4178
.LBB6_4177:                             ;   in Loop: Header=BB6_3265 Depth=4
	v_bfe_u32 v38, v22, 2, 5
	v_lshlrev_b32_e32 v39, 24, v22
	s_delay_alu instid0(VALU_DEP_2) | instskip(SKIP_1) | instid1(VALU_DEP_1)
	v_cmp_eq_u32_e32 vcc_lo, 0, v38
	v_and_b32_e32 v27, 3, v22
	v_clz_i32_u32_e32 v36, v27
	s_delay_alu instid0(VALU_DEP_1) | instskip(NEXT) | instid1(VALU_DEP_1)
	v_min_u32_e32 v36, 32, v36
	v_subrev_nc_u32_e32 v37, 29, v36
	v_sub_nc_u32_e32 v36, 30, v36
	s_delay_alu instid0(VALU_DEP_1) | instskip(NEXT) | instid1(VALU_DEP_1)
	v_dual_cndmask_b32 v36, v38, v36 :: v_dual_lshlrev_b32 v37, v37, v22
	v_and_b32_e32 v37, 3, v37
	s_delay_alu instid0(VALU_DEP_2) | instskip(NEXT) | instid1(VALU_DEP_2)
	v_lshl_add_u32 v36, v36, 23, 0x37800000
	v_cndmask_b32_e32 v27, v27, v37, vcc_lo
	v_and_b32_e32 v37, 0x80000000, v39
	s_delay_alu instid0(VALU_DEP_2) | instskip(NEXT) | instid1(VALU_DEP_1)
	v_lshlrev_b32_e32 v27, 21, v27
	v_or3_b32 v27, v37, v36, v27
.LBB6_4178:                             ;   in Loop: Header=BB6_3265 Depth=4
	s_or_b32 exec_lo, exec_lo, s34
	s_delay_alu instid0(VALU_DEP_1) | instskip(SKIP_2) | instid1(VALU_DEP_2)
	v_add_f32_e32 v26, v26, v27
	v_mov_b32_e32 v62, 0x80
	s_mov_b32 s34, exec_lo
	v_and_b32_e32 v27, 0x7f800000, v26
	s_delay_alu instid0(VALU_DEP_1)
	v_cmpx_ne_u32_e32 0x7f800000, v27
	s_cbranch_execz .LBB6_4186
; %bb.4179:                             ;   in Loop: Header=BB6_3265 Depth=4
	v_mov_b32_e32 v62, 0
	s_mov_b32 s35, exec_lo
	v_cmpx_ne_u32_e32 0, v26
	s_cbranch_execz .LBB6_4185
; %bb.4180:                             ;   in Loop: Header=BB6_3265 Depth=4
	v_bfe_u32 v27, v26, 23, 8
	s_delay_alu instid0(VALU_DEP_1) | instskip(SKIP_1) | instid1(VALU_DEP_2)
	v_sub_nc_u32_e32 v37, 0x70, v27
	v_cmp_gt_u32_e32 vcc_lo, 0x71, v27
	v_dual_cndmask_b32 v37, 0, v37 :: v_dual_and_b32 v36, 0x7fffff, v26
	s_delay_alu instid0(VALU_DEP_1) | instskip(SKIP_2) | instid1(VALU_DEP_4)
	v_or_b32_e32 v38, 0x800000, v36
	v_cmp_eq_u32_e32 vcc_lo, 0, v27
	v_add_nc_u32_e32 v27, 0xffffff91, v27
	v_cndmask_b32_e64 v37, v37, 0x6f, vcc_lo
	s_delay_alu instid0(VALU_DEP_4) | instskip(NEXT) | instid1(VALU_DEP_3)
	v_cndmask_b32_e32 v36, v38, v36, vcc_lo
	v_cndmask_b32_e64 v27, v27, 0xffffff92, vcc_lo
	s_delay_alu instid0(VALU_DEP_3) | instskip(NEXT) | instid1(VALU_DEP_3)
	v_lshl_add_u32 v38, 0x200000, v37, -1
	v_lshrrev_b32_e32 v39, v37, v36
	v_lshlrev_b32_e64 v49, v37, 0x100000
	s_delay_alu instid0(VALU_DEP_4) | instskip(NEXT) | instid1(VALU_DEP_4)
	v_add_nc_u32_e32 v37, v37, v27
	v_and_b32_e32 v36, v38, v36
	s_delay_alu instid0(VALU_DEP_4) | instskip(NEXT) | instid1(VALU_DEP_2)
	v_bfe_u32 v48, v39, 21, 1
	v_cmp_eq_u32_e64 s13, v36, v49
	s_delay_alu instid0(VALU_DEP_2) | instskip(NEXT) | instid1(VALU_DEP_1)
	v_add_nc_u32_e32 v38, -1, v48
	v_cndmask_b32_e64 v36, 0, v38, s13
	v_lshrrev_b32_e32 v38, 23, v39
	s_mov_b32 s13, exec_lo
	s_delay_alu instid0(VALU_DEP_2) | instskip(NEXT) | instid1(VALU_DEP_2)
	v_add_nc_u32_e32 v36, v36, v39
	v_xor_b32_e32 v38, 1, v38
	s_delay_alu instid0(VALU_DEP_2) | instskip(NEXT) | instid1(VALU_DEP_1)
	v_and_b32_e32 v27, 0x1fffff, v36
	v_add_nc_u32_e32 v36, v27, v39
                                        ; implicit-def: $vgpr27
	s_delay_alu instid0(VALU_DEP_3)
	v_cmpx_ne_u32_e64 v37, v38
	s_xor_b32 s13, exec_lo, s13
; %bb.4181:                             ;   in Loop: Header=BB6_3265 Depth=4
	s_delay_alu instid0(VALU_DEP_2) | instskip(SKIP_2) | instid1(VALU_DEP_2)
	v_cmp_lt_u32_e32 vcc_lo, 0xffffff, v36
	v_sub_nc_u32_e32 v27, v37, v38
	v_cndmask_b32_e64 v37, 0, 1, vcc_lo
	v_add_co_ci_u32_e32 v27, vcc_lo, 0, v27, vcc_lo
	s_delay_alu instid0(VALU_DEP_2)
	v_lshrrev_b32_e32 v36, v37, v36
; %bb.4182:                             ;   in Loop: Header=BB6_3265 Depth=4
	s_and_not1_saveexec_b32 s13, s13
; %bb.4183:                             ;   in Loop: Header=BB6_3265 Depth=4
	s_delay_alu instid0(VALU_DEP_1)
	v_bfe_u32 v27, v36, 23, 1
; %bb.4184:                             ;   in Loop: Header=BB6_3265 Depth=4
	s_or_b32 exec_lo, exec_lo, s13
	v_lshrrev_b32_e32 v36, 21, v36
	s_delay_alu instid0(VALU_DEP_2) | instskip(SKIP_2) | instid1(VALU_DEP_4)
	v_cmp_gt_i32_e32 vcc_lo, 32, v27
	v_lshrrev_b32_e32 v26, 24, v26
	v_min_i32_e32 v37, 31, v27
	v_cndmask_b32_e32 v36, 3, v36, vcc_lo
	s_delay_alu instid0(VALU_DEP_3) | instskip(NEXT) | instid1(VALU_DEP_3)
	v_and_b32_e32 v26, 0x80, v26
	v_lshlrev_b32_e32 v37, 2, v37
	s_delay_alu instid0(VALU_DEP_3) | instskip(SKIP_1) | instid1(VALU_DEP_2)
	v_and_b32_e32 v38, 3, v36
	v_or_b32_e32 v27, v27, v36
	v_or3_b32 v26, v37, v26, v38
	s_delay_alu instid0(VALU_DEP_2) | instskip(NEXT) | instid1(VALU_DEP_2)
	v_cmp_ne_u32_e32 vcc_lo, 0, v27
	v_cndmask_b32_e32 v62, 0, v26, vcc_lo
.LBB6_4185:                             ;   in Loop: Header=BB6_3265 Depth=4
	s_or_b32 exec_lo, exec_lo, s35
.LBB6_4186:                             ;   in Loop: Header=BB6_3265 Depth=4
	s_delay_alu instid0(SALU_CYCLE_1) | instskip(SKIP_3) | instid1(VALU_DEP_1)
	s_or_b32 exec_lo, exec_lo, s34
	v_and_b32_e32 v27, 0xff, v75
	s_mov_b32 s13, 0
	s_mov_b32 s35, exec_lo
                                        ; implicit-def: $sgpr34
	v_cmpx_lt_i16_e32 0x7f, v27
	s_xor_b32 s35, exec_lo, s35
	s_cbranch_execnz .LBB6_5392
; %bb.4187:                             ;   in Loop: Header=BB6_3265 Depth=4
	s_or_saveexec_b32 s35, s35
	v_mov_b32_e32 v26, s34
	s_xor_b32 exec_lo, exec_lo, s35
	s_cbranch_execnz .LBB6_5395
.LBB6_4188:                             ;   in Loop: Header=BB6_3265 Depth=4
	s_or_b32 exec_lo, exec_lo, s35
	s_and_saveexec_b32 s34, s13
	s_cbranch_execz .LBB6_4190
.LBB6_4189:                             ;   in Loop: Header=BB6_3265 Depth=4
	v_and_b32_e32 v26, 3, v75
	v_bfe_u32 v37, v75, 2, 5
	v_lshlrev_b32_e32 v38, 24, v75
	s_delay_alu instid0(VALU_DEP_3) | instskip(NEXT) | instid1(VALU_DEP_3)
	v_clz_i32_u32_e32 v27, v26
	v_cmp_eq_u32_e32 vcc_lo, 0, v37
	s_delay_alu instid0(VALU_DEP_2) | instskip(NEXT) | instid1(VALU_DEP_1)
	v_min_u32_e32 v27, 32, v27
	v_subrev_nc_u32_e32 v36, 29, v27
	v_sub_nc_u32_e32 v27, 30, v27
	s_delay_alu instid0(VALU_DEP_2) | instskip(NEXT) | instid1(VALU_DEP_1)
	v_lshlrev_b32_e32 v36, v36, v75
	v_dual_cndmask_b32 v27, v37, v27 :: v_dual_and_b32 v36, 3, v36
	s_delay_alu instid0(VALU_DEP_1) | instskip(NEXT) | instid1(VALU_DEP_2)
	v_lshl_add_u32 v27, v27, 23, 0x37800000
	v_cndmask_b32_e32 v26, v26, v36, vcc_lo
	v_and_b32_e32 v36, 0x80000000, v38
	s_delay_alu instid0(VALU_DEP_2) | instskip(NEXT) | instid1(VALU_DEP_1)
	v_lshlrev_b32_e32 v26, 21, v26
	v_or3_b32 v26, v36, v27, v26
.LBB6_4190:                             ;   in Loop: Header=BB6_3265 Depth=4
	s_or_b32 exec_lo, exec_lo, s34
	v_lshrrev_b16 v27, 8, v22
	s_mov_b32 s13, 0
	s_mov_b32 s35, exec_lo
                                        ; implicit-def: $sgpr34
	s_delay_alu instid0(VALU_DEP_1)
	v_cmpx_lt_i16_e32 0x7f, v27
	s_xor_b32 s35, exec_lo, s35
	s_cbranch_execnz .LBB6_5396
; %bb.4191:                             ;   in Loop: Header=BB6_3265 Depth=4
	s_or_saveexec_b32 s35, s35
	v_mov_b32_e32 v36, s34
	s_xor_b32 exec_lo, exec_lo, s35
	s_cbranch_execnz .LBB6_5399
.LBB6_4192:                             ;   in Loop: Header=BB6_3265 Depth=4
	s_or_b32 exec_lo, exec_lo, s35
	s_and_saveexec_b32 s34, s13
	s_cbranch_execz .LBB6_4194
.LBB6_4193:                             ;   in Loop: Header=BB6_3265 Depth=4
	v_and_b32_e32 v36, 0xffff, v27
	v_lshlrev_b32_e32 v27, 24, v27
	s_delay_alu instid0(VALU_DEP_2) | instskip(NEXT) | instid1(VALU_DEP_2)
	v_and_b32_e32 v37, 3, v36
	v_and_b32_e32 v27, 0x80000000, v27
	s_delay_alu instid0(VALU_DEP_2) | instskip(NEXT) | instid1(VALU_DEP_1)
	v_clz_i32_u32_e32 v38, v37
	v_min_u32_e32 v38, 32, v38
	s_delay_alu instid0(VALU_DEP_1) | instskip(SKIP_1) | instid1(VALU_DEP_2)
	v_subrev_nc_u32_e32 v39, 29, v38
	v_sub_nc_u32_e32 v38, 30, v38
	v_lshlrev_b32_e32 v39, v39, v36
	v_bfe_u32 v36, v36, 2, 5
	s_delay_alu instid0(VALU_DEP_2) | instskip(NEXT) | instid1(VALU_DEP_2)
	v_and_b32_e32 v39, 3, v39
	v_cmp_eq_u32_e32 vcc_lo, 0, v36
	s_delay_alu instid0(VALU_DEP_2) | instskip(NEXT) | instid1(VALU_DEP_1)
	v_dual_cndmask_b32 v36, v36, v38 :: v_dual_cndmask_b32 v37, v37, v39
	v_lshl_add_u32 v36, v36, 23, 0x37800000
	s_delay_alu instid0(VALU_DEP_2) | instskip(NEXT) | instid1(VALU_DEP_1)
	v_lshlrev_b32_e32 v37, 21, v37
	v_or3_b32 v36, v27, v36, v37
.LBB6_4194:                             ;   in Loop: Header=BB6_3265 Depth=4
	s_or_b32 exec_lo, exec_lo, s34
	s_delay_alu instid0(VALU_DEP_1) | instskip(SKIP_1) | instid1(VALU_DEP_1)
	v_dual_add_f32 v26, v26, v36 :: v_dual_mov_b32 v75, 0x80
	s_mov_b32 s34, exec_lo
	v_and_b32_e32 v27, 0x7f800000, v26
	s_delay_alu instid0(VALU_DEP_1)
	v_cmpx_ne_u32_e32 0x7f800000, v27
	s_cbranch_execz .LBB6_4202
; %bb.4195:                             ;   in Loop: Header=BB6_3265 Depth=4
	v_mov_b32_e32 v75, 0
	s_mov_b32 s35, exec_lo
	v_cmpx_ne_u32_e32 0, v26
	s_cbranch_execz .LBB6_4201
; %bb.4196:                             ;   in Loop: Header=BB6_3265 Depth=4
	v_bfe_u32 v27, v26, 23, 8
	s_delay_alu instid0(VALU_DEP_1) | instskip(SKIP_1) | instid1(VALU_DEP_2)
	v_sub_nc_u32_e32 v37, 0x70, v27
	v_cmp_gt_u32_e32 vcc_lo, 0x71, v27
	v_dual_cndmask_b32 v37, 0, v37 :: v_dual_and_b32 v36, 0x7fffff, v26
	s_delay_alu instid0(VALU_DEP_1) | instskip(SKIP_2) | instid1(VALU_DEP_4)
	v_or_b32_e32 v38, 0x800000, v36
	v_cmp_eq_u32_e32 vcc_lo, 0, v27
	v_add_nc_u32_e32 v27, 0xffffff91, v27
	v_cndmask_b32_e64 v37, v37, 0x6f, vcc_lo
	s_delay_alu instid0(VALU_DEP_4) | instskip(NEXT) | instid1(VALU_DEP_3)
	v_cndmask_b32_e32 v36, v38, v36, vcc_lo
	v_cndmask_b32_e64 v27, v27, 0xffffff92, vcc_lo
	s_delay_alu instid0(VALU_DEP_3) | instskip(NEXT) | instid1(VALU_DEP_3)
	v_lshl_add_u32 v38, 0x200000, v37, -1
	v_lshrrev_b32_e32 v39, v37, v36
	v_lshlrev_b32_e64 v49, v37, 0x100000
	s_delay_alu instid0(VALU_DEP_4) | instskip(NEXT) | instid1(VALU_DEP_4)
	v_add_nc_u32_e32 v37, v37, v27
	v_and_b32_e32 v36, v38, v36
	s_delay_alu instid0(VALU_DEP_4) | instskip(NEXT) | instid1(VALU_DEP_2)
	v_bfe_u32 v48, v39, 21, 1
	v_cmp_eq_u32_e64 s13, v36, v49
	s_delay_alu instid0(VALU_DEP_2) | instskip(NEXT) | instid1(VALU_DEP_1)
	v_add_nc_u32_e32 v38, -1, v48
	v_cndmask_b32_e64 v36, 0, v38, s13
	v_lshrrev_b32_e32 v38, 23, v39
	s_mov_b32 s13, exec_lo
	s_delay_alu instid0(VALU_DEP_2) | instskip(NEXT) | instid1(VALU_DEP_2)
	v_add_nc_u32_e32 v36, v36, v39
	v_xor_b32_e32 v38, 1, v38
	s_delay_alu instid0(VALU_DEP_2) | instskip(NEXT) | instid1(VALU_DEP_1)
	v_and_b32_e32 v27, 0x1fffff, v36
	v_add_nc_u32_e32 v36, v27, v39
                                        ; implicit-def: $vgpr27
	s_delay_alu instid0(VALU_DEP_3)
	v_cmpx_ne_u32_e64 v37, v38
	s_xor_b32 s13, exec_lo, s13
; %bb.4197:                             ;   in Loop: Header=BB6_3265 Depth=4
	s_delay_alu instid0(VALU_DEP_2) | instskip(SKIP_2) | instid1(VALU_DEP_2)
	v_cmp_lt_u32_e32 vcc_lo, 0xffffff, v36
	v_sub_nc_u32_e32 v27, v37, v38
	v_cndmask_b32_e64 v37, 0, 1, vcc_lo
	v_add_co_ci_u32_e32 v27, vcc_lo, 0, v27, vcc_lo
	s_delay_alu instid0(VALU_DEP_2)
	v_lshrrev_b32_e32 v36, v37, v36
; %bb.4198:                             ;   in Loop: Header=BB6_3265 Depth=4
	s_and_not1_saveexec_b32 s13, s13
; %bb.4199:                             ;   in Loop: Header=BB6_3265 Depth=4
	s_delay_alu instid0(VALU_DEP_1)
	v_bfe_u32 v27, v36, 23, 1
; %bb.4200:                             ;   in Loop: Header=BB6_3265 Depth=4
	s_or_b32 exec_lo, exec_lo, s13
	v_lshrrev_b32_e32 v36, 21, v36
	s_delay_alu instid0(VALU_DEP_2) | instskip(SKIP_2) | instid1(VALU_DEP_2)
	v_cmp_gt_i32_e32 vcc_lo, 32, v27
	v_min_i32_e32 v37, 31, v27
	v_lshrrev_b32_e32 v26, 24, v26
	v_dual_cndmask_b32 v36, 3, v36 :: v_dual_lshlrev_b32 v37, 2, v37
	s_delay_alu instid0(VALU_DEP_2) | instskip(NEXT) | instid1(VALU_DEP_2)
	v_and_b32_e32 v26, 0x80, v26
	v_or_b32_e32 v27, v27, v36
	s_delay_alu instid0(VALU_DEP_1) | instskip(SKIP_1) | instid1(VALU_DEP_1)
	v_cmp_ne_u32_e32 vcc_lo, 0, v27
	v_and_b32_e32 v38, 3, v36
	v_or3_b32 v26, v37, v26, v38
	s_delay_alu instid0(VALU_DEP_1)
	v_cndmask_b32_e32 v75, 0, v26, vcc_lo
.LBB6_4201:                             ;   in Loop: Header=BB6_3265 Depth=4
	s_or_b32 exec_lo, exec_lo, s35
.LBB6_4202:                             ;   in Loop: Header=BB6_3265 Depth=4
	s_delay_alu instid0(SALU_CYCLE_1) | instskip(SKIP_3) | instid1(VALU_DEP_1)
	s_or_b32 exec_lo, exec_lo, s34
	v_and_b32_e32 v27, 0xff, v79
	s_mov_b32 s13, 0
	s_mov_b32 s35, exec_lo
                                        ; implicit-def: $sgpr34
	v_cmpx_lt_i16_e32 0x7f, v27
	s_xor_b32 s35, exec_lo, s35
	s_cbranch_execnz .LBB6_5400
; %bb.4203:                             ;   in Loop: Header=BB6_3265 Depth=4
	s_or_saveexec_b32 s35, s35
	v_mov_b32_e32 v26, s34
	s_xor_b32 exec_lo, exec_lo, s35
	s_cbranch_execnz .LBB6_5403
.LBB6_4204:                             ;   in Loop: Header=BB6_3265 Depth=4
	s_or_b32 exec_lo, exec_lo, s35
	s_and_saveexec_b32 s34, s13
	s_cbranch_execz .LBB6_4206
.LBB6_4205:                             ;   in Loop: Header=BB6_3265 Depth=4
	v_and_b32_e32 v26, 3, v79
	v_bfe_u32 v37, v79, 2, 5
	v_lshlrev_b32_e32 v38, 24, v79
	s_delay_alu instid0(VALU_DEP_3) | instskip(NEXT) | instid1(VALU_DEP_3)
	v_clz_i32_u32_e32 v27, v26
	v_cmp_eq_u32_e32 vcc_lo, 0, v37
	s_delay_alu instid0(VALU_DEP_2) | instskip(NEXT) | instid1(VALU_DEP_1)
	v_min_u32_e32 v27, 32, v27
	v_subrev_nc_u32_e32 v36, 29, v27
	v_sub_nc_u32_e32 v27, 30, v27
	s_delay_alu instid0(VALU_DEP_2) | instskip(NEXT) | instid1(VALU_DEP_1)
	v_lshlrev_b32_e32 v36, v36, v79
	v_dual_cndmask_b32 v27, v37, v27 :: v_dual_and_b32 v36, 3, v36
	s_delay_alu instid0(VALU_DEP_1) | instskip(NEXT) | instid1(VALU_DEP_2)
	v_lshl_add_u32 v27, v27, 23, 0x37800000
	v_cndmask_b32_e32 v26, v26, v36, vcc_lo
	v_and_b32_e32 v36, 0x80000000, v38
	s_delay_alu instid0(VALU_DEP_2) | instskip(NEXT) | instid1(VALU_DEP_1)
	v_lshlrev_b32_e32 v26, 21, v26
	v_or3_b32 v26, v36, v27, v26
.LBB6_4206:                             ;   in Loop: Header=BB6_3265 Depth=4
	s_or_b32 exec_lo, exec_lo, s34
	v_lshrrev_b32_e32 v27, 16, v22
	s_mov_b32 s13, 0
	s_mov_b32 s35, exec_lo
                                        ; implicit-def: $sgpr34
	s_delay_alu instid0(VALU_DEP_1) | instskip(NEXT) | instid1(VALU_DEP_1)
	v_and_b32_e32 v37, 0xff, v27
	v_cmpx_lt_i16_e32 0x7f, v37
	s_xor_b32 s35, exec_lo, s35
	s_cbranch_execnz .LBB6_5404
; %bb.4207:                             ;   in Loop: Header=BB6_3265 Depth=4
	s_or_saveexec_b32 s35, s35
	v_mov_b32_e32 v36, s34
	s_xor_b32 exec_lo, exec_lo, s35
	s_cbranch_execnz .LBB6_5407
.LBB6_4208:                             ;   in Loop: Header=BB6_3265 Depth=4
	s_or_b32 exec_lo, exec_lo, s35
	s_and_saveexec_b32 s34, s13
	s_cbranch_execz .LBB6_4210
.LBB6_4209:                             ;   in Loop: Header=BB6_3265 Depth=4
	v_bfe_u32 v36, v22, 16, 2
	v_lshlrev_b32_e32 v39, 8, v22
	s_delay_alu instid0(VALU_DEP_2) | instskip(NEXT) | instid1(VALU_DEP_1)
	v_clz_i32_u32_e32 v37, v36
	v_min_u32_e32 v37, 32, v37
	s_delay_alu instid0(VALU_DEP_1) | instskip(SKIP_1) | instid1(VALU_DEP_2)
	v_subrev_nc_u32_e32 v38, 29, v37
	v_sub_nc_u32_e32 v37, 30, v37
	v_lshlrev_b32_e32 v27, v38, v27
	v_bfe_u32 v38, v22, 18, 5
	s_delay_alu instid0(VALU_DEP_2) | instskip(NEXT) | instid1(VALU_DEP_2)
	v_and_b32_e32 v27, 3, v27
	v_cmp_eq_u32_e32 vcc_lo, 0, v38
	v_cndmask_b32_e32 v37, v38, v37, vcc_lo
	s_delay_alu instid0(VALU_DEP_3) | instskip(SKIP_1) | instid1(VALU_DEP_3)
	v_cndmask_b32_e32 v27, v36, v27, vcc_lo
	v_and_b32_e32 v36, 0x80000000, v39
	v_lshl_add_u32 v37, v37, 23, 0x37800000
	s_delay_alu instid0(VALU_DEP_3) | instskip(NEXT) | instid1(VALU_DEP_1)
	v_lshlrev_b32_e32 v27, 21, v27
	v_or3_b32 v36, v36, v37, v27
.LBB6_4210:                             ;   in Loop: Header=BB6_3265 Depth=4
	s_or_b32 exec_lo, exec_lo, s34
	s_delay_alu instid0(VALU_DEP_1) | instskip(SKIP_1) | instid1(VALU_DEP_1)
	v_dual_add_f32 v26, v26, v36 :: v_dual_mov_b32 v79, 0x80
	s_mov_b32 s34, exec_lo
	v_and_b32_e32 v27, 0x7f800000, v26
	s_delay_alu instid0(VALU_DEP_1)
	v_cmpx_ne_u32_e32 0x7f800000, v27
	s_cbranch_execz .LBB6_4218
; %bb.4211:                             ;   in Loop: Header=BB6_3265 Depth=4
	v_mov_b32_e32 v79, 0
	s_mov_b32 s35, exec_lo
	v_cmpx_ne_u32_e32 0, v26
	s_cbranch_execz .LBB6_4217
; %bb.4212:                             ;   in Loop: Header=BB6_3265 Depth=4
	v_bfe_u32 v27, v26, 23, 8
	s_delay_alu instid0(VALU_DEP_1) | instskip(SKIP_1) | instid1(VALU_DEP_2)
	v_sub_nc_u32_e32 v37, 0x70, v27
	v_cmp_gt_u32_e32 vcc_lo, 0x71, v27
	v_dual_cndmask_b32 v37, 0, v37 :: v_dual_and_b32 v36, 0x7fffff, v26
	s_delay_alu instid0(VALU_DEP_1) | instskip(SKIP_2) | instid1(VALU_DEP_4)
	v_or_b32_e32 v38, 0x800000, v36
	v_cmp_eq_u32_e32 vcc_lo, 0, v27
	v_add_nc_u32_e32 v27, 0xffffff91, v27
	v_cndmask_b32_e64 v37, v37, 0x6f, vcc_lo
	s_delay_alu instid0(VALU_DEP_4) | instskip(NEXT) | instid1(VALU_DEP_3)
	v_cndmask_b32_e32 v36, v38, v36, vcc_lo
	v_cndmask_b32_e64 v27, v27, 0xffffff92, vcc_lo
	s_delay_alu instid0(VALU_DEP_3) | instskip(NEXT) | instid1(VALU_DEP_3)
	v_lshl_add_u32 v38, 0x200000, v37, -1
	v_lshrrev_b32_e32 v39, v37, v36
	v_lshlrev_b32_e64 v49, v37, 0x100000
	s_delay_alu instid0(VALU_DEP_4) | instskip(NEXT) | instid1(VALU_DEP_4)
	v_add_nc_u32_e32 v37, v37, v27
	v_and_b32_e32 v36, v38, v36
	s_delay_alu instid0(VALU_DEP_4) | instskip(NEXT) | instid1(VALU_DEP_2)
	v_bfe_u32 v48, v39, 21, 1
	v_cmp_eq_u32_e64 s13, v36, v49
	s_delay_alu instid0(VALU_DEP_2) | instskip(NEXT) | instid1(VALU_DEP_1)
	v_add_nc_u32_e32 v38, -1, v48
	v_cndmask_b32_e64 v36, 0, v38, s13
	v_lshrrev_b32_e32 v38, 23, v39
	s_mov_b32 s13, exec_lo
	s_delay_alu instid0(VALU_DEP_2) | instskip(NEXT) | instid1(VALU_DEP_2)
	v_add_nc_u32_e32 v36, v36, v39
	v_xor_b32_e32 v38, 1, v38
	s_delay_alu instid0(VALU_DEP_2) | instskip(NEXT) | instid1(VALU_DEP_1)
	v_and_b32_e32 v27, 0x1fffff, v36
	v_add_nc_u32_e32 v36, v27, v39
                                        ; implicit-def: $vgpr27
	s_delay_alu instid0(VALU_DEP_3)
	v_cmpx_ne_u32_e64 v37, v38
	s_xor_b32 s13, exec_lo, s13
; %bb.4213:                             ;   in Loop: Header=BB6_3265 Depth=4
	s_delay_alu instid0(VALU_DEP_2) | instskip(SKIP_2) | instid1(VALU_DEP_2)
	v_cmp_lt_u32_e32 vcc_lo, 0xffffff, v36
	v_sub_nc_u32_e32 v27, v37, v38
	v_cndmask_b32_e64 v37, 0, 1, vcc_lo
	v_add_co_ci_u32_e32 v27, vcc_lo, 0, v27, vcc_lo
	s_delay_alu instid0(VALU_DEP_2)
	v_lshrrev_b32_e32 v36, v37, v36
; %bb.4214:                             ;   in Loop: Header=BB6_3265 Depth=4
	s_and_not1_saveexec_b32 s13, s13
; %bb.4215:                             ;   in Loop: Header=BB6_3265 Depth=4
	s_delay_alu instid0(VALU_DEP_1)
	v_bfe_u32 v27, v36, 23, 1
; %bb.4216:                             ;   in Loop: Header=BB6_3265 Depth=4
	s_or_b32 exec_lo, exec_lo, s13
	v_lshrrev_b32_e32 v36, 21, v36
	s_delay_alu instid0(VALU_DEP_2) | instskip(SKIP_2) | instid1(VALU_DEP_2)
	v_cmp_gt_i32_e32 vcc_lo, 32, v27
	v_min_i32_e32 v37, 31, v27
	v_lshrrev_b32_e32 v26, 24, v26
	v_dual_cndmask_b32 v36, 3, v36 :: v_dual_lshlrev_b32 v37, 2, v37
	s_delay_alu instid0(VALU_DEP_2) | instskip(NEXT) | instid1(VALU_DEP_2)
	v_and_b32_e32 v26, 0x80, v26
	v_or_b32_e32 v27, v27, v36
	s_delay_alu instid0(VALU_DEP_1) | instskip(SKIP_1) | instid1(VALU_DEP_1)
	v_cmp_ne_u32_e32 vcc_lo, 0, v27
	v_and_b32_e32 v38, 3, v36
	v_or3_b32 v26, v37, v26, v38
	s_delay_alu instid0(VALU_DEP_1)
	v_cndmask_b32_e32 v79, 0, v26, vcc_lo
.LBB6_4217:                             ;   in Loop: Header=BB6_3265 Depth=4
	s_or_b32 exec_lo, exec_lo, s35
.LBB6_4218:                             ;   in Loop: Header=BB6_3265 Depth=4
	s_delay_alu instid0(SALU_CYCLE_1) | instskip(SKIP_3) | instid1(VALU_DEP_1)
	s_or_b32 exec_lo, exec_lo, s34
	v_and_b32_e32 v27, 0xff, v106
	s_mov_b32 s13, 0
	s_mov_b32 s35, exec_lo
                                        ; implicit-def: $sgpr34
	v_cmpx_lt_i16_e32 0x7f, v27
	s_xor_b32 s35, exec_lo, s35
	s_cbranch_execnz .LBB6_5408
; %bb.4219:                             ;   in Loop: Header=BB6_3265 Depth=4
	s_or_saveexec_b32 s35, s35
	v_mov_b32_e32 v26, s34
	s_xor_b32 exec_lo, exec_lo, s35
	s_cbranch_execnz .LBB6_5411
.LBB6_4220:                             ;   in Loop: Header=BB6_3265 Depth=4
	s_or_b32 exec_lo, exec_lo, s35
	s_and_saveexec_b32 s34, s13
	s_cbranch_execz .LBB6_4222
.LBB6_4221:                             ;   in Loop: Header=BB6_3265 Depth=4
	v_lshlrev_b32_e32 v26, 8, v106
	s_delay_alu instid0(VALU_DEP_1) | instskip(SKIP_1) | instid1(VALU_DEP_2)
	v_and_b32_e32 v36, 0xff00, v26
	v_bfe_u32 v26, v26, 10, 5
	v_bfe_u32 v37, v36, 8, 2
	s_delay_alu instid0(VALU_DEP_2) | instskip(SKIP_1) | instid1(VALU_DEP_3)
	v_cmp_eq_u32_e32 vcc_lo, 0, v26
	v_lshlrev_b32_e32 v36, 16, v36
	v_clz_i32_u32_e32 v38, v37
	s_delay_alu instid0(VALU_DEP_2) | instskip(NEXT) | instid1(VALU_DEP_2)
	v_and_b32_e32 v36, 0x80000000, v36
	v_min_u32_e32 v38, 32, v38
	s_delay_alu instid0(VALU_DEP_1) | instskip(SKIP_1) | instid1(VALU_DEP_1)
	v_subrev_nc_u32_e32 v39, 29, v38
	v_sub_nc_u32_e32 v38, 30, v38
	v_dual_cndmask_b32 v26, v26, v38 :: v_dual_lshlrev_b32 v27, v39, v27
	s_delay_alu instid0(VALU_DEP_1) | instskip(NEXT) | instid1(VALU_DEP_2)
	v_and_b32_e32 v27, 3, v27
	v_lshl_add_u32 v26, v26, 23, 0x37800000
	s_delay_alu instid0(VALU_DEP_2) | instskip(NEXT) | instid1(VALU_DEP_1)
	v_cndmask_b32_e32 v27, v37, v27, vcc_lo
	v_lshlrev_b32_e32 v27, 21, v27
	s_delay_alu instid0(VALU_DEP_1)
	v_or3_b32 v26, v36, v26, v27
.LBB6_4222:                             ;   in Loop: Header=BB6_3265 Depth=4
	s_or_b32 exec_lo, exec_lo, s34
	v_lshrrev_b32_e32 v27, 24, v22
	s_mov_b32 s13, 0
	s_mov_b32 s35, exec_lo
                                        ; implicit-def: $sgpr34
	s_delay_alu instid0(VALU_DEP_1)
	v_cmpx_lt_i16_e32 0x7f, v27
	s_xor_b32 s35, exec_lo, s35
	s_cbranch_execnz .LBB6_5412
; %bb.4223:                             ;   in Loop: Header=BB6_3265 Depth=4
	s_or_saveexec_b32 s35, s35
	v_mov_b32_e32 v36, s34
	s_xor_b32 exec_lo, exec_lo, s35
	s_cbranch_execnz .LBB6_5415
.LBB6_4224:                             ;   in Loop: Header=BB6_3265 Depth=4
	s_or_b32 exec_lo, exec_lo, s35
	s_and_saveexec_b32 s34, s13
	s_cbranch_execz .LBB6_4226
.LBB6_4225:                             ;   in Loop: Header=BB6_3265 Depth=4
	v_bfe_u32 v36, v22, 24, 2
	s_delay_alu instid0(VALU_DEP_1) | instskip(NEXT) | instid1(VALU_DEP_1)
	v_clz_i32_u32_e32 v37, v36
	v_min_u32_e32 v37, 32, v37
	s_delay_alu instid0(VALU_DEP_1) | instskip(SKIP_1) | instid1(VALU_DEP_2)
	v_subrev_nc_u32_e32 v38, 29, v37
	v_sub_nc_u32_e32 v37, 30, v37
	v_lshlrev_b32_e32 v27, v38, v27
	v_bfe_u32 v38, v22, 26, 5
	v_and_b32_e32 v22, 0x80000000, v22
	s_delay_alu instid0(VALU_DEP_3) | instskip(NEXT) | instid1(VALU_DEP_3)
	v_and_b32_e32 v27, 3, v27
	v_cmp_eq_u32_e32 vcc_lo, 0, v38
	v_cndmask_b32_e32 v37, v38, v37, vcc_lo
	s_delay_alu instid0(VALU_DEP_3) | instskip(NEXT) | instid1(VALU_DEP_2)
	v_cndmask_b32_e32 v27, v36, v27, vcc_lo
	v_lshl_add_u32 v36, v37, 23, 0x37800000
	s_delay_alu instid0(VALU_DEP_2) | instskip(NEXT) | instid1(VALU_DEP_1)
	v_lshlrev_b32_e32 v27, 21, v27
	v_or3_b32 v36, v22, v36, v27
.LBB6_4226:                             ;   in Loop: Header=BB6_3265 Depth=4
	s_or_b32 exec_lo, exec_lo, s34
	s_delay_alu instid0(VALU_DEP_1) | instskip(NEXT) | instid1(VALU_DEP_1)
	v_add_f32_e32 v26, v26, v36
	v_and_b32_e32 v22, 0x7f800000, v26
	s_delay_alu instid0(VALU_DEP_1)
	v_cmp_ne_u32_e32 vcc_lo, 0x7f800000, v22
	v_mov_b32_e32 v22, 0x80
	s_and_saveexec_b32 s34, vcc_lo
	s_cbranch_execz .LBB6_4234
; %bb.4227:                             ;   in Loop: Header=BB6_3265 Depth=4
	v_mov_b32_e32 v22, 0
	s_mov_b32 s35, exec_lo
	v_cmpx_ne_u32_e32 0, v26
	s_cbranch_execz .LBB6_4233
; %bb.4228:                             ;   in Loop: Header=BB6_3265 Depth=4
	v_bfe_u32 v22, v26, 23, 8
	s_delay_alu instid0(VALU_DEP_1) | instskip(SKIP_1) | instid1(VALU_DEP_2)
	v_sub_nc_u32_e32 v36, 0x70, v22
	v_cmp_gt_u32_e32 vcc_lo, 0x71, v22
	v_dual_cndmask_b32 v36, 0, v36 :: v_dual_and_b32 v27, 0x7fffff, v26
	s_delay_alu instid0(VALU_DEP_1) | instskip(SKIP_2) | instid1(VALU_DEP_4)
	v_or_b32_e32 v37, 0x800000, v27
	v_cmp_eq_u32_e32 vcc_lo, 0, v22
	v_add_nc_u32_e32 v22, 0xffffff91, v22
	v_cndmask_b32_e64 v36, v36, 0x6f, vcc_lo
	s_delay_alu instid0(VALU_DEP_4) | instskip(NEXT) | instid1(VALU_DEP_3)
	v_cndmask_b32_e32 v27, v37, v27, vcc_lo
	v_cndmask_b32_e64 v22, v22, 0xffffff92, vcc_lo
	s_delay_alu instid0(VALU_DEP_3) | instskip(NEXT) | instid1(VALU_DEP_3)
	v_lshl_add_u32 v37, 0x200000, v36, -1
	v_lshrrev_b32_e32 v38, v36, v27
	v_lshlrev_b32_e64 v48, v36, 0x100000
	s_delay_alu instid0(VALU_DEP_4) | instskip(NEXT) | instid1(VALU_DEP_4)
	v_add_nc_u32_e32 v36, v36, v22
	v_and_b32_e32 v27, v37, v27
	s_delay_alu instid0(VALU_DEP_4) | instskip(NEXT) | instid1(VALU_DEP_2)
	v_bfe_u32 v39, v38, 21, 1
	v_cmp_eq_u32_e64 s13, v27, v48
	s_delay_alu instid0(VALU_DEP_2) | instskip(NEXT) | instid1(VALU_DEP_1)
	v_add_nc_u32_e32 v37, -1, v39
	v_cndmask_b32_e64 v27, 0, v37, s13
	v_lshrrev_b32_e32 v37, 23, v38
	s_mov_b32 s13, exec_lo
	s_delay_alu instid0(VALU_DEP_2) | instskip(NEXT) | instid1(VALU_DEP_2)
	v_add_nc_u32_e32 v27, v27, v38
	v_xor_b32_e32 v37, 1, v37
	s_delay_alu instid0(VALU_DEP_2) | instskip(NEXT) | instid1(VALU_DEP_1)
	v_and_b32_e32 v22, 0x1fffff, v27
	v_add_nc_u32_e32 v27, v22, v38
                                        ; implicit-def: $vgpr22
	s_delay_alu instid0(VALU_DEP_3)
	v_cmpx_ne_u32_e64 v36, v37
	s_xor_b32 s13, exec_lo, s13
; %bb.4229:                             ;   in Loop: Header=BB6_3265 Depth=4
	s_delay_alu instid0(VALU_DEP_2) | instskip(SKIP_2) | instid1(VALU_DEP_2)
	v_cmp_lt_u32_e32 vcc_lo, 0xffffff, v27
	v_sub_nc_u32_e32 v22, v36, v37
	v_cndmask_b32_e64 v36, 0, 1, vcc_lo
	v_add_co_ci_u32_e32 v22, vcc_lo, 0, v22, vcc_lo
	s_delay_alu instid0(VALU_DEP_2)
	v_lshrrev_b32_e32 v27, v36, v27
; %bb.4230:                             ;   in Loop: Header=BB6_3265 Depth=4
	s_and_not1_saveexec_b32 s13, s13
; %bb.4231:                             ;   in Loop: Header=BB6_3265 Depth=4
	s_delay_alu instid0(VALU_DEP_1)
	v_bfe_u32 v22, v27, 23, 1
; %bb.4232:                             ;   in Loop: Header=BB6_3265 Depth=4
	s_or_b32 exec_lo, exec_lo, s13
	v_lshrrev_b32_e32 v27, 21, v27
	s_delay_alu instid0(VALU_DEP_2) | instskip(SKIP_2) | instid1(VALU_DEP_2)
	v_cmp_gt_i32_e32 vcc_lo, 32, v22
	v_lshrrev_b32_e32 v26, 24, v26
	v_min_i32_e32 v36, 31, v22
	v_dual_cndmask_b32 v27, 3, v27 :: v_dual_and_b32 v26, 0x80, v26
	s_delay_alu instid0(VALU_DEP_2) | instskip(NEXT) | instid1(VALU_DEP_2)
	v_lshlrev_b32_e32 v36, 2, v36
	v_or_b32_e32 v22, v22, v27
	s_delay_alu instid0(VALU_DEP_1) | instskip(SKIP_1) | instid1(VALU_DEP_1)
	v_cmp_ne_u32_e32 vcc_lo, 0, v22
	v_and_b32_e32 v37, 3, v27
	v_or3_b32 v26, v36, v26, v37
	s_delay_alu instid0(VALU_DEP_1)
	v_cndmask_b32_e32 v22, 0, v26, vcc_lo
.LBB6_4233:                             ;   in Loop: Header=BB6_3265 Depth=4
	s_or_b32 exec_lo, exec_lo, s35
.LBB6_4234:                             ;   in Loop: Header=BB6_3265 Depth=4
	s_delay_alu instid0(SALU_CYCLE_1) | instskip(SKIP_3) | instid1(VALU_DEP_1)
	s_or_b32 exec_lo, exec_lo, s34
	v_or_b32_e32 v26, v124, v104
	s_mov_b32 s13, 0
	s_mov_b32 s35, exec_lo
                                        ; implicit-def: $sgpr34
	v_and_b32_e32 v36, 0xff, v26
	s_delay_alu instid0(VALU_DEP_1)
	v_cmpx_lt_i16_e32 0x7f, v36
	s_xor_b32 s35, exec_lo, s35
	s_cbranch_execnz .LBB6_5416
; %bb.4235:                             ;   in Loop: Header=BB6_3265 Depth=4
	s_or_saveexec_b32 s35, s35
	v_mov_b32_e32 v27, s34
	s_xor_b32 exec_lo, exec_lo, s35
	s_cbranch_execnz .LBB6_5419
.LBB6_4236:                             ;   in Loop: Header=BB6_3265 Depth=4
	s_or_b32 exec_lo, exec_lo, s35
	s_and_saveexec_b32 s34, s13
	s_cbranch_execz .LBB6_4238
.LBB6_4237:                             ;   in Loop: Header=BB6_3265 Depth=4
	v_bfe_u32 v38, v26, 2, 5
	v_lshlrev_b32_e32 v39, 24, v26
	s_delay_alu instid0(VALU_DEP_2) | instskip(SKIP_1) | instid1(VALU_DEP_1)
	v_cmp_eq_u32_e32 vcc_lo, 0, v38
	v_and_b32_e32 v27, 3, v26
	v_clz_i32_u32_e32 v36, v27
	s_delay_alu instid0(VALU_DEP_1) | instskip(NEXT) | instid1(VALU_DEP_1)
	v_min_u32_e32 v36, 32, v36
	v_subrev_nc_u32_e32 v37, 29, v36
	v_sub_nc_u32_e32 v36, 30, v36
	s_delay_alu instid0(VALU_DEP_1) | instskip(NEXT) | instid1(VALU_DEP_1)
	v_dual_cndmask_b32 v36, v38, v36 :: v_dual_lshlrev_b32 v37, v37, v26
	v_and_b32_e32 v37, 3, v37
	s_delay_alu instid0(VALU_DEP_2) | instskip(NEXT) | instid1(VALU_DEP_2)
	v_lshl_add_u32 v36, v36, 23, 0x37800000
	v_cndmask_b32_e32 v27, v27, v37, vcc_lo
	v_and_b32_e32 v37, 0x80000000, v39
	s_delay_alu instid0(VALU_DEP_2) | instskip(NEXT) | instid1(VALU_DEP_1)
	v_lshlrev_b32_e32 v27, 21, v27
	v_or3_b32 v27, v37, v36, v27
.LBB6_4238:                             ;   in Loop: Header=BB6_3265 Depth=4
	s_or_b32 exec_lo, exec_lo, s34
	v_and_b32_e32 v37, 0xff, v23
	s_mov_b32 s13, 0
	s_mov_b32 s35, exec_lo
                                        ; implicit-def: $sgpr34
	s_delay_alu instid0(VALU_DEP_1)
	v_cmpx_lt_i16_e32 0x7f, v37
	s_xor_b32 s35, exec_lo, s35
	s_cbranch_execnz .LBB6_5420
; %bb.4239:                             ;   in Loop: Header=BB6_3265 Depth=4
	s_or_saveexec_b32 s35, s35
	v_mov_b32_e32 v36, s34
	s_xor_b32 exec_lo, exec_lo, s35
	s_cbranch_execnz .LBB6_5423
.LBB6_4240:                             ;   in Loop: Header=BB6_3265 Depth=4
	s_or_b32 exec_lo, exec_lo, s35
	s_and_saveexec_b32 s34, s13
	s_cbranch_execz .LBB6_4242
.LBB6_4241:                             ;   in Loop: Header=BB6_3265 Depth=4
	v_bfe_u32 v39, v23, 2, 5
	v_lshlrev_b32_e32 v48, 24, v23
	s_delay_alu instid0(VALU_DEP_2) | instskip(SKIP_1) | instid1(VALU_DEP_1)
	v_cmp_eq_u32_e32 vcc_lo, 0, v39
	v_and_b32_e32 v36, 3, v23
	v_clz_i32_u32_e32 v37, v36
	s_delay_alu instid0(VALU_DEP_1) | instskip(NEXT) | instid1(VALU_DEP_1)
	v_min_u32_e32 v37, 32, v37
	v_subrev_nc_u32_e32 v38, 29, v37
	v_sub_nc_u32_e32 v37, 30, v37
	s_delay_alu instid0(VALU_DEP_1) | instskip(NEXT) | instid1(VALU_DEP_1)
	v_dual_cndmask_b32 v37, v39, v37 :: v_dual_lshlrev_b32 v38, v38, v23
	v_and_b32_e32 v38, 3, v38
	s_delay_alu instid0(VALU_DEP_2) | instskip(NEXT) | instid1(VALU_DEP_2)
	v_lshl_add_u32 v37, v37, 23, 0x37800000
	v_cndmask_b32_e32 v36, v36, v38, vcc_lo
	v_and_b32_e32 v38, 0x80000000, v48
	s_delay_alu instid0(VALU_DEP_2) | instskip(NEXT) | instid1(VALU_DEP_1)
	v_lshlrev_b32_e32 v36, 21, v36
	v_or3_b32 v36, v38, v37, v36
.LBB6_4242:                             ;   in Loop: Header=BB6_3265 Depth=4
	s_or_b32 exec_lo, exec_lo, s34
	s_delay_alu instid0(VALU_DEP_1) | instskip(SKIP_1) | instid1(VALU_DEP_1)
	v_dual_add_f32 v27, v27, v36 :: v_dual_mov_b32 v104, 0x80
	s_mov_b32 s34, exec_lo
	v_and_b32_e32 v36, 0x7f800000, v27
	s_delay_alu instid0(VALU_DEP_1)
	v_cmpx_ne_u32_e32 0x7f800000, v36
	s_cbranch_execz .LBB6_4250
; %bb.4243:                             ;   in Loop: Header=BB6_3265 Depth=4
	v_mov_b32_e32 v104, 0
	s_mov_b32 s35, exec_lo
	v_cmpx_ne_u32_e32 0, v27
	s_cbranch_execz .LBB6_4249
; %bb.4244:                             ;   in Loop: Header=BB6_3265 Depth=4
	v_bfe_u32 v36, v27, 23, 8
	s_delay_alu instid0(VALU_DEP_1) | instskip(SKIP_1) | instid1(VALU_DEP_2)
	v_sub_nc_u32_e32 v38, 0x70, v36
	v_cmp_gt_u32_e32 vcc_lo, 0x71, v36
	v_dual_cndmask_b32 v38, 0, v38 :: v_dual_and_b32 v37, 0x7fffff, v27
	s_delay_alu instid0(VALU_DEP_1) | instskip(SKIP_2) | instid1(VALU_DEP_4)
	v_or_b32_e32 v39, 0x800000, v37
	v_cmp_eq_u32_e32 vcc_lo, 0, v36
	v_add_nc_u32_e32 v36, 0xffffff91, v36
	v_cndmask_b32_e64 v38, v38, 0x6f, vcc_lo
	s_delay_alu instid0(VALU_DEP_4) | instskip(NEXT) | instid1(VALU_DEP_3)
	v_cndmask_b32_e32 v37, v39, v37, vcc_lo
	v_cndmask_b32_e64 v36, v36, 0xffffff92, vcc_lo
	s_delay_alu instid0(VALU_DEP_3) | instskip(NEXT) | instid1(VALU_DEP_3)
	v_lshl_add_u32 v39, 0x200000, v38, -1
	v_lshrrev_b32_e32 v48, v38, v37
	v_lshlrev_b32_e64 v50, v38, 0x100000
	s_delay_alu instid0(VALU_DEP_4) | instskip(NEXT) | instid1(VALU_DEP_4)
	v_add_nc_u32_e32 v38, v38, v36
	v_and_b32_e32 v37, v39, v37
	s_delay_alu instid0(VALU_DEP_4) | instskip(NEXT) | instid1(VALU_DEP_2)
	v_bfe_u32 v49, v48, 21, 1
	v_cmp_eq_u32_e64 s13, v37, v50
	s_delay_alu instid0(VALU_DEP_2) | instskip(NEXT) | instid1(VALU_DEP_1)
	v_add_nc_u32_e32 v39, -1, v49
	v_cndmask_b32_e64 v37, 0, v39, s13
	v_lshrrev_b32_e32 v39, 23, v48
	s_mov_b32 s13, exec_lo
	s_delay_alu instid0(VALU_DEP_2) | instskip(NEXT) | instid1(VALU_DEP_2)
	v_add_nc_u32_e32 v37, v37, v48
	v_xor_b32_e32 v39, 1, v39
	s_delay_alu instid0(VALU_DEP_2) | instskip(NEXT) | instid1(VALU_DEP_1)
	v_and_b32_e32 v36, 0x1fffff, v37
	v_add_nc_u32_e32 v37, v36, v48
                                        ; implicit-def: $vgpr36
	s_delay_alu instid0(VALU_DEP_3)
	v_cmpx_ne_u32_e64 v38, v39
	s_xor_b32 s13, exec_lo, s13
; %bb.4245:                             ;   in Loop: Header=BB6_3265 Depth=4
	s_delay_alu instid0(VALU_DEP_2) | instskip(SKIP_2) | instid1(VALU_DEP_2)
	v_cmp_lt_u32_e32 vcc_lo, 0xffffff, v37
	v_sub_nc_u32_e32 v36, v38, v39
	v_cndmask_b32_e64 v38, 0, 1, vcc_lo
	v_add_co_ci_u32_e32 v36, vcc_lo, 0, v36, vcc_lo
	s_delay_alu instid0(VALU_DEP_2)
	v_lshrrev_b32_e32 v37, v38, v37
; %bb.4246:                             ;   in Loop: Header=BB6_3265 Depth=4
	s_and_not1_saveexec_b32 s13, s13
; %bb.4247:                             ;   in Loop: Header=BB6_3265 Depth=4
	s_delay_alu instid0(VALU_DEP_1)
	v_bfe_u32 v36, v37, 23, 1
; %bb.4248:                             ;   in Loop: Header=BB6_3265 Depth=4
	s_or_b32 exec_lo, exec_lo, s13
	v_lshrrev_b32_e32 v37, 21, v37
	s_delay_alu instid0(VALU_DEP_2) | instskip(SKIP_2) | instid1(VALU_DEP_2)
	v_cmp_gt_i32_e32 vcc_lo, 32, v36
	v_min_i32_e32 v38, 31, v36
	v_lshrrev_b32_e32 v27, 24, v27
	v_dual_cndmask_b32 v37, 3, v37 :: v_dual_lshlrev_b32 v38, 2, v38
	s_delay_alu instid0(VALU_DEP_2) | instskip(NEXT) | instid1(VALU_DEP_2)
	v_and_b32_e32 v27, 0x80, v27
	v_or_b32_e32 v36, v36, v37
	s_delay_alu instid0(VALU_DEP_1) | instskip(SKIP_1) | instid1(VALU_DEP_1)
	v_cmp_ne_u32_e32 vcc_lo, 0, v36
	v_and_b32_e32 v39, 3, v37
	v_or3_b32 v27, v38, v27, v39
	s_delay_alu instid0(VALU_DEP_1)
	v_cndmask_b32_e32 v104, 0, v27, vcc_lo
.LBB6_4249:                             ;   in Loop: Header=BB6_3265 Depth=4
	s_or_b32 exec_lo, exec_lo, s35
.LBB6_4250:                             ;   in Loop: Header=BB6_3265 Depth=4
	s_delay_alu instid0(SALU_CYCLE_1) | instskip(SKIP_3) | instid1(VALU_DEP_1)
	s_or_b32 exec_lo, exec_lo, s34
	v_lshrrev_b16 v36, 8, v26
	s_mov_b32 s13, 0
	s_mov_b32 s35, exec_lo
                                        ; implicit-def: $sgpr34
	v_cmpx_lt_i16_e32 0x7f, v36
	s_xor_b32 s35, exec_lo, s35
	s_cbranch_execnz .LBB6_5424
; %bb.4251:                             ;   in Loop: Header=BB6_3265 Depth=4
	s_or_saveexec_b32 s35, s35
	v_mov_b32_e32 v27, s34
	s_xor_b32 exec_lo, exec_lo, s35
	s_cbranch_execnz .LBB6_5427
.LBB6_4252:                             ;   in Loop: Header=BB6_3265 Depth=4
	s_or_b32 exec_lo, exec_lo, s35
	s_and_saveexec_b32 s34, s13
	s_cbranch_execz .LBB6_4254
.LBB6_4253:                             ;   in Loop: Header=BB6_3265 Depth=4
	v_and_b32_e32 v27, 0xffff, v36
	s_delay_alu instid0(VALU_DEP_1) | instskip(NEXT) | instid1(VALU_DEP_1)
	v_and_b32_e32 v37, 3, v27
	v_clz_i32_u32_e32 v38, v37
	s_delay_alu instid0(VALU_DEP_1) | instskip(NEXT) | instid1(VALU_DEP_1)
	v_min_u32_e32 v38, 32, v38
	v_subrev_nc_u32_e32 v39, 29, v38
	v_sub_nc_u32_e32 v38, 30, v38
	s_delay_alu instid0(VALU_DEP_2) | instskip(SKIP_1) | instid1(VALU_DEP_2)
	v_lshlrev_b32_e32 v39, v39, v27
	v_bfe_u32 v27, v27, 2, 5
	v_and_b32_e32 v39, 3, v39
	s_delay_alu instid0(VALU_DEP_2) | instskip(SKIP_1) | instid1(VALU_DEP_1)
	v_cmp_eq_u32_e32 vcc_lo, 0, v27
	v_dual_cndmask_b32 v27, v27, v38 :: v_dual_lshlrev_b32 v36, 24, v36
	v_dual_cndmask_b32 v37, v37, v39 :: v_dual_and_b32 v36, 0x80000000, v36
	s_delay_alu instid0(VALU_DEP_2) | instskip(NEXT) | instid1(VALU_DEP_2)
	v_lshl_add_u32 v27, v27, 23, 0x37800000
	v_lshlrev_b32_e32 v37, 21, v37
	s_delay_alu instid0(VALU_DEP_1)
	v_or3_b32 v27, v36, v27, v37
.LBB6_4254:                             ;   in Loop: Header=BB6_3265 Depth=4
	s_or_b32 exec_lo, exec_lo, s34
	v_lshrrev_b16 v36, 8, v23
	s_mov_b32 s13, 0
	s_mov_b32 s35, exec_lo
                                        ; implicit-def: $sgpr34
	s_delay_alu instid0(VALU_DEP_1)
	v_cmpx_lt_i16_e32 0x7f, v36
	s_xor_b32 s35, exec_lo, s35
	s_cbranch_execnz .LBB6_5428
; %bb.4255:                             ;   in Loop: Header=BB6_3265 Depth=4
	s_or_saveexec_b32 s35, s35
	v_mov_b32_e32 v37, s34
	s_xor_b32 exec_lo, exec_lo, s35
	s_cbranch_execnz .LBB6_5431
.LBB6_4256:                             ;   in Loop: Header=BB6_3265 Depth=4
	s_or_b32 exec_lo, exec_lo, s35
	s_and_saveexec_b32 s34, s13
	s_cbranch_execz .LBB6_4258
.LBB6_4257:                             ;   in Loop: Header=BB6_3265 Depth=4
	v_and_b32_e32 v37, 0xffff, v36
	v_lshlrev_b32_e32 v36, 24, v36
	s_delay_alu instid0(VALU_DEP_2) | instskip(NEXT) | instid1(VALU_DEP_2)
	v_and_b32_e32 v38, 3, v37
	v_and_b32_e32 v36, 0x80000000, v36
	s_delay_alu instid0(VALU_DEP_2) | instskip(NEXT) | instid1(VALU_DEP_1)
	v_clz_i32_u32_e32 v39, v38
	v_min_u32_e32 v39, 32, v39
	s_delay_alu instid0(VALU_DEP_1) | instskip(SKIP_1) | instid1(VALU_DEP_2)
	v_subrev_nc_u32_e32 v48, 29, v39
	v_sub_nc_u32_e32 v39, 30, v39
	v_lshlrev_b32_e32 v48, v48, v37
	v_bfe_u32 v37, v37, 2, 5
	s_delay_alu instid0(VALU_DEP_2) | instskip(NEXT) | instid1(VALU_DEP_2)
	v_and_b32_e32 v48, 3, v48
	v_cmp_eq_u32_e32 vcc_lo, 0, v37
	s_delay_alu instid0(VALU_DEP_2) | instskip(NEXT) | instid1(VALU_DEP_1)
	v_dual_cndmask_b32 v37, v37, v39 :: v_dual_cndmask_b32 v38, v38, v48
	v_lshl_add_u32 v37, v37, 23, 0x37800000
	s_delay_alu instid0(VALU_DEP_2) | instskip(NEXT) | instid1(VALU_DEP_1)
	v_lshlrev_b32_e32 v38, 21, v38
	v_or3_b32 v37, v36, v37, v38
.LBB6_4258:                             ;   in Loop: Header=BB6_3265 Depth=4
	s_or_b32 exec_lo, exec_lo, s34
	s_delay_alu instid0(VALU_DEP_1) | instskip(SKIP_1) | instid1(VALU_DEP_1)
	v_dual_add_f32 v27, v27, v37 :: v_dual_mov_b32 v106, 0x8000
	s_mov_b32 s34, exec_lo
	v_and_b32_e32 v36, 0x7f800000, v27
	s_delay_alu instid0(VALU_DEP_1)
	v_cmpx_ne_u32_e32 0x7f800000, v36
	s_cbranch_execz .LBB6_4266
; %bb.4259:                             ;   in Loop: Header=BB6_3265 Depth=4
	v_mov_b32_e32 v106, 0
	s_mov_b32 s35, exec_lo
	v_cmpx_ne_u32_e32 0, v27
	s_cbranch_execz .LBB6_4265
; %bb.4260:                             ;   in Loop: Header=BB6_3265 Depth=4
	v_bfe_u32 v36, v27, 23, 8
	s_delay_alu instid0(VALU_DEP_1) | instskip(SKIP_1) | instid1(VALU_DEP_2)
	v_sub_nc_u32_e32 v38, 0x70, v36
	v_cmp_gt_u32_e32 vcc_lo, 0x71, v36
	v_dual_cndmask_b32 v38, 0, v38 :: v_dual_and_b32 v37, 0x7fffff, v27
	s_delay_alu instid0(VALU_DEP_1) | instskip(SKIP_2) | instid1(VALU_DEP_4)
	v_or_b32_e32 v39, 0x800000, v37
	v_cmp_eq_u32_e32 vcc_lo, 0, v36
	v_add_nc_u32_e32 v36, 0xffffff91, v36
	v_cndmask_b32_e64 v38, v38, 0x6f, vcc_lo
	s_delay_alu instid0(VALU_DEP_4) | instskip(NEXT) | instid1(VALU_DEP_3)
	v_cndmask_b32_e32 v37, v39, v37, vcc_lo
	v_cndmask_b32_e64 v36, v36, 0xffffff92, vcc_lo
	s_delay_alu instid0(VALU_DEP_3) | instskip(NEXT) | instid1(VALU_DEP_3)
	v_lshl_add_u32 v39, 0x200000, v38, -1
	v_lshrrev_b32_e32 v48, v38, v37
	v_lshlrev_b32_e64 v50, v38, 0x100000
	s_delay_alu instid0(VALU_DEP_4) | instskip(NEXT) | instid1(VALU_DEP_4)
	v_add_nc_u32_e32 v38, v38, v36
	v_and_b32_e32 v37, v39, v37
	s_delay_alu instid0(VALU_DEP_4) | instskip(NEXT) | instid1(VALU_DEP_2)
	v_bfe_u32 v49, v48, 21, 1
	v_cmp_eq_u32_e64 s13, v37, v50
	s_delay_alu instid0(VALU_DEP_2) | instskip(NEXT) | instid1(VALU_DEP_1)
	v_add_nc_u32_e32 v39, -1, v49
	v_cndmask_b32_e64 v37, 0, v39, s13
	v_lshrrev_b32_e32 v39, 23, v48
	s_mov_b32 s13, exec_lo
	s_delay_alu instid0(VALU_DEP_2) | instskip(NEXT) | instid1(VALU_DEP_2)
	v_add_nc_u32_e32 v37, v37, v48
	v_xor_b32_e32 v39, 1, v39
	s_delay_alu instid0(VALU_DEP_2) | instskip(NEXT) | instid1(VALU_DEP_1)
	v_and_b32_e32 v36, 0x1fffff, v37
	v_add_nc_u32_e32 v37, v36, v48
                                        ; implicit-def: $vgpr36
	s_delay_alu instid0(VALU_DEP_3)
	v_cmpx_ne_u32_e64 v38, v39
	s_xor_b32 s13, exec_lo, s13
; %bb.4261:                             ;   in Loop: Header=BB6_3265 Depth=4
	s_delay_alu instid0(VALU_DEP_2) | instskip(SKIP_2) | instid1(VALU_DEP_2)
	v_cmp_lt_u32_e32 vcc_lo, 0xffffff, v37
	v_sub_nc_u32_e32 v36, v38, v39
	v_cndmask_b32_e64 v38, 0, 1, vcc_lo
	v_add_co_ci_u32_e32 v36, vcc_lo, 0, v36, vcc_lo
	s_delay_alu instid0(VALU_DEP_2)
	v_lshrrev_b32_e32 v37, v38, v37
; %bb.4262:                             ;   in Loop: Header=BB6_3265 Depth=4
	s_and_not1_saveexec_b32 s13, s13
; %bb.4263:                             ;   in Loop: Header=BB6_3265 Depth=4
	s_delay_alu instid0(VALU_DEP_1)
	v_bfe_u32 v36, v37, 23, 1
; %bb.4264:                             ;   in Loop: Header=BB6_3265 Depth=4
	s_or_b32 exec_lo, exec_lo, s13
	v_lshrrev_b32_e32 v37, 21, v37
	s_delay_alu instid0(VALU_DEP_2) | instskip(SKIP_2) | instid1(VALU_DEP_2)
	v_cmp_gt_i32_e32 vcc_lo, 32, v36
	v_min_i32_e32 v38, 31, v36
	v_lshrrev_b32_e32 v27, 24, v27
	v_dual_cndmask_b32 v37, 3, v37 :: v_dual_lshlrev_b32 v38, 2, v38
	s_delay_alu instid0(VALU_DEP_2) | instskip(NEXT) | instid1(VALU_DEP_2)
	v_and_b32_e32 v27, 0x80, v27
	v_or_b32_e32 v36, v36, v37
	s_delay_alu instid0(VALU_DEP_3) | instskip(NEXT) | instid1(VALU_DEP_2)
	v_and_b32_e32 v38, 0xfc, v38
	v_cmp_ne_u32_e32 vcc_lo, 0, v36
	v_and_b32_e32 v39, 3, v37
	s_delay_alu instid0(VALU_DEP_1) | instskip(NEXT) | instid1(VALU_DEP_1)
	v_or3_b32 v27, v27, v38, v39
	v_lshlrev_b32_e32 v27, 8, v27
	s_delay_alu instid0(VALU_DEP_1)
	v_cndmask_b32_e32 v106, 0, v27, vcc_lo
.LBB6_4265:                             ;   in Loop: Header=BB6_3265 Depth=4
	s_or_b32 exec_lo, exec_lo, s35
.LBB6_4266:                             ;   in Loop: Header=BB6_3265 Depth=4
	s_delay_alu instid0(SALU_CYCLE_1) | instskip(SKIP_3) | instid1(VALU_DEP_1)
	s_or_b32 exec_lo, exec_lo, s34
	v_or_b32_e32 v36, v123, v121
	s_mov_b32 s13, 0
	s_mov_b32 s35, exec_lo
                                        ; implicit-def: $sgpr34
	v_and_b32_e32 v37, 0xff, v36
	s_delay_alu instid0(VALU_DEP_1)
	v_cmpx_lt_i16_e32 0x7f, v37
	s_xor_b32 s35, exec_lo, s35
	s_cbranch_execnz .LBB6_5432
; %bb.4267:                             ;   in Loop: Header=BB6_3265 Depth=4
	s_or_saveexec_b32 s35, s35
	v_mov_b32_e32 v27, s34
	s_xor_b32 exec_lo, exec_lo, s35
	s_cbranch_execnz .LBB6_5435
.LBB6_4268:                             ;   in Loop: Header=BB6_3265 Depth=4
	s_or_b32 exec_lo, exec_lo, s35
	v_lshl_or_b32 v26, v36, 16, v26
	s_and_saveexec_b32 s34, s13
	s_cbranch_execz .LBB6_4270
.LBB6_4269:                             ;   in Loop: Header=BB6_3265 Depth=4
	s_delay_alu instid0(VALU_DEP_1) | instskip(SKIP_2) | instid1(VALU_DEP_3)
	v_bfe_u32 v27, v26, 16, 2
	v_lshrrev_b32_e32 v37, 16, v26
	v_lshlrev_b32_e32 v39, 8, v26
	v_clz_i32_u32_e32 v36, v27
	s_delay_alu instid0(VALU_DEP_1) | instskip(NEXT) | instid1(VALU_DEP_1)
	v_min_u32_e32 v36, 32, v36
	v_subrev_nc_u32_e32 v38, 29, v36
	v_sub_nc_u32_e32 v36, 30, v36
	s_delay_alu instid0(VALU_DEP_2) | instskip(SKIP_1) | instid1(VALU_DEP_1)
	v_lshlrev_b32_e32 v37, v38, v37
	v_bfe_u32 v38, v26, 18, 5
	v_cmp_eq_u32_e32 vcc_lo, 0, v38
	s_delay_alu instid0(VALU_DEP_3) | instskip(NEXT) | instid1(VALU_DEP_1)
	v_dual_cndmask_b32 v36, v38, v36 :: v_dual_and_b32 v37, 3, v37
	v_cndmask_b32_e32 v27, v27, v37, vcc_lo
	v_and_b32_e32 v37, 0x80000000, v39
	s_delay_alu instid0(VALU_DEP_3) | instskip(NEXT) | instid1(VALU_DEP_3)
	v_lshl_add_u32 v36, v36, 23, 0x37800000
	v_lshlrev_b32_e32 v27, 21, v27
	s_delay_alu instid0(VALU_DEP_1)
	v_or3_b32 v27, v37, v36, v27
.LBB6_4270:                             ;   in Loop: Header=BB6_3265 Depth=4
	s_or_b32 exec_lo, exec_lo, s34
	v_lshrrev_b32_e32 v36, 16, v23
	s_mov_b32 s13, 0
	s_mov_b32 s35, exec_lo
                                        ; implicit-def: $sgpr34
	s_delay_alu instid0(VALU_DEP_1) | instskip(NEXT) | instid1(VALU_DEP_1)
	v_and_b32_e32 v38, 0xff, v36
	v_cmpx_lt_i16_e32 0x7f, v38
	s_xor_b32 s35, exec_lo, s35
	s_cbranch_execnz .LBB6_5436
; %bb.4271:                             ;   in Loop: Header=BB6_3265 Depth=4
	s_or_saveexec_b32 s35, s35
	v_mov_b32_e32 v37, s34
	s_xor_b32 exec_lo, exec_lo, s35
	s_cbranch_execnz .LBB6_5439
.LBB6_4272:                             ;   in Loop: Header=BB6_3265 Depth=4
	s_or_b32 exec_lo, exec_lo, s35
	s_and_saveexec_b32 s34, s13
	s_cbranch_execz .LBB6_4274
.LBB6_4273:                             ;   in Loop: Header=BB6_3265 Depth=4
	v_bfe_u32 v37, v23, 16, 2
	v_lshlrev_b32_e32 v48, 8, v23
	s_delay_alu instid0(VALU_DEP_2) | instskip(NEXT) | instid1(VALU_DEP_1)
	v_clz_i32_u32_e32 v38, v37
	v_min_u32_e32 v38, 32, v38
	s_delay_alu instid0(VALU_DEP_1) | instskip(SKIP_1) | instid1(VALU_DEP_2)
	v_subrev_nc_u32_e32 v39, 29, v38
	v_sub_nc_u32_e32 v38, 30, v38
	v_lshlrev_b32_e32 v36, v39, v36
	v_bfe_u32 v39, v23, 18, 5
	s_delay_alu instid0(VALU_DEP_2) | instskip(NEXT) | instid1(VALU_DEP_2)
	v_and_b32_e32 v36, 3, v36
	v_cmp_eq_u32_e32 vcc_lo, 0, v39
	v_cndmask_b32_e32 v38, v39, v38, vcc_lo
	s_delay_alu instid0(VALU_DEP_3) | instskip(SKIP_1) | instid1(VALU_DEP_3)
	v_cndmask_b32_e32 v36, v37, v36, vcc_lo
	v_and_b32_e32 v37, 0x80000000, v48
	v_lshl_add_u32 v38, v38, 23, 0x37800000
	s_delay_alu instid0(VALU_DEP_3) | instskip(NEXT) | instid1(VALU_DEP_1)
	v_lshlrev_b32_e32 v36, 21, v36
	v_or3_b32 v37, v37, v38, v36
.LBB6_4274:                             ;   in Loop: Header=BB6_3265 Depth=4
	s_or_b32 exec_lo, exec_lo, s34
	s_delay_alu instid0(VALU_DEP_1) | instskip(SKIP_2) | instid1(VALU_DEP_2)
	v_add_f32_e32 v27, v27, v37
	v_mov_b32_e32 v121, 0x80
	s_mov_b32 s34, exec_lo
	v_and_b32_e32 v36, 0x7f800000, v27
	s_delay_alu instid0(VALU_DEP_1)
	v_cmpx_ne_u32_e32 0x7f800000, v36
	s_cbranch_execz .LBB6_4282
; %bb.4275:                             ;   in Loop: Header=BB6_3265 Depth=4
	v_mov_b32_e32 v121, 0
	s_mov_b32 s35, exec_lo
	v_cmpx_ne_u32_e32 0, v27
	s_cbranch_execz .LBB6_4281
; %bb.4276:                             ;   in Loop: Header=BB6_3265 Depth=4
	v_bfe_u32 v36, v27, 23, 8
	s_delay_alu instid0(VALU_DEP_1) | instskip(SKIP_1) | instid1(VALU_DEP_2)
	v_sub_nc_u32_e32 v38, 0x70, v36
	v_cmp_gt_u32_e32 vcc_lo, 0x71, v36
	v_dual_cndmask_b32 v38, 0, v38 :: v_dual_and_b32 v37, 0x7fffff, v27
	s_delay_alu instid0(VALU_DEP_1) | instskip(SKIP_2) | instid1(VALU_DEP_4)
	v_or_b32_e32 v39, 0x800000, v37
	v_cmp_eq_u32_e32 vcc_lo, 0, v36
	v_add_nc_u32_e32 v36, 0xffffff91, v36
	v_cndmask_b32_e64 v38, v38, 0x6f, vcc_lo
	s_delay_alu instid0(VALU_DEP_4) | instskip(NEXT) | instid1(VALU_DEP_3)
	v_cndmask_b32_e32 v37, v39, v37, vcc_lo
	v_cndmask_b32_e64 v36, v36, 0xffffff92, vcc_lo
	s_delay_alu instid0(VALU_DEP_3) | instskip(NEXT) | instid1(VALU_DEP_3)
	v_lshl_add_u32 v39, 0x200000, v38, -1
	v_lshrrev_b32_e32 v48, v38, v37
	v_lshlrev_b32_e64 v50, v38, 0x100000
	s_delay_alu instid0(VALU_DEP_4) | instskip(NEXT) | instid1(VALU_DEP_4)
	v_add_nc_u32_e32 v38, v38, v36
	v_and_b32_e32 v37, v39, v37
	s_delay_alu instid0(VALU_DEP_4) | instskip(NEXT) | instid1(VALU_DEP_2)
	v_bfe_u32 v49, v48, 21, 1
	v_cmp_eq_u32_e64 s13, v37, v50
	s_delay_alu instid0(VALU_DEP_2) | instskip(NEXT) | instid1(VALU_DEP_1)
	v_add_nc_u32_e32 v39, -1, v49
	v_cndmask_b32_e64 v37, 0, v39, s13
	v_lshrrev_b32_e32 v39, 23, v48
	s_mov_b32 s13, exec_lo
	s_delay_alu instid0(VALU_DEP_2) | instskip(NEXT) | instid1(VALU_DEP_2)
	v_add_nc_u32_e32 v37, v37, v48
	v_xor_b32_e32 v39, 1, v39
	s_delay_alu instid0(VALU_DEP_2) | instskip(NEXT) | instid1(VALU_DEP_1)
	v_and_b32_e32 v36, 0x1fffff, v37
	v_add_nc_u32_e32 v37, v36, v48
                                        ; implicit-def: $vgpr36
	s_delay_alu instid0(VALU_DEP_3)
	v_cmpx_ne_u32_e64 v38, v39
	s_xor_b32 s13, exec_lo, s13
; %bb.4277:                             ;   in Loop: Header=BB6_3265 Depth=4
	s_delay_alu instid0(VALU_DEP_2) | instskip(SKIP_2) | instid1(VALU_DEP_2)
	v_cmp_lt_u32_e32 vcc_lo, 0xffffff, v37
	v_sub_nc_u32_e32 v36, v38, v39
	v_cndmask_b32_e64 v38, 0, 1, vcc_lo
	v_add_co_ci_u32_e32 v36, vcc_lo, 0, v36, vcc_lo
	s_delay_alu instid0(VALU_DEP_2)
	v_lshrrev_b32_e32 v37, v38, v37
; %bb.4278:                             ;   in Loop: Header=BB6_3265 Depth=4
	s_and_not1_saveexec_b32 s13, s13
; %bb.4279:                             ;   in Loop: Header=BB6_3265 Depth=4
	s_delay_alu instid0(VALU_DEP_1)
	v_bfe_u32 v36, v37, 23, 1
; %bb.4280:                             ;   in Loop: Header=BB6_3265 Depth=4
	s_or_b32 exec_lo, exec_lo, s13
	v_lshrrev_b32_e32 v37, 21, v37
	s_delay_alu instid0(VALU_DEP_2) | instskip(SKIP_2) | instid1(VALU_DEP_2)
	v_cmp_gt_i32_e32 vcc_lo, 32, v36
	v_min_i32_e32 v38, 31, v36
	v_lshrrev_b32_e32 v27, 24, v27
	v_dual_cndmask_b32 v37, 3, v37 :: v_dual_lshlrev_b32 v38, 2, v38
	s_delay_alu instid0(VALU_DEP_2) | instskip(NEXT) | instid1(VALU_DEP_2)
	v_and_b32_e32 v27, 0x80, v27
	v_or_b32_e32 v36, v36, v37
	v_and_b32_e32 v39, 3, v37
	s_delay_alu instid0(VALU_DEP_2) | instskip(SKIP_1) | instid1(VALU_DEP_1)
	v_cmp_ne_u32_e32 vcc_lo, 0, v36
	v_and_b32_e32 v38, 0xfc, v38
	v_or3_b32 v27, v38, v27, v39
	s_delay_alu instid0(VALU_DEP_1)
	v_cndmask_b32_e32 v121, 0, v27, vcc_lo
.LBB6_4281:                             ;   in Loop: Header=BB6_3265 Depth=4
	s_or_b32 exec_lo, exec_lo, s35
.LBB6_4282:                             ;   in Loop: Header=BB6_3265 Depth=4
	s_delay_alu instid0(SALU_CYCLE_1) | instskip(SKIP_3) | instid1(VALU_DEP_1)
	s_or_b32 exec_lo, exec_lo, s34
	v_lshrrev_b32_e32 v36, 24, v26
	s_mov_b32 s13, 0
	s_mov_b32 s35, exec_lo
                                        ; implicit-def: $sgpr34
	v_cmpx_lt_i16_e32 0x7f, v36
	s_xor_b32 s35, exec_lo, s35
	s_cbranch_execnz .LBB6_5440
; %bb.4283:                             ;   in Loop: Header=BB6_3265 Depth=4
	s_or_saveexec_b32 s35, s35
	v_mov_b32_e32 v27, s34
	s_xor_b32 exec_lo, exec_lo, s35
	s_cbranch_execnz .LBB6_5443
.LBB6_4284:                             ;   in Loop: Header=BB6_3265 Depth=4
	s_or_b32 exec_lo, exec_lo, s35
	s_and_saveexec_b32 s34, s13
	s_cbranch_execz .LBB6_4286
.LBB6_4285:                             ;   in Loop: Header=BB6_3265 Depth=4
	v_bfe_u32 v27, v26, 24, 2
	s_delay_alu instid0(VALU_DEP_1) | instskip(NEXT) | instid1(VALU_DEP_1)
	v_clz_i32_u32_e32 v37, v27
	v_min_u32_e32 v37, 32, v37
	s_delay_alu instid0(VALU_DEP_1) | instskip(SKIP_1) | instid1(VALU_DEP_2)
	v_subrev_nc_u32_e32 v38, 29, v37
	v_sub_nc_u32_e32 v37, 30, v37
	v_lshlrev_b32_e32 v36, v38, v36
	v_bfe_u32 v38, v26, 26, 5
	v_and_b32_e32 v26, 0x80000000, v26
	s_delay_alu instid0(VALU_DEP_2) | instskip(NEXT) | instid1(VALU_DEP_4)
	v_cmp_eq_u32_e32 vcc_lo, 0, v38
	v_dual_cndmask_b32 v37, v38, v37 :: v_dual_and_b32 v36, 3, v36
	s_delay_alu instid0(VALU_DEP_1) | instskip(NEXT) | instid1(VALU_DEP_2)
	v_cndmask_b32_e32 v27, v27, v36, vcc_lo
	v_lshl_add_u32 v36, v37, 23, 0x37800000
	s_delay_alu instid0(VALU_DEP_2) | instskip(NEXT) | instid1(VALU_DEP_1)
	v_lshlrev_b32_e32 v27, 21, v27
	v_or3_b32 v27, v26, v36, v27
.LBB6_4286:                             ;   in Loop: Header=BB6_3265 Depth=4
	s_or_b32 exec_lo, exec_lo, s34
	v_lshrrev_b32_e32 v26, 24, v23
	s_mov_b32 s13, 0
	s_mov_b32 s35, exec_lo
                                        ; implicit-def: $sgpr34
	s_delay_alu instid0(VALU_DEP_1)
	v_cmpx_lt_i16_e32 0x7f, v26
	s_xor_b32 s35, exec_lo, s35
	s_cbranch_execnz .LBB6_5444
; %bb.4287:                             ;   in Loop: Header=BB6_3265 Depth=4
	s_or_saveexec_b32 s35, s35
	v_mov_b32_e32 v36, s34
	s_xor_b32 exec_lo, exec_lo, s35
	s_cbranch_execnz .LBB6_5447
.LBB6_4288:                             ;   in Loop: Header=BB6_3265 Depth=4
	s_or_b32 exec_lo, exec_lo, s35
	s_and_saveexec_b32 s34, s13
	s_cbranch_execz .LBB6_4290
.LBB6_4289:                             ;   in Loop: Header=BB6_3265 Depth=4
	v_bfe_u32 v36, v23, 24, 2
	s_delay_alu instid0(VALU_DEP_1) | instskip(NEXT) | instid1(VALU_DEP_1)
	v_clz_i32_u32_e32 v37, v36
	v_min_u32_e32 v37, 32, v37
	s_delay_alu instid0(VALU_DEP_1) | instskip(SKIP_1) | instid1(VALU_DEP_2)
	v_subrev_nc_u32_e32 v38, 29, v37
	v_sub_nc_u32_e32 v37, 30, v37
	v_lshlrev_b32_e32 v26, v38, v26
	v_bfe_u32 v38, v23, 26, 5
	v_and_b32_e32 v23, 0x80000000, v23
	s_delay_alu instid0(VALU_DEP_2) | instskip(NEXT) | instid1(VALU_DEP_4)
	v_cmp_eq_u32_e32 vcc_lo, 0, v38
	v_dual_cndmask_b32 v37, v38, v37 :: v_dual_and_b32 v26, 3, v26
	s_delay_alu instid0(VALU_DEP_1) | instskip(NEXT) | instid1(VALU_DEP_2)
	v_cndmask_b32_e32 v26, v36, v26, vcc_lo
	v_lshl_add_u32 v36, v37, 23, 0x37800000
	s_delay_alu instid0(VALU_DEP_2) | instskip(NEXT) | instid1(VALU_DEP_1)
	v_lshlrev_b32_e32 v26, 21, v26
	v_or3_b32 v36, v23, v36, v26
.LBB6_4290:                             ;   in Loop: Header=BB6_3265 Depth=4
	s_or_b32 exec_lo, exec_lo, s34
	s_delay_alu instid0(VALU_DEP_1) | instskip(NEXT) | instid1(VALU_DEP_1)
	v_add_f32_e32 v26, v27, v36
	v_and_b32_e32 v23, 0x7f800000, v26
	s_delay_alu instid0(VALU_DEP_1)
	v_cmp_ne_u32_e32 vcc_lo, 0x7f800000, v23
	v_mov_b32_e32 v23, 0x8000
	s_and_saveexec_b32 s34, vcc_lo
	s_cbranch_execz .LBB6_4298
; %bb.4291:                             ;   in Loop: Header=BB6_3265 Depth=4
	v_mov_b32_e32 v23, 0
	s_mov_b32 s35, exec_lo
	v_cmpx_ne_u32_e32 0, v26
	s_cbranch_execz .LBB6_4297
; %bb.4292:                             ;   in Loop: Header=BB6_3265 Depth=4
	v_bfe_u32 v23, v26, 23, 8
	s_delay_alu instid0(VALU_DEP_1) | instskip(SKIP_1) | instid1(VALU_DEP_2)
	v_sub_nc_u32_e32 v36, 0x70, v23
	v_cmp_gt_u32_e32 vcc_lo, 0x71, v23
	v_dual_cndmask_b32 v36, 0, v36 :: v_dual_and_b32 v27, 0x7fffff, v26
	s_delay_alu instid0(VALU_DEP_1) | instskip(SKIP_2) | instid1(VALU_DEP_4)
	v_or_b32_e32 v37, 0x800000, v27
	v_cmp_eq_u32_e32 vcc_lo, 0, v23
	v_add_nc_u32_e32 v23, 0xffffff91, v23
	v_cndmask_b32_e64 v36, v36, 0x6f, vcc_lo
	s_delay_alu instid0(VALU_DEP_4) | instskip(NEXT) | instid1(VALU_DEP_3)
	v_cndmask_b32_e32 v27, v37, v27, vcc_lo
	v_cndmask_b32_e64 v23, v23, 0xffffff92, vcc_lo
	s_delay_alu instid0(VALU_DEP_3) | instskip(NEXT) | instid1(VALU_DEP_3)
	v_lshl_add_u32 v37, 0x200000, v36, -1
	v_lshrrev_b32_e32 v38, v36, v27
	v_lshlrev_b32_e64 v48, v36, 0x100000
	s_delay_alu instid0(VALU_DEP_4) | instskip(NEXT) | instid1(VALU_DEP_4)
	v_add_nc_u32_e32 v36, v36, v23
	v_and_b32_e32 v27, v37, v27
	s_delay_alu instid0(VALU_DEP_4) | instskip(NEXT) | instid1(VALU_DEP_2)
	v_bfe_u32 v39, v38, 21, 1
	v_cmp_eq_u32_e64 s13, v27, v48
	s_delay_alu instid0(VALU_DEP_2) | instskip(NEXT) | instid1(VALU_DEP_1)
	v_add_nc_u32_e32 v37, -1, v39
	v_cndmask_b32_e64 v27, 0, v37, s13
	v_lshrrev_b32_e32 v37, 23, v38
	s_mov_b32 s13, exec_lo
	s_delay_alu instid0(VALU_DEP_2) | instskip(NEXT) | instid1(VALU_DEP_2)
	v_add_nc_u32_e32 v27, v27, v38
	v_xor_b32_e32 v37, 1, v37
	s_delay_alu instid0(VALU_DEP_2) | instskip(NEXT) | instid1(VALU_DEP_1)
	v_and_b32_e32 v23, 0x1fffff, v27
	v_add_nc_u32_e32 v27, v23, v38
                                        ; implicit-def: $vgpr23
	s_delay_alu instid0(VALU_DEP_3)
	v_cmpx_ne_u32_e64 v36, v37
	s_xor_b32 s13, exec_lo, s13
; %bb.4293:                             ;   in Loop: Header=BB6_3265 Depth=4
	s_delay_alu instid0(VALU_DEP_2) | instskip(SKIP_2) | instid1(VALU_DEP_2)
	v_cmp_lt_u32_e32 vcc_lo, 0xffffff, v27
	v_sub_nc_u32_e32 v23, v36, v37
	v_cndmask_b32_e64 v36, 0, 1, vcc_lo
	v_add_co_ci_u32_e32 v23, vcc_lo, 0, v23, vcc_lo
	s_delay_alu instid0(VALU_DEP_2)
	v_lshrrev_b32_e32 v27, v36, v27
; %bb.4294:                             ;   in Loop: Header=BB6_3265 Depth=4
	s_and_not1_saveexec_b32 s13, s13
; %bb.4295:                             ;   in Loop: Header=BB6_3265 Depth=4
	s_delay_alu instid0(VALU_DEP_1)
	v_bfe_u32 v23, v27, 23, 1
; %bb.4296:                             ;   in Loop: Header=BB6_3265 Depth=4
	s_or_b32 exec_lo, exec_lo, s13
	v_lshrrev_b32_e32 v27, 21, v27
	s_delay_alu instid0(VALU_DEP_2) | instskip(SKIP_2) | instid1(VALU_DEP_2)
	v_cmp_gt_i32_e32 vcc_lo, 32, v23
	v_min_i32_e32 v36, 31, v23
	v_lshrrev_b32_e32 v26, 24, v26
	v_dual_cndmask_b32 v27, 3, v27 :: v_dual_lshlrev_b32 v36, 2, v36
	s_delay_alu instid0(VALU_DEP_2) | instskip(NEXT) | instid1(VALU_DEP_2)
	v_and_b32_e32 v26, 0x80, v26
	v_or_b32_e32 v23, v23, v27
	v_and_b32_e32 v37, 3, v27
	s_delay_alu instid0(VALU_DEP_2) | instskip(SKIP_1) | instid1(VALU_DEP_1)
	v_cmp_ne_u32_e32 vcc_lo, 0, v23
	v_and_b32_e32 v36, 0xfc, v36
	v_or3_b32 v26, v26, v36, v37
	s_delay_alu instid0(VALU_DEP_1) | instskip(NEXT) | instid1(VALU_DEP_1)
	v_lshlrev_b32_e32 v26, 8, v26
	v_cndmask_b32_e32 v23, 0, v26, vcc_lo
.LBB6_4297:                             ;   in Loop: Header=BB6_3265 Depth=4
	s_or_b32 exec_lo, exec_lo, s35
.LBB6_4298:                             ;   in Loop: Header=BB6_3265 Depth=4
	s_delay_alu instid0(SALU_CYCLE_1) | instskip(SKIP_3) | instid1(VALU_DEP_1)
	s_or_b32 exec_lo, exec_lo, s34
	v_and_b32_e32 v27, 0xff, v122
	s_mov_b32 s13, 0
	s_mov_b32 s35, exec_lo
                                        ; implicit-def: $sgpr34
	v_cmpx_lt_i16_e32 0x7f, v27
	s_xor_b32 s35, exec_lo, s35
	s_cbranch_execnz .LBB6_5448
; %bb.4299:                             ;   in Loop: Header=BB6_3265 Depth=4
	s_or_saveexec_b32 s35, s35
	v_mov_b32_e32 v26, s34
	s_xor_b32 exec_lo, exec_lo, s35
	s_cbranch_execnz .LBB6_5451
.LBB6_4300:                             ;   in Loop: Header=BB6_3265 Depth=4
	s_or_b32 exec_lo, exec_lo, s35
	s_and_saveexec_b32 s34, s13
	s_cbranch_execz .LBB6_4302
.LBB6_4301:                             ;   in Loop: Header=BB6_3265 Depth=4
	v_bfe_u32 v37, v122, 2, 5
	v_lshlrev_b32_e32 v38, 24, v122
	s_delay_alu instid0(VALU_DEP_2) | instskip(SKIP_1) | instid1(VALU_DEP_1)
	v_cmp_eq_u32_e32 vcc_lo, 0, v37
	v_and_b32_e32 v26, 3, v122
	v_clz_i32_u32_e32 v27, v26
	s_delay_alu instid0(VALU_DEP_1) | instskip(NEXT) | instid1(VALU_DEP_1)
	v_min_u32_e32 v27, 32, v27
	v_subrev_nc_u32_e32 v36, 29, v27
	v_sub_nc_u32_e32 v27, 30, v27
	s_delay_alu instid0(VALU_DEP_1) | instskip(NEXT) | instid1(VALU_DEP_1)
	v_dual_cndmask_b32 v27, v37, v27 :: v_dual_lshlrev_b32 v36, v36, v122
	v_and_b32_e32 v36, 3, v36
	s_delay_alu instid0(VALU_DEP_2) | instskip(NEXT) | instid1(VALU_DEP_2)
	v_lshl_add_u32 v27, v27, 23, 0x37800000
	v_cndmask_b32_e32 v26, v26, v36, vcc_lo
	v_and_b32_e32 v36, 0x80000000, v38
	s_delay_alu instid0(VALU_DEP_2) | instskip(NEXT) | instid1(VALU_DEP_1)
	v_lshlrev_b32_e32 v26, 21, v26
	v_or3_b32 v26, v36, v27, v26
.LBB6_4302:                             ;   in Loop: Header=BB6_3265 Depth=4
	s_or_b32 exec_lo, exec_lo, s34
	s_waitcnt vmcnt(2)
	v_and_b32_e32 v36, 0xff, v16
	s_mov_b32 s13, 0
	s_mov_b32 s35, exec_lo
                                        ; implicit-def: $sgpr34
	s_delay_alu instid0(VALU_DEP_1)
	v_cmpx_lt_i16_e32 0x7f, v36
	s_xor_b32 s35, exec_lo, s35
	s_cbranch_execnz .LBB6_5452
; %bb.4303:                             ;   in Loop: Header=BB6_3265 Depth=4
	s_or_saveexec_b32 s35, s35
	v_mov_b32_e32 v27, s34
	s_xor_b32 exec_lo, exec_lo, s35
	s_cbranch_execnz .LBB6_5455
.LBB6_4304:                             ;   in Loop: Header=BB6_3265 Depth=4
	s_or_b32 exec_lo, exec_lo, s35
	s_and_saveexec_b32 s34, s13
	s_cbranch_execz .LBB6_4306
.LBB6_4305:                             ;   in Loop: Header=BB6_3265 Depth=4
	v_and_b32_e32 v27, 3, v16
	v_bfe_u32 v38, v16, 2, 5
	v_lshlrev_b32_e32 v39, 24, v16
	s_delay_alu instid0(VALU_DEP_3) | instskip(NEXT) | instid1(VALU_DEP_3)
	v_clz_i32_u32_e32 v36, v27
	v_cmp_eq_u32_e32 vcc_lo, 0, v38
	s_delay_alu instid0(VALU_DEP_2) | instskip(NEXT) | instid1(VALU_DEP_1)
	v_min_u32_e32 v36, 32, v36
	v_subrev_nc_u32_e32 v37, 29, v36
	v_sub_nc_u32_e32 v36, 30, v36
	s_delay_alu instid0(VALU_DEP_2) | instskip(NEXT) | instid1(VALU_DEP_1)
	v_lshlrev_b32_e32 v37, v37, v16
	v_dual_cndmask_b32 v36, v38, v36 :: v_dual_and_b32 v37, 3, v37
	s_delay_alu instid0(VALU_DEP_1) | instskip(NEXT) | instid1(VALU_DEP_2)
	v_lshl_add_u32 v36, v36, 23, 0x37800000
	v_cndmask_b32_e32 v27, v27, v37, vcc_lo
	v_and_b32_e32 v37, 0x80000000, v39
	s_delay_alu instid0(VALU_DEP_2) | instskip(NEXT) | instid1(VALU_DEP_1)
	v_lshlrev_b32_e32 v27, 21, v27
	v_or3_b32 v27, v37, v36, v27
.LBB6_4306:                             ;   in Loop: Header=BB6_3265 Depth=4
	s_or_b32 exec_lo, exec_lo, s34
	s_delay_alu instid0(VALU_DEP_1) | instskip(SKIP_2) | instid1(VALU_DEP_2)
	v_add_f32_e32 v26, v26, v27
	v_mov_b32_e32 v122, 0x80
	s_mov_b32 s34, exec_lo
	v_and_b32_e32 v27, 0x7f800000, v26
	s_delay_alu instid0(VALU_DEP_1)
	v_cmpx_ne_u32_e32 0x7f800000, v27
	s_cbranch_execz .LBB6_4314
; %bb.4307:                             ;   in Loop: Header=BB6_3265 Depth=4
	v_mov_b32_e32 v122, 0
	s_mov_b32 s35, exec_lo
	v_cmpx_ne_u32_e32 0, v26
	s_cbranch_execz .LBB6_4313
; %bb.4308:                             ;   in Loop: Header=BB6_3265 Depth=4
	v_bfe_u32 v27, v26, 23, 8
	s_delay_alu instid0(VALU_DEP_1) | instskip(SKIP_1) | instid1(VALU_DEP_2)
	v_sub_nc_u32_e32 v37, 0x70, v27
	v_cmp_gt_u32_e32 vcc_lo, 0x71, v27
	v_dual_cndmask_b32 v37, 0, v37 :: v_dual_and_b32 v36, 0x7fffff, v26
	s_delay_alu instid0(VALU_DEP_1) | instskip(SKIP_2) | instid1(VALU_DEP_4)
	v_or_b32_e32 v38, 0x800000, v36
	v_cmp_eq_u32_e32 vcc_lo, 0, v27
	v_add_nc_u32_e32 v27, 0xffffff91, v27
	v_cndmask_b32_e64 v37, v37, 0x6f, vcc_lo
	s_delay_alu instid0(VALU_DEP_4) | instskip(NEXT) | instid1(VALU_DEP_3)
	v_cndmask_b32_e32 v36, v38, v36, vcc_lo
	v_cndmask_b32_e64 v27, v27, 0xffffff92, vcc_lo
	s_delay_alu instid0(VALU_DEP_3) | instskip(NEXT) | instid1(VALU_DEP_3)
	v_lshl_add_u32 v38, 0x200000, v37, -1
	v_lshrrev_b32_e32 v39, v37, v36
	v_lshlrev_b32_e64 v49, v37, 0x100000
	s_delay_alu instid0(VALU_DEP_4) | instskip(NEXT) | instid1(VALU_DEP_4)
	v_add_nc_u32_e32 v37, v37, v27
	v_and_b32_e32 v36, v38, v36
	s_delay_alu instid0(VALU_DEP_4) | instskip(NEXT) | instid1(VALU_DEP_2)
	v_bfe_u32 v48, v39, 21, 1
	v_cmp_eq_u32_e64 s13, v36, v49
	s_delay_alu instid0(VALU_DEP_2) | instskip(NEXT) | instid1(VALU_DEP_1)
	v_add_nc_u32_e32 v38, -1, v48
	v_cndmask_b32_e64 v36, 0, v38, s13
	v_lshrrev_b32_e32 v38, 23, v39
	s_mov_b32 s13, exec_lo
	s_delay_alu instid0(VALU_DEP_2) | instskip(NEXT) | instid1(VALU_DEP_2)
	v_add_nc_u32_e32 v36, v36, v39
	v_xor_b32_e32 v38, 1, v38
	s_delay_alu instid0(VALU_DEP_2) | instskip(NEXT) | instid1(VALU_DEP_1)
	v_and_b32_e32 v27, 0x1fffff, v36
	v_add_nc_u32_e32 v36, v27, v39
                                        ; implicit-def: $vgpr27
	s_delay_alu instid0(VALU_DEP_3)
	v_cmpx_ne_u32_e64 v37, v38
	s_xor_b32 s13, exec_lo, s13
; %bb.4309:                             ;   in Loop: Header=BB6_3265 Depth=4
	s_delay_alu instid0(VALU_DEP_2) | instskip(SKIP_2) | instid1(VALU_DEP_2)
	v_cmp_lt_u32_e32 vcc_lo, 0xffffff, v36
	v_sub_nc_u32_e32 v27, v37, v38
	v_cndmask_b32_e64 v37, 0, 1, vcc_lo
	v_add_co_ci_u32_e32 v27, vcc_lo, 0, v27, vcc_lo
	s_delay_alu instid0(VALU_DEP_2)
	v_lshrrev_b32_e32 v36, v37, v36
; %bb.4310:                             ;   in Loop: Header=BB6_3265 Depth=4
	s_and_not1_saveexec_b32 s13, s13
; %bb.4311:                             ;   in Loop: Header=BB6_3265 Depth=4
	s_delay_alu instid0(VALU_DEP_1)
	v_bfe_u32 v27, v36, 23, 1
; %bb.4312:                             ;   in Loop: Header=BB6_3265 Depth=4
	s_or_b32 exec_lo, exec_lo, s13
	v_lshrrev_b32_e32 v36, 21, v36
	s_delay_alu instid0(VALU_DEP_2) | instskip(SKIP_2) | instid1(VALU_DEP_4)
	v_cmp_gt_i32_e32 vcc_lo, 32, v27
	v_lshrrev_b32_e32 v26, 24, v26
	v_min_i32_e32 v37, 31, v27
	v_cndmask_b32_e32 v36, 3, v36, vcc_lo
	s_delay_alu instid0(VALU_DEP_3) | instskip(NEXT) | instid1(VALU_DEP_3)
	v_and_b32_e32 v26, 0x80, v26
	v_lshlrev_b32_e32 v37, 2, v37
	s_delay_alu instid0(VALU_DEP_3) | instskip(SKIP_1) | instid1(VALU_DEP_2)
	v_and_b32_e32 v38, 3, v36
	v_or_b32_e32 v27, v27, v36
	v_or3_b32 v26, v37, v26, v38
	s_delay_alu instid0(VALU_DEP_2) | instskip(NEXT) | instid1(VALU_DEP_2)
	v_cmp_ne_u32_e32 vcc_lo, 0, v27
	v_cndmask_b32_e32 v122, 0, v26, vcc_lo
.LBB6_4313:                             ;   in Loop: Header=BB6_3265 Depth=4
	s_or_b32 exec_lo, exec_lo, s35
.LBB6_4314:                             ;   in Loop: Header=BB6_3265 Depth=4
	s_delay_alu instid0(SALU_CYCLE_1) | instskip(SKIP_3) | instid1(VALU_DEP_1)
	s_or_b32 exec_lo, exec_lo, s34
	v_and_b32_e32 v27, 0xff, v111
	s_mov_b32 s13, 0
	s_mov_b32 s35, exec_lo
                                        ; implicit-def: $sgpr34
	v_cmpx_lt_i16_e32 0x7f, v27
	s_xor_b32 s35, exec_lo, s35
	s_cbranch_execnz .LBB6_5456
; %bb.4315:                             ;   in Loop: Header=BB6_3265 Depth=4
	s_or_saveexec_b32 s35, s35
	v_mov_b32_e32 v26, s34
	s_xor_b32 exec_lo, exec_lo, s35
	s_cbranch_execnz .LBB6_5459
.LBB6_4316:                             ;   in Loop: Header=BB6_3265 Depth=4
	s_or_b32 exec_lo, exec_lo, s35
	s_and_saveexec_b32 s34, s13
	s_cbranch_execz .LBB6_4318
.LBB6_4317:                             ;   in Loop: Header=BB6_3265 Depth=4
	v_and_b32_e32 v26, 3, v111
	v_bfe_u32 v37, v111, 2, 5
	v_lshlrev_b32_e32 v38, 24, v111
	s_delay_alu instid0(VALU_DEP_3) | instskip(NEXT) | instid1(VALU_DEP_3)
	v_clz_i32_u32_e32 v27, v26
	v_cmp_eq_u32_e32 vcc_lo, 0, v37
	s_delay_alu instid0(VALU_DEP_2) | instskip(NEXT) | instid1(VALU_DEP_1)
	v_min_u32_e32 v27, 32, v27
	v_subrev_nc_u32_e32 v36, 29, v27
	v_sub_nc_u32_e32 v27, 30, v27
	s_delay_alu instid0(VALU_DEP_2) | instskip(NEXT) | instid1(VALU_DEP_1)
	v_lshlrev_b32_e32 v36, v36, v111
	v_dual_cndmask_b32 v27, v37, v27 :: v_dual_and_b32 v36, 3, v36
	s_delay_alu instid0(VALU_DEP_1) | instskip(NEXT) | instid1(VALU_DEP_2)
	v_lshl_add_u32 v27, v27, 23, 0x37800000
	v_cndmask_b32_e32 v26, v26, v36, vcc_lo
	v_and_b32_e32 v36, 0x80000000, v38
	s_delay_alu instid0(VALU_DEP_2) | instskip(NEXT) | instid1(VALU_DEP_1)
	v_lshlrev_b32_e32 v26, 21, v26
	v_or3_b32 v26, v36, v27, v26
.LBB6_4318:                             ;   in Loop: Header=BB6_3265 Depth=4
	s_or_b32 exec_lo, exec_lo, s34
	v_lshrrev_b16 v27, 8, v16
	s_mov_b32 s13, 0
	s_mov_b32 s35, exec_lo
                                        ; implicit-def: $sgpr34
	s_delay_alu instid0(VALU_DEP_1)
	v_cmpx_lt_i16_e32 0x7f, v27
	s_xor_b32 s35, exec_lo, s35
	s_cbranch_execnz .LBB6_5460
; %bb.4319:                             ;   in Loop: Header=BB6_3265 Depth=4
	s_or_saveexec_b32 s35, s35
	v_mov_b32_e32 v36, s34
	s_xor_b32 exec_lo, exec_lo, s35
	s_cbranch_execnz .LBB6_5463
.LBB6_4320:                             ;   in Loop: Header=BB6_3265 Depth=4
	s_or_b32 exec_lo, exec_lo, s35
	s_and_saveexec_b32 s34, s13
	s_cbranch_execz .LBB6_4322
.LBB6_4321:                             ;   in Loop: Header=BB6_3265 Depth=4
	v_and_b32_e32 v36, 0xffff, v27
	v_lshlrev_b32_e32 v27, 24, v27
	s_delay_alu instid0(VALU_DEP_2) | instskip(NEXT) | instid1(VALU_DEP_2)
	v_and_b32_e32 v37, 3, v36
	v_and_b32_e32 v27, 0x80000000, v27
	s_delay_alu instid0(VALU_DEP_2) | instskip(NEXT) | instid1(VALU_DEP_1)
	v_clz_i32_u32_e32 v38, v37
	v_min_u32_e32 v38, 32, v38
	s_delay_alu instid0(VALU_DEP_1) | instskip(SKIP_1) | instid1(VALU_DEP_2)
	v_subrev_nc_u32_e32 v39, 29, v38
	v_sub_nc_u32_e32 v38, 30, v38
	v_lshlrev_b32_e32 v39, v39, v36
	v_bfe_u32 v36, v36, 2, 5
	s_delay_alu instid0(VALU_DEP_2) | instskip(NEXT) | instid1(VALU_DEP_2)
	v_and_b32_e32 v39, 3, v39
	v_cmp_eq_u32_e32 vcc_lo, 0, v36
	s_delay_alu instid0(VALU_DEP_2) | instskip(NEXT) | instid1(VALU_DEP_1)
	v_dual_cndmask_b32 v36, v36, v38 :: v_dual_cndmask_b32 v37, v37, v39
	v_lshl_add_u32 v36, v36, 23, 0x37800000
	s_delay_alu instid0(VALU_DEP_2) | instskip(NEXT) | instid1(VALU_DEP_1)
	v_lshlrev_b32_e32 v37, 21, v37
	v_or3_b32 v36, v27, v36, v37
.LBB6_4322:                             ;   in Loop: Header=BB6_3265 Depth=4
	s_or_b32 exec_lo, exec_lo, s34
	s_delay_alu instid0(VALU_DEP_1) | instskip(SKIP_1) | instid1(VALU_DEP_1)
	v_dual_add_f32 v26, v26, v36 :: v_dual_mov_b32 v111, 0x80
	s_mov_b32 s34, exec_lo
	v_and_b32_e32 v27, 0x7f800000, v26
	s_delay_alu instid0(VALU_DEP_1)
	v_cmpx_ne_u32_e32 0x7f800000, v27
	s_cbranch_execz .LBB6_4330
; %bb.4323:                             ;   in Loop: Header=BB6_3265 Depth=4
	v_mov_b32_e32 v111, 0
	s_mov_b32 s35, exec_lo
	v_cmpx_ne_u32_e32 0, v26
	s_cbranch_execz .LBB6_4329
; %bb.4324:                             ;   in Loop: Header=BB6_3265 Depth=4
	v_bfe_u32 v27, v26, 23, 8
	s_delay_alu instid0(VALU_DEP_1) | instskip(SKIP_1) | instid1(VALU_DEP_2)
	v_sub_nc_u32_e32 v37, 0x70, v27
	v_cmp_gt_u32_e32 vcc_lo, 0x71, v27
	v_dual_cndmask_b32 v37, 0, v37 :: v_dual_and_b32 v36, 0x7fffff, v26
	s_delay_alu instid0(VALU_DEP_1) | instskip(SKIP_2) | instid1(VALU_DEP_4)
	v_or_b32_e32 v38, 0x800000, v36
	v_cmp_eq_u32_e32 vcc_lo, 0, v27
	v_add_nc_u32_e32 v27, 0xffffff91, v27
	v_cndmask_b32_e64 v37, v37, 0x6f, vcc_lo
	s_delay_alu instid0(VALU_DEP_4) | instskip(NEXT) | instid1(VALU_DEP_3)
	v_cndmask_b32_e32 v36, v38, v36, vcc_lo
	v_cndmask_b32_e64 v27, v27, 0xffffff92, vcc_lo
	s_delay_alu instid0(VALU_DEP_3) | instskip(NEXT) | instid1(VALU_DEP_3)
	v_lshl_add_u32 v38, 0x200000, v37, -1
	v_lshrrev_b32_e32 v39, v37, v36
	v_lshlrev_b32_e64 v49, v37, 0x100000
	s_delay_alu instid0(VALU_DEP_4) | instskip(NEXT) | instid1(VALU_DEP_4)
	v_add_nc_u32_e32 v37, v37, v27
	v_and_b32_e32 v36, v38, v36
	s_delay_alu instid0(VALU_DEP_4) | instskip(NEXT) | instid1(VALU_DEP_2)
	v_bfe_u32 v48, v39, 21, 1
	v_cmp_eq_u32_e64 s13, v36, v49
	s_delay_alu instid0(VALU_DEP_2) | instskip(NEXT) | instid1(VALU_DEP_1)
	v_add_nc_u32_e32 v38, -1, v48
	v_cndmask_b32_e64 v36, 0, v38, s13
	v_lshrrev_b32_e32 v38, 23, v39
	s_mov_b32 s13, exec_lo
	s_delay_alu instid0(VALU_DEP_2) | instskip(NEXT) | instid1(VALU_DEP_2)
	v_add_nc_u32_e32 v36, v36, v39
	v_xor_b32_e32 v38, 1, v38
	s_delay_alu instid0(VALU_DEP_2) | instskip(NEXT) | instid1(VALU_DEP_1)
	v_and_b32_e32 v27, 0x1fffff, v36
	v_add_nc_u32_e32 v36, v27, v39
                                        ; implicit-def: $vgpr27
	s_delay_alu instid0(VALU_DEP_3)
	v_cmpx_ne_u32_e64 v37, v38
	s_xor_b32 s13, exec_lo, s13
; %bb.4325:                             ;   in Loop: Header=BB6_3265 Depth=4
	s_delay_alu instid0(VALU_DEP_2) | instskip(SKIP_2) | instid1(VALU_DEP_2)
	v_cmp_lt_u32_e32 vcc_lo, 0xffffff, v36
	v_sub_nc_u32_e32 v27, v37, v38
	v_cndmask_b32_e64 v37, 0, 1, vcc_lo
	v_add_co_ci_u32_e32 v27, vcc_lo, 0, v27, vcc_lo
	s_delay_alu instid0(VALU_DEP_2)
	v_lshrrev_b32_e32 v36, v37, v36
; %bb.4326:                             ;   in Loop: Header=BB6_3265 Depth=4
	s_and_not1_saveexec_b32 s13, s13
; %bb.4327:                             ;   in Loop: Header=BB6_3265 Depth=4
	s_delay_alu instid0(VALU_DEP_1)
	v_bfe_u32 v27, v36, 23, 1
; %bb.4328:                             ;   in Loop: Header=BB6_3265 Depth=4
	s_or_b32 exec_lo, exec_lo, s13
	v_lshrrev_b32_e32 v36, 21, v36
	s_delay_alu instid0(VALU_DEP_2) | instskip(SKIP_2) | instid1(VALU_DEP_2)
	v_cmp_gt_i32_e32 vcc_lo, 32, v27
	v_min_i32_e32 v37, 31, v27
	v_lshrrev_b32_e32 v26, 24, v26
	v_dual_cndmask_b32 v36, 3, v36 :: v_dual_lshlrev_b32 v37, 2, v37
	s_delay_alu instid0(VALU_DEP_2) | instskip(NEXT) | instid1(VALU_DEP_2)
	v_and_b32_e32 v26, 0x80, v26
	v_or_b32_e32 v27, v27, v36
	s_delay_alu instid0(VALU_DEP_1) | instskip(SKIP_1) | instid1(VALU_DEP_1)
	v_cmp_ne_u32_e32 vcc_lo, 0, v27
	v_and_b32_e32 v38, 3, v36
	v_or3_b32 v26, v37, v26, v38
	s_delay_alu instid0(VALU_DEP_1)
	v_cndmask_b32_e32 v111, 0, v26, vcc_lo
.LBB6_4329:                             ;   in Loop: Header=BB6_3265 Depth=4
	s_or_b32 exec_lo, exec_lo, s35
.LBB6_4330:                             ;   in Loop: Header=BB6_3265 Depth=4
	s_delay_alu instid0(SALU_CYCLE_1) | instskip(SKIP_3) | instid1(VALU_DEP_1)
	s_or_b32 exec_lo, exec_lo, s34
	v_and_b32_e32 v27, 0xff, v110
	s_mov_b32 s13, 0
	s_mov_b32 s35, exec_lo
                                        ; implicit-def: $sgpr34
	v_cmpx_lt_i16_e32 0x7f, v27
	s_xor_b32 s35, exec_lo, s35
	s_cbranch_execnz .LBB6_5464
; %bb.4331:                             ;   in Loop: Header=BB6_3265 Depth=4
	s_or_saveexec_b32 s35, s35
	v_mov_b32_e32 v26, s34
	s_xor_b32 exec_lo, exec_lo, s35
	s_cbranch_execnz .LBB6_5467
.LBB6_4332:                             ;   in Loop: Header=BB6_3265 Depth=4
	s_or_b32 exec_lo, exec_lo, s35
	s_and_saveexec_b32 s34, s13
	s_cbranch_execz .LBB6_4334
.LBB6_4333:                             ;   in Loop: Header=BB6_3265 Depth=4
	v_bfe_u32 v37, v110, 2, 5
	v_lshlrev_b32_e32 v38, 24, v110
	s_delay_alu instid0(VALU_DEP_2) | instskip(SKIP_1) | instid1(VALU_DEP_1)
	v_cmp_eq_u32_e32 vcc_lo, 0, v37
	v_and_b32_e32 v26, 3, v110
	v_clz_i32_u32_e32 v27, v26
	s_delay_alu instid0(VALU_DEP_1) | instskip(NEXT) | instid1(VALU_DEP_1)
	v_min_u32_e32 v27, 32, v27
	v_subrev_nc_u32_e32 v36, 29, v27
	v_sub_nc_u32_e32 v27, 30, v27
	s_delay_alu instid0(VALU_DEP_1) | instskip(NEXT) | instid1(VALU_DEP_1)
	v_dual_cndmask_b32 v27, v37, v27 :: v_dual_lshlrev_b32 v36, v36, v110
	v_and_b32_e32 v36, 3, v36
	s_delay_alu instid0(VALU_DEP_2) | instskip(NEXT) | instid1(VALU_DEP_2)
	v_lshl_add_u32 v27, v27, 23, 0x37800000
	v_cndmask_b32_e32 v26, v26, v36, vcc_lo
	v_and_b32_e32 v36, 0x80000000, v38
	s_delay_alu instid0(VALU_DEP_2) | instskip(NEXT) | instid1(VALU_DEP_1)
	v_lshlrev_b32_e32 v26, 21, v26
	v_or3_b32 v26, v36, v27, v26
.LBB6_4334:                             ;   in Loop: Header=BB6_3265 Depth=4
	s_or_b32 exec_lo, exec_lo, s34
	v_lshrrev_b32_e32 v27, 16, v16
	s_mov_b32 s13, 0
	s_mov_b32 s35, exec_lo
                                        ; implicit-def: $sgpr34
	s_delay_alu instid0(VALU_DEP_1) | instskip(NEXT) | instid1(VALU_DEP_1)
	v_and_b32_e32 v37, 0xff, v27
	v_cmpx_lt_i16_e32 0x7f, v37
	s_xor_b32 s35, exec_lo, s35
	s_cbranch_execnz .LBB6_5468
; %bb.4335:                             ;   in Loop: Header=BB6_3265 Depth=4
	s_or_saveexec_b32 s35, s35
	v_mov_b32_e32 v36, s34
	s_xor_b32 exec_lo, exec_lo, s35
	s_cbranch_execnz .LBB6_5471
.LBB6_4336:                             ;   in Loop: Header=BB6_3265 Depth=4
	s_or_b32 exec_lo, exec_lo, s35
	s_and_saveexec_b32 s34, s13
	s_cbranch_execz .LBB6_4338
.LBB6_4337:                             ;   in Loop: Header=BB6_3265 Depth=4
	v_bfe_u32 v36, v16, 16, 2
	v_lshlrev_b32_e32 v39, 8, v16
	s_delay_alu instid0(VALU_DEP_2) | instskip(NEXT) | instid1(VALU_DEP_1)
	v_clz_i32_u32_e32 v37, v36
	v_min_u32_e32 v37, 32, v37
	s_delay_alu instid0(VALU_DEP_1) | instskip(SKIP_1) | instid1(VALU_DEP_2)
	v_subrev_nc_u32_e32 v38, 29, v37
	v_sub_nc_u32_e32 v37, 30, v37
	v_lshlrev_b32_e32 v27, v38, v27
	v_bfe_u32 v38, v16, 18, 5
	s_delay_alu instid0(VALU_DEP_2) | instskip(NEXT) | instid1(VALU_DEP_2)
	v_and_b32_e32 v27, 3, v27
	v_cmp_eq_u32_e32 vcc_lo, 0, v38
	v_cndmask_b32_e32 v37, v38, v37, vcc_lo
	s_delay_alu instid0(VALU_DEP_3) | instskip(SKIP_1) | instid1(VALU_DEP_3)
	v_cndmask_b32_e32 v27, v36, v27, vcc_lo
	v_and_b32_e32 v36, 0x80000000, v39
	v_lshl_add_u32 v37, v37, 23, 0x37800000
	s_delay_alu instid0(VALU_DEP_3) | instskip(NEXT) | instid1(VALU_DEP_1)
	v_lshlrev_b32_e32 v27, 21, v27
	v_or3_b32 v36, v36, v37, v27
.LBB6_4338:                             ;   in Loop: Header=BB6_3265 Depth=4
	s_or_b32 exec_lo, exec_lo, s34
	s_delay_alu instid0(VALU_DEP_1) | instskip(SKIP_2) | instid1(VALU_DEP_2)
	v_add_f32_e32 v26, v26, v36
	v_mov_b32_e32 v110, 0x80
	s_mov_b32 s34, exec_lo
	v_and_b32_e32 v27, 0x7f800000, v26
	s_delay_alu instid0(VALU_DEP_1)
	v_cmpx_ne_u32_e32 0x7f800000, v27
	s_cbranch_execz .LBB6_4346
; %bb.4339:                             ;   in Loop: Header=BB6_3265 Depth=4
	v_mov_b32_e32 v110, 0
	s_mov_b32 s35, exec_lo
	v_cmpx_ne_u32_e32 0, v26
	s_cbranch_execz .LBB6_4345
; %bb.4340:                             ;   in Loop: Header=BB6_3265 Depth=4
	v_bfe_u32 v27, v26, 23, 8
	s_delay_alu instid0(VALU_DEP_1) | instskip(SKIP_1) | instid1(VALU_DEP_2)
	v_sub_nc_u32_e32 v37, 0x70, v27
	v_cmp_gt_u32_e32 vcc_lo, 0x71, v27
	v_dual_cndmask_b32 v37, 0, v37 :: v_dual_and_b32 v36, 0x7fffff, v26
	s_delay_alu instid0(VALU_DEP_1) | instskip(SKIP_2) | instid1(VALU_DEP_4)
	v_or_b32_e32 v38, 0x800000, v36
	v_cmp_eq_u32_e32 vcc_lo, 0, v27
	v_add_nc_u32_e32 v27, 0xffffff91, v27
	v_cndmask_b32_e64 v37, v37, 0x6f, vcc_lo
	s_delay_alu instid0(VALU_DEP_4) | instskip(NEXT) | instid1(VALU_DEP_3)
	v_cndmask_b32_e32 v36, v38, v36, vcc_lo
	v_cndmask_b32_e64 v27, v27, 0xffffff92, vcc_lo
	s_delay_alu instid0(VALU_DEP_3) | instskip(NEXT) | instid1(VALU_DEP_3)
	v_lshl_add_u32 v38, 0x200000, v37, -1
	v_lshrrev_b32_e32 v39, v37, v36
	v_lshlrev_b32_e64 v49, v37, 0x100000
	s_delay_alu instid0(VALU_DEP_4) | instskip(NEXT) | instid1(VALU_DEP_4)
	v_add_nc_u32_e32 v37, v37, v27
	v_and_b32_e32 v36, v38, v36
	s_delay_alu instid0(VALU_DEP_4) | instskip(NEXT) | instid1(VALU_DEP_2)
	v_bfe_u32 v48, v39, 21, 1
	v_cmp_eq_u32_e64 s13, v36, v49
	s_delay_alu instid0(VALU_DEP_2) | instskip(NEXT) | instid1(VALU_DEP_1)
	v_add_nc_u32_e32 v38, -1, v48
	v_cndmask_b32_e64 v36, 0, v38, s13
	v_lshrrev_b32_e32 v38, 23, v39
	s_mov_b32 s13, exec_lo
	s_delay_alu instid0(VALU_DEP_2) | instskip(NEXT) | instid1(VALU_DEP_2)
	v_add_nc_u32_e32 v36, v36, v39
	v_xor_b32_e32 v38, 1, v38
	s_delay_alu instid0(VALU_DEP_2) | instskip(NEXT) | instid1(VALU_DEP_1)
	v_and_b32_e32 v27, 0x1fffff, v36
	v_add_nc_u32_e32 v36, v27, v39
                                        ; implicit-def: $vgpr27
	s_delay_alu instid0(VALU_DEP_3)
	v_cmpx_ne_u32_e64 v37, v38
	s_xor_b32 s13, exec_lo, s13
; %bb.4341:                             ;   in Loop: Header=BB6_3265 Depth=4
	s_delay_alu instid0(VALU_DEP_2) | instskip(SKIP_2) | instid1(VALU_DEP_2)
	v_cmp_lt_u32_e32 vcc_lo, 0xffffff, v36
	v_sub_nc_u32_e32 v27, v37, v38
	v_cndmask_b32_e64 v37, 0, 1, vcc_lo
	v_add_co_ci_u32_e32 v27, vcc_lo, 0, v27, vcc_lo
	s_delay_alu instid0(VALU_DEP_2)
	v_lshrrev_b32_e32 v36, v37, v36
; %bb.4342:                             ;   in Loop: Header=BB6_3265 Depth=4
	s_and_not1_saveexec_b32 s13, s13
; %bb.4343:                             ;   in Loop: Header=BB6_3265 Depth=4
	s_delay_alu instid0(VALU_DEP_1)
	v_bfe_u32 v27, v36, 23, 1
; %bb.4344:                             ;   in Loop: Header=BB6_3265 Depth=4
	s_or_b32 exec_lo, exec_lo, s13
	v_lshrrev_b32_e32 v36, 21, v36
	s_delay_alu instid0(VALU_DEP_2) | instskip(SKIP_2) | instid1(VALU_DEP_4)
	v_cmp_gt_i32_e32 vcc_lo, 32, v27
	v_lshrrev_b32_e32 v26, 24, v26
	v_min_i32_e32 v37, 31, v27
	v_cndmask_b32_e32 v36, 3, v36, vcc_lo
	s_delay_alu instid0(VALU_DEP_3) | instskip(NEXT) | instid1(VALU_DEP_3)
	v_and_b32_e32 v26, 0x80, v26
	v_lshlrev_b32_e32 v37, 2, v37
	s_delay_alu instid0(VALU_DEP_3) | instskip(SKIP_1) | instid1(VALU_DEP_2)
	v_and_b32_e32 v38, 3, v36
	v_or_b32_e32 v27, v27, v36
	v_or3_b32 v26, v37, v26, v38
	s_delay_alu instid0(VALU_DEP_2) | instskip(NEXT) | instid1(VALU_DEP_2)
	v_cmp_ne_u32_e32 vcc_lo, 0, v27
	v_cndmask_b32_e32 v110, 0, v26, vcc_lo
.LBB6_4345:                             ;   in Loop: Header=BB6_3265 Depth=4
	s_or_b32 exec_lo, exec_lo, s35
.LBB6_4346:                             ;   in Loop: Header=BB6_3265 Depth=4
	s_delay_alu instid0(SALU_CYCLE_1) | instskip(SKIP_3) | instid1(VALU_DEP_1)
	s_or_b32 exec_lo, exec_lo, s34
	v_and_b32_e32 v27, 0xff, v108
	s_mov_b32 s13, 0
	s_mov_b32 s35, exec_lo
                                        ; implicit-def: $sgpr34
	v_cmpx_lt_i16_e32 0x7f, v27
	s_xor_b32 s35, exec_lo, s35
	s_cbranch_execnz .LBB6_5472
; %bb.4347:                             ;   in Loop: Header=BB6_3265 Depth=4
	s_or_saveexec_b32 s35, s35
	v_mov_b32_e32 v26, s34
	s_xor_b32 exec_lo, exec_lo, s35
	s_cbranch_execnz .LBB6_5475
.LBB6_4348:                             ;   in Loop: Header=BB6_3265 Depth=4
	s_or_b32 exec_lo, exec_lo, s35
	s_and_saveexec_b32 s34, s13
	s_cbranch_execz .LBB6_4350
.LBB6_4349:                             ;   in Loop: Header=BB6_3265 Depth=4
	v_lshlrev_b32_e32 v26, 8, v108
	s_delay_alu instid0(VALU_DEP_1) | instskip(SKIP_1) | instid1(VALU_DEP_2)
	v_and_b32_e32 v36, 0xff00, v26
	v_bfe_u32 v26, v26, 10, 5
	v_bfe_u32 v37, v36, 8, 2
	s_delay_alu instid0(VALU_DEP_2) | instskip(SKIP_1) | instid1(VALU_DEP_3)
	v_cmp_eq_u32_e32 vcc_lo, 0, v26
	v_lshlrev_b32_e32 v36, 16, v36
	v_clz_i32_u32_e32 v38, v37
	s_delay_alu instid0(VALU_DEP_2) | instskip(NEXT) | instid1(VALU_DEP_2)
	v_and_b32_e32 v36, 0x80000000, v36
	v_min_u32_e32 v38, 32, v38
	s_delay_alu instid0(VALU_DEP_1) | instskip(SKIP_1) | instid1(VALU_DEP_1)
	v_subrev_nc_u32_e32 v39, 29, v38
	v_sub_nc_u32_e32 v38, 30, v38
	v_dual_cndmask_b32 v26, v26, v38 :: v_dual_lshlrev_b32 v27, v39, v27
	s_delay_alu instid0(VALU_DEP_1) | instskip(NEXT) | instid1(VALU_DEP_2)
	v_and_b32_e32 v27, 3, v27
	v_lshl_add_u32 v26, v26, 23, 0x37800000
	s_delay_alu instid0(VALU_DEP_2) | instskip(NEXT) | instid1(VALU_DEP_1)
	v_cndmask_b32_e32 v27, v37, v27, vcc_lo
	v_lshlrev_b32_e32 v27, 21, v27
	s_delay_alu instid0(VALU_DEP_1)
	v_or3_b32 v26, v36, v26, v27
.LBB6_4350:                             ;   in Loop: Header=BB6_3265 Depth=4
	s_or_b32 exec_lo, exec_lo, s34
	v_lshrrev_b32_e32 v27, 24, v16
	s_mov_b32 s13, 0
	s_mov_b32 s35, exec_lo
                                        ; implicit-def: $sgpr34
	s_delay_alu instid0(VALU_DEP_1)
	v_cmpx_lt_i16_e32 0x7f, v27
	s_xor_b32 s35, exec_lo, s35
	s_cbranch_execnz .LBB6_5476
; %bb.4351:                             ;   in Loop: Header=BB6_3265 Depth=4
	s_or_saveexec_b32 s35, s35
	v_mov_b32_e32 v36, s34
	s_xor_b32 exec_lo, exec_lo, s35
	s_cbranch_execnz .LBB6_5479
.LBB6_4352:                             ;   in Loop: Header=BB6_3265 Depth=4
	s_or_b32 exec_lo, exec_lo, s35
	s_and_saveexec_b32 s34, s13
	s_cbranch_execz .LBB6_4354
.LBB6_4353:                             ;   in Loop: Header=BB6_3265 Depth=4
	v_bfe_u32 v36, v16, 24, 2
	s_delay_alu instid0(VALU_DEP_1) | instskip(NEXT) | instid1(VALU_DEP_1)
	v_clz_i32_u32_e32 v37, v36
	v_min_u32_e32 v37, 32, v37
	s_delay_alu instid0(VALU_DEP_1) | instskip(SKIP_1) | instid1(VALU_DEP_2)
	v_subrev_nc_u32_e32 v38, 29, v37
	v_sub_nc_u32_e32 v37, 30, v37
	v_lshlrev_b32_e32 v27, v38, v27
	v_bfe_u32 v38, v16, 26, 5
	v_and_b32_e32 v16, 0x80000000, v16
	s_delay_alu instid0(VALU_DEP_3) | instskip(NEXT) | instid1(VALU_DEP_3)
	v_and_b32_e32 v27, 3, v27
	v_cmp_eq_u32_e32 vcc_lo, 0, v38
	v_cndmask_b32_e32 v37, v38, v37, vcc_lo
	s_delay_alu instid0(VALU_DEP_3) | instskip(NEXT) | instid1(VALU_DEP_2)
	v_cndmask_b32_e32 v27, v36, v27, vcc_lo
	v_lshl_add_u32 v36, v37, 23, 0x37800000
	s_delay_alu instid0(VALU_DEP_2) | instskip(NEXT) | instid1(VALU_DEP_1)
	v_lshlrev_b32_e32 v27, 21, v27
	v_or3_b32 v36, v16, v36, v27
.LBB6_4354:                             ;   in Loop: Header=BB6_3265 Depth=4
	s_or_b32 exec_lo, exec_lo, s34
	s_delay_alu instid0(VALU_DEP_1) | instskip(NEXT) | instid1(VALU_DEP_1)
	v_add_f32_e32 v26, v26, v36
	v_and_b32_e32 v16, 0x7f800000, v26
	s_delay_alu instid0(VALU_DEP_1)
	v_cmp_ne_u32_e32 vcc_lo, 0x7f800000, v16
	v_mov_b32_e32 v16, 0x80
	s_and_saveexec_b32 s34, vcc_lo
	s_cbranch_execz .LBB6_4362
; %bb.4355:                             ;   in Loop: Header=BB6_3265 Depth=4
	v_mov_b32_e32 v16, 0
	s_mov_b32 s35, exec_lo
	v_cmpx_ne_u32_e32 0, v26
	s_cbranch_execz .LBB6_4361
; %bb.4356:                             ;   in Loop: Header=BB6_3265 Depth=4
	v_bfe_u32 v16, v26, 23, 8
	s_delay_alu instid0(VALU_DEP_1) | instskip(SKIP_1) | instid1(VALU_DEP_2)
	v_sub_nc_u32_e32 v36, 0x70, v16
	v_cmp_gt_u32_e32 vcc_lo, 0x71, v16
	v_dual_cndmask_b32 v36, 0, v36 :: v_dual_and_b32 v27, 0x7fffff, v26
	s_delay_alu instid0(VALU_DEP_1) | instskip(SKIP_2) | instid1(VALU_DEP_4)
	v_or_b32_e32 v37, 0x800000, v27
	v_cmp_eq_u32_e32 vcc_lo, 0, v16
	v_add_nc_u32_e32 v16, 0xffffff91, v16
	v_cndmask_b32_e64 v36, v36, 0x6f, vcc_lo
	s_delay_alu instid0(VALU_DEP_4) | instskip(NEXT) | instid1(VALU_DEP_3)
	v_cndmask_b32_e32 v27, v37, v27, vcc_lo
	v_cndmask_b32_e64 v16, v16, 0xffffff92, vcc_lo
	s_delay_alu instid0(VALU_DEP_3) | instskip(NEXT) | instid1(VALU_DEP_3)
	v_lshl_add_u32 v37, 0x200000, v36, -1
	v_lshrrev_b32_e32 v38, v36, v27
	v_lshlrev_b32_e64 v48, v36, 0x100000
	s_delay_alu instid0(VALU_DEP_4) | instskip(NEXT) | instid1(VALU_DEP_4)
	v_add_nc_u32_e32 v36, v36, v16
	v_and_b32_e32 v27, v37, v27
	s_delay_alu instid0(VALU_DEP_4) | instskip(NEXT) | instid1(VALU_DEP_2)
	v_bfe_u32 v39, v38, 21, 1
	v_cmp_eq_u32_e64 s13, v27, v48
	s_delay_alu instid0(VALU_DEP_2) | instskip(NEXT) | instid1(VALU_DEP_1)
	v_add_nc_u32_e32 v37, -1, v39
	v_cndmask_b32_e64 v27, 0, v37, s13
	v_lshrrev_b32_e32 v37, 23, v38
	s_mov_b32 s13, exec_lo
	s_delay_alu instid0(VALU_DEP_2) | instskip(NEXT) | instid1(VALU_DEP_2)
	v_add_nc_u32_e32 v27, v27, v38
	v_xor_b32_e32 v37, 1, v37
	s_delay_alu instid0(VALU_DEP_2) | instskip(NEXT) | instid1(VALU_DEP_1)
	v_and_b32_e32 v16, 0x1fffff, v27
	v_add_nc_u32_e32 v27, v16, v38
                                        ; implicit-def: $vgpr16
	s_delay_alu instid0(VALU_DEP_3)
	v_cmpx_ne_u32_e64 v36, v37
	s_xor_b32 s13, exec_lo, s13
; %bb.4357:                             ;   in Loop: Header=BB6_3265 Depth=4
	s_delay_alu instid0(VALU_DEP_2) | instskip(SKIP_2) | instid1(VALU_DEP_2)
	v_cmp_lt_u32_e32 vcc_lo, 0xffffff, v27
	v_sub_nc_u32_e32 v16, v36, v37
	v_cndmask_b32_e64 v36, 0, 1, vcc_lo
	v_add_co_ci_u32_e32 v16, vcc_lo, 0, v16, vcc_lo
	s_delay_alu instid0(VALU_DEP_2)
	v_lshrrev_b32_e32 v27, v36, v27
; %bb.4358:                             ;   in Loop: Header=BB6_3265 Depth=4
	s_and_not1_saveexec_b32 s13, s13
; %bb.4359:                             ;   in Loop: Header=BB6_3265 Depth=4
	s_delay_alu instid0(VALU_DEP_1)
	v_bfe_u32 v16, v27, 23, 1
; %bb.4360:                             ;   in Loop: Header=BB6_3265 Depth=4
	s_or_b32 exec_lo, exec_lo, s13
	v_lshrrev_b32_e32 v27, 21, v27
	s_delay_alu instid0(VALU_DEP_2) | instskip(SKIP_2) | instid1(VALU_DEP_2)
	v_cmp_gt_i32_e32 vcc_lo, 32, v16
	v_lshrrev_b32_e32 v26, 24, v26
	v_min_i32_e32 v36, 31, v16
	v_dual_cndmask_b32 v27, 3, v27 :: v_dual_and_b32 v26, 0x80, v26
	s_delay_alu instid0(VALU_DEP_2) | instskip(NEXT) | instid1(VALU_DEP_2)
	v_lshlrev_b32_e32 v36, 2, v36
	v_or_b32_e32 v16, v16, v27
	s_delay_alu instid0(VALU_DEP_1) | instskip(SKIP_1) | instid1(VALU_DEP_1)
	v_cmp_ne_u32_e32 vcc_lo, 0, v16
	v_and_b32_e32 v37, 3, v27
	v_or3_b32 v26, v36, v26, v37
	s_delay_alu instid0(VALU_DEP_1)
	v_cndmask_b32_e32 v16, 0, v26, vcc_lo
.LBB6_4361:                             ;   in Loop: Header=BB6_3265 Depth=4
	s_or_b32 exec_lo, exec_lo, s35
.LBB6_4362:                             ;   in Loop: Header=BB6_3265 Depth=4
	s_delay_alu instid0(SALU_CYCLE_1) | instskip(SKIP_3) | instid1(VALU_DEP_1)
	s_or_b32 exec_lo, exec_lo, s34
	v_or_b32_e32 v26, v120, v107
	s_mov_b32 s13, 0
	s_mov_b32 s35, exec_lo
                                        ; implicit-def: $sgpr34
	v_and_b32_e32 v36, 0xff, v26
	s_delay_alu instid0(VALU_DEP_1)
	v_cmpx_lt_i16_e32 0x7f, v36
	s_xor_b32 s35, exec_lo, s35
	s_cbranch_execnz .LBB6_5480
; %bb.4363:                             ;   in Loop: Header=BB6_3265 Depth=4
	s_or_saveexec_b32 s35, s35
	v_mov_b32_e32 v27, s34
	s_xor_b32 exec_lo, exec_lo, s35
	s_cbranch_execnz .LBB6_5483
.LBB6_4364:                             ;   in Loop: Header=BB6_3265 Depth=4
	s_or_b32 exec_lo, exec_lo, s35
	s_and_saveexec_b32 s34, s13
	s_cbranch_execz .LBB6_4366
.LBB6_4365:                             ;   in Loop: Header=BB6_3265 Depth=4
	v_bfe_u32 v38, v26, 2, 5
	v_lshlrev_b32_e32 v39, 24, v26
	s_delay_alu instid0(VALU_DEP_2) | instskip(SKIP_1) | instid1(VALU_DEP_1)
	v_cmp_eq_u32_e32 vcc_lo, 0, v38
	v_and_b32_e32 v27, 3, v26
	v_clz_i32_u32_e32 v36, v27
	s_delay_alu instid0(VALU_DEP_1) | instskip(NEXT) | instid1(VALU_DEP_1)
	v_min_u32_e32 v36, 32, v36
	v_subrev_nc_u32_e32 v37, 29, v36
	v_sub_nc_u32_e32 v36, 30, v36
	s_delay_alu instid0(VALU_DEP_1) | instskip(NEXT) | instid1(VALU_DEP_1)
	v_dual_cndmask_b32 v36, v38, v36 :: v_dual_lshlrev_b32 v37, v37, v26
	v_and_b32_e32 v37, 3, v37
	s_delay_alu instid0(VALU_DEP_2) | instskip(NEXT) | instid1(VALU_DEP_2)
	v_lshl_add_u32 v36, v36, 23, 0x37800000
	v_cndmask_b32_e32 v27, v27, v37, vcc_lo
	v_and_b32_e32 v37, 0x80000000, v39
	s_delay_alu instid0(VALU_DEP_2) | instskip(NEXT) | instid1(VALU_DEP_1)
	v_lshlrev_b32_e32 v27, 21, v27
	v_or3_b32 v27, v37, v36, v27
.LBB6_4366:                             ;   in Loop: Header=BB6_3265 Depth=4
	s_or_b32 exec_lo, exec_lo, s34
	v_and_b32_e32 v37, 0xff, v17
	s_mov_b32 s13, 0
	s_mov_b32 s35, exec_lo
                                        ; implicit-def: $sgpr34
	s_delay_alu instid0(VALU_DEP_1)
	v_cmpx_lt_i16_e32 0x7f, v37
	s_xor_b32 s35, exec_lo, s35
	s_cbranch_execnz .LBB6_5484
; %bb.4367:                             ;   in Loop: Header=BB6_3265 Depth=4
	s_or_saveexec_b32 s35, s35
	v_mov_b32_e32 v36, s34
	s_xor_b32 exec_lo, exec_lo, s35
	s_cbranch_execnz .LBB6_5487
.LBB6_4368:                             ;   in Loop: Header=BB6_3265 Depth=4
	s_or_b32 exec_lo, exec_lo, s35
	s_and_saveexec_b32 s34, s13
	s_cbranch_execz .LBB6_4370
.LBB6_4369:                             ;   in Loop: Header=BB6_3265 Depth=4
	v_and_b32_e32 v36, 3, v17
	v_bfe_u32 v39, v17, 2, 5
	v_lshlrev_b32_e32 v48, 24, v17
	s_delay_alu instid0(VALU_DEP_3) | instskip(NEXT) | instid1(VALU_DEP_3)
	v_clz_i32_u32_e32 v37, v36
	v_cmp_eq_u32_e32 vcc_lo, 0, v39
	s_delay_alu instid0(VALU_DEP_2) | instskip(NEXT) | instid1(VALU_DEP_1)
	v_min_u32_e32 v37, 32, v37
	v_subrev_nc_u32_e32 v38, 29, v37
	v_sub_nc_u32_e32 v37, 30, v37
	s_delay_alu instid0(VALU_DEP_2) | instskip(NEXT) | instid1(VALU_DEP_1)
	v_lshlrev_b32_e32 v38, v38, v17
	v_dual_cndmask_b32 v37, v39, v37 :: v_dual_and_b32 v38, 3, v38
	s_delay_alu instid0(VALU_DEP_1) | instskip(NEXT) | instid1(VALU_DEP_2)
	v_lshl_add_u32 v37, v37, 23, 0x37800000
	v_cndmask_b32_e32 v36, v36, v38, vcc_lo
	v_and_b32_e32 v38, 0x80000000, v48
	s_delay_alu instid0(VALU_DEP_2) | instskip(NEXT) | instid1(VALU_DEP_1)
	v_lshlrev_b32_e32 v36, 21, v36
	v_or3_b32 v36, v38, v37, v36
.LBB6_4370:                             ;   in Loop: Header=BB6_3265 Depth=4
	s_or_b32 exec_lo, exec_lo, s34
	s_delay_alu instid0(VALU_DEP_1) | instskip(SKIP_2) | instid1(VALU_DEP_2)
	v_add_f32_e32 v27, v27, v36
	v_mov_b32_e32 v107, 0x80
	s_mov_b32 s34, exec_lo
	v_and_b32_e32 v36, 0x7f800000, v27
	s_delay_alu instid0(VALU_DEP_1)
	v_cmpx_ne_u32_e32 0x7f800000, v36
	s_cbranch_execz .LBB6_4378
; %bb.4371:                             ;   in Loop: Header=BB6_3265 Depth=4
	v_mov_b32_e32 v107, 0
	s_mov_b32 s35, exec_lo
	v_cmpx_ne_u32_e32 0, v27
	s_cbranch_execz .LBB6_4377
; %bb.4372:                             ;   in Loop: Header=BB6_3265 Depth=4
	v_bfe_u32 v36, v27, 23, 8
	s_delay_alu instid0(VALU_DEP_1) | instskip(SKIP_1) | instid1(VALU_DEP_2)
	v_sub_nc_u32_e32 v38, 0x70, v36
	v_cmp_gt_u32_e32 vcc_lo, 0x71, v36
	v_dual_cndmask_b32 v38, 0, v38 :: v_dual_and_b32 v37, 0x7fffff, v27
	s_delay_alu instid0(VALU_DEP_1) | instskip(SKIP_2) | instid1(VALU_DEP_4)
	v_or_b32_e32 v39, 0x800000, v37
	v_cmp_eq_u32_e32 vcc_lo, 0, v36
	v_add_nc_u32_e32 v36, 0xffffff91, v36
	v_cndmask_b32_e64 v38, v38, 0x6f, vcc_lo
	s_delay_alu instid0(VALU_DEP_4) | instskip(NEXT) | instid1(VALU_DEP_3)
	v_cndmask_b32_e32 v37, v39, v37, vcc_lo
	v_cndmask_b32_e64 v36, v36, 0xffffff92, vcc_lo
	s_delay_alu instid0(VALU_DEP_3) | instskip(NEXT) | instid1(VALU_DEP_3)
	v_lshl_add_u32 v39, 0x200000, v38, -1
	v_lshrrev_b32_e32 v48, v38, v37
	v_lshlrev_b32_e64 v50, v38, 0x100000
	s_delay_alu instid0(VALU_DEP_4) | instskip(NEXT) | instid1(VALU_DEP_4)
	v_add_nc_u32_e32 v38, v38, v36
	v_and_b32_e32 v37, v39, v37
	s_delay_alu instid0(VALU_DEP_4) | instskip(NEXT) | instid1(VALU_DEP_2)
	v_bfe_u32 v49, v48, 21, 1
	v_cmp_eq_u32_e64 s13, v37, v50
	s_delay_alu instid0(VALU_DEP_2) | instskip(NEXT) | instid1(VALU_DEP_1)
	v_add_nc_u32_e32 v39, -1, v49
	v_cndmask_b32_e64 v37, 0, v39, s13
	v_lshrrev_b32_e32 v39, 23, v48
	s_mov_b32 s13, exec_lo
	s_delay_alu instid0(VALU_DEP_2) | instskip(NEXT) | instid1(VALU_DEP_2)
	v_add_nc_u32_e32 v37, v37, v48
	v_xor_b32_e32 v39, 1, v39
	s_delay_alu instid0(VALU_DEP_2) | instskip(NEXT) | instid1(VALU_DEP_1)
	v_and_b32_e32 v36, 0x1fffff, v37
	v_add_nc_u32_e32 v37, v36, v48
                                        ; implicit-def: $vgpr36
	s_delay_alu instid0(VALU_DEP_3)
	v_cmpx_ne_u32_e64 v38, v39
	s_xor_b32 s13, exec_lo, s13
; %bb.4373:                             ;   in Loop: Header=BB6_3265 Depth=4
	s_delay_alu instid0(VALU_DEP_2) | instskip(SKIP_2) | instid1(VALU_DEP_2)
	v_cmp_lt_u32_e32 vcc_lo, 0xffffff, v37
	v_sub_nc_u32_e32 v36, v38, v39
	v_cndmask_b32_e64 v38, 0, 1, vcc_lo
	v_add_co_ci_u32_e32 v36, vcc_lo, 0, v36, vcc_lo
	s_delay_alu instid0(VALU_DEP_2)
	v_lshrrev_b32_e32 v37, v38, v37
; %bb.4374:                             ;   in Loop: Header=BB6_3265 Depth=4
	s_and_not1_saveexec_b32 s13, s13
; %bb.4375:                             ;   in Loop: Header=BB6_3265 Depth=4
	s_delay_alu instid0(VALU_DEP_1)
	v_bfe_u32 v36, v37, 23, 1
; %bb.4376:                             ;   in Loop: Header=BB6_3265 Depth=4
	s_or_b32 exec_lo, exec_lo, s13
	v_lshrrev_b32_e32 v37, 21, v37
	s_delay_alu instid0(VALU_DEP_2) | instskip(SKIP_2) | instid1(VALU_DEP_4)
	v_cmp_gt_i32_e32 vcc_lo, 32, v36
	v_lshrrev_b32_e32 v27, 24, v27
	v_min_i32_e32 v38, 31, v36
	v_cndmask_b32_e32 v37, 3, v37, vcc_lo
	s_delay_alu instid0(VALU_DEP_3) | instskip(NEXT) | instid1(VALU_DEP_3)
	v_and_b32_e32 v27, 0x80, v27
	v_lshlrev_b32_e32 v38, 2, v38
	s_delay_alu instid0(VALU_DEP_3) | instskip(SKIP_1) | instid1(VALU_DEP_2)
	v_and_b32_e32 v39, 3, v37
	v_or_b32_e32 v36, v36, v37
	v_or3_b32 v27, v38, v27, v39
	s_delay_alu instid0(VALU_DEP_2) | instskip(NEXT) | instid1(VALU_DEP_2)
	v_cmp_ne_u32_e32 vcc_lo, 0, v36
	v_cndmask_b32_e32 v107, 0, v27, vcc_lo
.LBB6_4377:                             ;   in Loop: Header=BB6_3265 Depth=4
	s_or_b32 exec_lo, exec_lo, s35
.LBB6_4378:                             ;   in Loop: Header=BB6_3265 Depth=4
	s_delay_alu instid0(SALU_CYCLE_1) | instskip(SKIP_3) | instid1(VALU_DEP_1)
	s_or_b32 exec_lo, exec_lo, s34
	v_lshrrev_b16 v36, 8, v26
	s_mov_b32 s13, 0
	s_mov_b32 s35, exec_lo
                                        ; implicit-def: $sgpr34
	v_cmpx_lt_i16_e32 0x7f, v36
	s_xor_b32 s35, exec_lo, s35
	s_cbranch_execnz .LBB6_5488
; %bb.4379:                             ;   in Loop: Header=BB6_3265 Depth=4
	s_or_saveexec_b32 s35, s35
	v_mov_b32_e32 v27, s34
	s_xor_b32 exec_lo, exec_lo, s35
	s_cbranch_execnz .LBB6_5491
.LBB6_4380:                             ;   in Loop: Header=BB6_3265 Depth=4
	s_or_b32 exec_lo, exec_lo, s35
	s_and_saveexec_b32 s34, s13
	s_cbranch_execz .LBB6_4382
.LBB6_4381:                             ;   in Loop: Header=BB6_3265 Depth=4
	v_and_b32_e32 v27, 0xffff, v36
	s_delay_alu instid0(VALU_DEP_1) | instskip(NEXT) | instid1(VALU_DEP_1)
	v_and_b32_e32 v37, 3, v27
	v_clz_i32_u32_e32 v38, v37
	s_delay_alu instid0(VALU_DEP_1) | instskip(NEXT) | instid1(VALU_DEP_1)
	v_min_u32_e32 v38, 32, v38
	v_subrev_nc_u32_e32 v39, 29, v38
	v_sub_nc_u32_e32 v38, 30, v38
	s_delay_alu instid0(VALU_DEP_2) | instskip(SKIP_1) | instid1(VALU_DEP_2)
	v_lshlrev_b32_e32 v39, v39, v27
	v_bfe_u32 v27, v27, 2, 5
	v_and_b32_e32 v39, 3, v39
	s_delay_alu instid0(VALU_DEP_2) | instskip(SKIP_1) | instid1(VALU_DEP_1)
	v_cmp_eq_u32_e32 vcc_lo, 0, v27
	v_dual_cndmask_b32 v27, v27, v38 :: v_dual_lshlrev_b32 v36, 24, v36
	v_dual_cndmask_b32 v37, v37, v39 :: v_dual_and_b32 v36, 0x80000000, v36
	s_delay_alu instid0(VALU_DEP_2) | instskip(NEXT) | instid1(VALU_DEP_2)
	v_lshl_add_u32 v27, v27, 23, 0x37800000
	v_lshlrev_b32_e32 v37, 21, v37
	s_delay_alu instid0(VALU_DEP_1)
	v_or3_b32 v27, v36, v27, v37
.LBB6_4382:                             ;   in Loop: Header=BB6_3265 Depth=4
	s_or_b32 exec_lo, exec_lo, s34
	v_lshrrev_b16 v36, 8, v17
	s_mov_b32 s13, 0
	s_mov_b32 s35, exec_lo
                                        ; implicit-def: $sgpr34
	s_delay_alu instid0(VALU_DEP_1)
	v_cmpx_lt_i16_e32 0x7f, v36
	s_xor_b32 s35, exec_lo, s35
	s_cbranch_execnz .LBB6_5492
; %bb.4383:                             ;   in Loop: Header=BB6_3265 Depth=4
	s_or_saveexec_b32 s35, s35
	v_mov_b32_e32 v37, s34
	s_xor_b32 exec_lo, exec_lo, s35
	s_cbranch_execnz .LBB6_5495
.LBB6_4384:                             ;   in Loop: Header=BB6_3265 Depth=4
	s_or_b32 exec_lo, exec_lo, s35
	s_and_saveexec_b32 s34, s13
	s_cbranch_execz .LBB6_4386
.LBB6_4385:                             ;   in Loop: Header=BB6_3265 Depth=4
	v_and_b32_e32 v37, 0xffff, v36
	v_lshlrev_b32_e32 v36, 24, v36
	s_delay_alu instid0(VALU_DEP_2) | instskip(NEXT) | instid1(VALU_DEP_2)
	v_and_b32_e32 v38, 3, v37
	v_and_b32_e32 v36, 0x80000000, v36
	s_delay_alu instid0(VALU_DEP_2) | instskip(NEXT) | instid1(VALU_DEP_1)
	v_clz_i32_u32_e32 v39, v38
	v_min_u32_e32 v39, 32, v39
	s_delay_alu instid0(VALU_DEP_1) | instskip(SKIP_1) | instid1(VALU_DEP_2)
	v_subrev_nc_u32_e32 v48, 29, v39
	v_sub_nc_u32_e32 v39, 30, v39
	v_lshlrev_b32_e32 v48, v48, v37
	v_bfe_u32 v37, v37, 2, 5
	s_delay_alu instid0(VALU_DEP_2) | instskip(NEXT) | instid1(VALU_DEP_2)
	v_and_b32_e32 v48, 3, v48
	v_cmp_eq_u32_e32 vcc_lo, 0, v37
	s_delay_alu instid0(VALU_DEP_2) | instskip(NEXT) | instid1(VALU_DEP_1)
	v_dual_cndmask_b32 v37, v37, v39 :: v_dual_cndmask_b32 v38, v38, v48
	v_lshl_add_u32 v37, v37, 23, 0x37800000
	s_delay_alu instid0(VALU_DEP_2) | instskip(NEXT) | instid1(VALU_DEP_1)
	v_lshlrev_b32_e32 v38, 21, v38
	v_or3_b32 v37, v36, v37, v38
.LBB6_4386:                             ;   in Loop: Header=BB6_3265 Depth=4
	s_or_b32 exec_lo, exec_lo, s34
	s_delay_alu instid0(VALU_DEP_1) | instskip(SKIP_1) | instid1(VALU_DEP_1)
	v_dual_add_f32 v27, v27, v37 :: v_dual_mov_b32 v108, 0x8000
	s_mov_b32 s34, exec_lo
	v_and_b32_e32 v36, 0x7f800000, v27
	s_delay_alu instid0(VALU_DEP_1)
	v_cmpx_ne_u32_e32 0x7f800000, v36
	s_cbranch_execz .LBB6_4394
; %bb.4387:                             ;   in Loop: Header=BB6_3265 Depth=4
	v_mov_b32_e32 v108, 0
	s_mov_b32 s35, exec_lo
	v_cmpx_ne_u32_e32 0, v27
	s_cbranch_execz .LBB6_4393
; %bb.4388:                             ;   in Loop: Header=BB6_3265 Depth=4
	v_bfe_u32 v36, v27, 23, 8
	s_delay_alu instid0(VALU_DEP_1) | instskip(SKIP_1) | instid1(VALU_DEP_2)
	v_sub_nc_u32_e32 v38, 0x70, v36
	v_cmp_gt_u32_e32 vcc_lo, 0x71, v36
	v_dual_cndmask_b32 v38, 0, v38 :: v_dual_and_b32 v37, 0x7fffff, v27
	s_delay_alu instid0(VALU_DEP_1) | instskip(SKIP_2) | instid1(VALU_DEP_4)
	v_or_b32_e32 v39, 0x800000, v37
	v_cmp_eq_u32_e32 vcc_lo, 0, v36
	v_add_nc_u32_e32 v36, 0xffffff91, v36
	v_cndmask_b32_e64 v38, v38, 0x6f, vcc_lo
	s_delay_alu instid0(VALU_DEP_4) | instskip(NEXT) | instid1(VALU_DEP_3)
	v_cndmask_b32_e32 v37, v39, v37, vcc_lo
	v_cndmask_b32_e64 v36, v36, 0xffffff92, vcc_lo
	s_delay_alu instid0(VALU_DEP_3) | instskip(NEXT) | instid1(VALU_DEP_3)
	v_lshl_add_u32 v39, 0x200000, v38, -1
	v_lshrrev_b32_e32 v48, v38, v37
	v_lshlrev_b32_e64 v50, v38, 0x100000
	s_delay_alu instid0(VALU_DEP_4) | instskip(NEXT) | instid1(VALU_DEP_4)
	v_add_nc_u32_e32 v38, v38, v36
	v_and_b32_e32 v37, v39, v37
	s_delay_alu instid0(VALU_DEP_4) | instskip(NEXT) | instid1(VALU_DEP_2)
	v_bfe_u32 v49, v48, 21, 1
	v_cmp_eq_u32_e64 s13, v37, v50
	s_delay_alu instid0(VALU_DEP_2) | instskip(NEXT) | instid1(VALU_DEP_1)
	v_add_nc_u32_e32 v39, -1, v49
	v_cndmask_b32_e64 v37, 0, v39, s13
	v_lshrrev_b32_e32 v39, 23, v48
	s_mov_b32 s13, exec_lo
	s_delay_alu instid0(VALU_DEP_2) | instskip(NEXT) | instid1(VALU_DEP_2)
	v_add_nc_u32_e32 v37, v37, v48
	v_xor_b32_e32 v39, 1, v39
	s_delay_alu instid0(VALU_DEP_2) | instskip(NEXT) | instid1(VALU_DEP_1)
	v_and_b32_e32 v36, 0x1fffff, v37
	v_add_nc_u32_e32 v37, v36, v48
                                        ; implicit-def: $vgpr36
	s_delay_alu instid0(VALU_DEP_3)
	v_cmpx_ne_u32_e64 v38, v39
	s_xor_b32 s13, exec_lo, s13
; %bb.4389:                             ;   in Loop: Header=BB6_3265 Depth=4
	s_delay_alu instid0(VALU_DEP_2) | instskip(SKIP_2) | instid1(VALU_DEP_2)
	v_cmp_lt_u32_e32 vcc_lo, 0xffffff, v37
	v_sub_nc_u32_e32 v36, v38, v39
	v_cndmask_b32_e64 v38, 0, 1, vcc_lo
	v_add_co_ci_u32_e32 v36, vcc_lo, 0, v36, vcc_lo
	s_delay_alu instid0(VALU_DEP_2)
	v_lshrrev_b32_e32 v37, v38, v37
; %bb.4390:                             ;   in Loop: Header=BB6_3265 Depth=4
	s_and_not1_saveexec_b32 s13, s13
; %bb.4391:                             ;   in Loop: Header=BB6_3265 Depth=4
	s_delay_alu instid0(VALU_DEP_1)
	v_bfe_u32 v36, v37, 23, 1
; %bb.4392:                             ;   in Loop: Header=BB6_3265 Depth=4
	s_or_b32 exec_lo, exec_lo, s13
	v_lshrrev_b32_e32 v37, 21, v37
	s_delay_alu instid0(VALU_DEP_2) | instskip(SKIP_2) | instid1(VALU_DEP_2)
	v_cmp_gt_i32_e32 vcc_lo, 32, v36
	v_min_i32_e32 v38, 31, v36
	v_lshrrev_b32_e32 v27, 24, v27
	v_dual_cndmask_b32 v37, 3, v37 :: v_dual_lshlrev_b32 v38, 2, v38
	s_delay_alu instid0(VALU_DEP_2) | instskip(NEXT) | instid1(VALU_DEP_2)
	v_and_b32_e32 v27, 0x80, v27
	v_or_b32_e32 v36, v36, v37
	s_delay_alu instid0(VALU_DEP_3) | instskip(NEXT) | instid1(VALU_DEP_2)
	v_and_b32_e32 v38, 0xfc, v38
	v_cmp_ne_u32_e32 vcc_lo, 0, v36
	v_and_b32_e32 v39, 3, v37
	s_delay_alu instid0(VALU_DEP_1) | instskip(NEXT) | instid1(VALU_DEP_1)
	v_or3_b32 v27, v27, v38, v39
	v_lshlrev_b32_e32 v27, 8, v27
	s_delay_alu instid0(VALU_DEP_1)
	v_cndmask_b32_e32 v108, 0, v27, vcc_lo
.LBB6_4393:                             ;   in Loop: Header=BB6_3265 Depth=4
	s_or_b32 exec_lo, exec_lo, s35
.LBB6_4394:                             ;   in Loop: Header=BB6_3265 Depth=4
	s_delay_alu instid0(SALU_CYCLE_1) | instskip(SKIP_3) | instid1(VALU_DEP_1)
	s_or_b32 exec_lo, exec_lo, s34
	v_or_b32_e32 v36, v109, v105
	s_mov_b32 s13, 0
	s_mov_b32 s35, exec_lo
                                        ; implicit-def: $sgpr34
	v_and_b32_e32 v37, 0xff, v36
	s_delay_alu instid0(VALU_DEP_1)
	v_cmpx_lt_i16_e32 0x7f, v37
	s_xor_b32 s35, exec_lo, s35
	s_cbranch_execnz .LBB6_5496
; %bb.4395:                             ;   in Loop: Header=BB6_3265 Depth=4
	s_or_saveexec_b32 s35, s35
	v_mov_b32_e32 v27, s34
	s_xor_b32 exec_lo, exec_lo, s35
	s_cbranch_execnz .LBB6_5499
.LBB6_4396:                             ;   in Loop: Header=BB6_3265 Depth=4
	s_or_b32 exec_lo, exec_lo, s35
	v_lshl_or_b32 v26, v36, 16, v26
	s_and_saveexec_b32 s34, s13
	s_cbranch_execz .LBB6_4398
.LBB6_4397:                             ;   in Loop: Header=BB6_3265 Depth=4
	s_delay_alu instid0(VALU_DEP_1) | instskip(SKIP_2) | instid1(VALU_DEP_3)
	v_bfe_u32 v27, v26, 16, 2
	v_lshrrev_b32_e32 v37, 16, v26
	v_lshlrev_b32_e32 v39, 8, v26
	v_clz_i32_u32_e32 v36, v27
	s_delay_alu instid0(VALU_DEP_1) | instskip(NEXT) | instid1(VALU_DEP_1)
	v_min_u32_e32 v36, 32, v36
	v_subrev_nc_u32_e32 v38, 29, v36
	v_sub_nc_u32_e32 v36, 30, v36
	s_delay_alu instid0(VALU_DEP_2) | instskip(SKIP_1) | instid1(VALU_DEP_1)
	v_lshlrev_b32_e32 v37, v38, v37
	v_bfe_u32 v38, v26, 18, 5
	v_cmp_eq_u32_e32 vcc_lo, 0, v38
	s_delay_alu instid0(VALU_DEP_3) | instskip(NEXT) | instid1(VALU_DEP_1)
	v_dual_cndmask_b32 v36, v38, v36 :: v_dual_and_b32 v37, 3, v37
	v_cndmask_b32_e32 v27, v27, v37, vcc_lo
	v_and_b32_e32 v37, 0x80000000, v39
	s_delay_alu instid0(VALU_DEP_3) | instskip(NEXT) | instid1(VALU_DEP_3)
	v_lshl_add_u32 v36, v36, 23, 0x37800000
	v_lshlrev_b32_e32 v27, 21, v27
	s_delay_alu instid0(VALU_DEP_1)
	v_or3_b32 v27, v37, v36, v27
.LBB6_4398:                             ;   in Loop: Header=BB6_3265 Depth=4
	s_or_b32 exec_lo, exec_lo, s34
	v_lshrrev_b32_e32 v36, 16, v17
	s_mov_b32 s13, 0
	s_mov_b32 s35, exec_lo
                                        ; implicit-def: $sgpr34
	s_delay_alu instid0(VALU_DEP_1) | instskip(NEXT) | instid1(VALU_DEP_1)
	v_and_b32_e32 v38, 0xff, v36
	v_cmpx_lt_i16_e32 0x7f, v38
	s_xor_b32 s35, exec_lo, s35
	s_cbranch_execnz .LBB6_5500
; %bb.4399:                             ;   in Loop: Header=BB6_3265 Depth=4
	s_or_saveexec_b32 s35, s35
	v_mov_b32_e32 v37, s34
	s_xor_b32 exec_lo, exec_lo, s35
	s_cbranch_execnz .LBB6_5503
.LBB6_4400:                             ;   in Loop: Header=BB6_3265 Depth=4
	s_or_b32 exec_lo, exec_lo, s35
	s_and_saveexec_b32 s34, s13
	s_cbranch_execz .LBB6_4402
.LBB6_4401:                             ;   in Loop: Header=BB6_3265 Depth=4
	v_bfe_u32 v37, v17, 16, 2
	v_lshlrev_b32_e32 v48, 8, v17
	s_delay_alu instid0(VALU_DEP_2) | instskip(NEXT) | instid1(VALU_DEP_1)
	v_clz_i32_u32_e32 v38, v37
	v_min_u32_e32 v38, 32, v38
	s_delay_alu instid0(VALU_DEP_1) | instskip(SKIP_1) | instid1(VALU_DEP_2)
	v_subrev_nc_u32_e32 v39, 29, v38
	v_sub_nc_u32_e32 v38, 30, v38
	v_lshlrev_b32_e32 v36, v39, v36
	v_bfe_u32 v39, v17, 18, 5
	s_delay_alu instid0(VALU_DEP_2) | instskip(NEXT) | instid1(VALU_DEP_2)
	v_and_b32_e32 v36, 3, v36
	v_cmp_eq_u32_e32 vcc_lo, 0, v39
	v_cndmask_b32_e32 v38, v39, v38, vcc_lo
	s_delay_alu instid0(VALU_DEP_3) | instskip(SKIP_1) | instid1(VALU_DEP_3)
	v_cndmask_b32_e32 v36, v37, v36, vcc_lo
	v_and_b32_e32 v37, 0x80000000, v48
	v_lshl_add_u32 v38, v38, 23, 0x37800000
	s_delay_alu instid0(VALU_DEP_3) | instskip(NEXT) | instid1(VALU_DEP_1)
	v_lshlrev_b32_e32 v36, 21, v36
	v_or3_b32 v37, v37, v38, v36
.LBB6_4402:                             ;   in Loop: Header=BB6_3265 Depth=4
	s_or_b32 exec_lo, exec_lo, s34
	s_delay_alu instid0(VALU_DEP_1) | instskip(SKIP_2) | instid1(VALU_DEP_2)
	v_add_f32_e32 v27, v27, v37
	v_mov_b32_e32 v105, 0x80
	s_mov_b32 s34, exec_lo
	v_and_b32_e32 v36, 0x7f800000, v27
	s_delay_alu instid0(VALU_DEP_1)
	v_cmpx_ne_u32_e32 0x7f800000, v36
	s_cbranch_execz .LBB6_4410
; %bb.4403:                             ;   in Loop: Header=BB6_3265 Depth=4
	v_mov_b32_e32 v105, 0
	s_mov_b32 s35, exec_lo
	v_cmpx_ne_u32_e32 0, v27
	s_cbranch_execz .LBB6_4409
; %bb.4404:                             ;   in Loop: Header=BB6_3265 Depth=4
	v_bfe_u32 v36, v27, 23, 8
	s_delay_alu instid0(VALU_DEP_1) | instskip(SKIP_1) | instid1(VALU_DEP_2)
	v_sub_nc_u32_e32 v38, 0x70, v36
	v_cmp_gt_u32_e32 vcc_lo, 0x71, v36
	v_dual_cndmask_b32 v38, 0, v38 :: v_dual_and_b32 v37, 0x7fffff, v27
	s_delay_alu instid0(VALU_DEP_1) | instskip(SKIP_2) | instid1(VALU_DEP_4)
	v_or_b32_e32 v39, 0x800000, v37
	v_cmp_eq_u32_e32 vcc_lo, 0, v36
	v_add_nc_u32_e32 v36, 0xffffff91, v36
	v_cndmask_b32_e64 v38, v38, 0x6f, vcc_lo
	s_delay_alu instid0(VALU_DEP_4) | instskip(NEXT) | instid1(VALU_DEP_3)
	v_cndmask_b32_e32 v37, v39, v37, vcc_lo
	v_cndmask_b32_e64 v36, v36, 0xffffff92, vcc_lo
	s_delay_alu instid0(VALU_DEP_3) | instskip(NEXT) | instid1(VALU_DEP_3)
	v_lshl_add_u32 v39, 0x200000, v38, -1
	v_lshrrev_b32_e32 v48, v38, v37
	v_lshlrev_b32_e64 v50, v38, 0x100000
	s_delay_alu instid0(VALU_DEP_4) | instskip(NEXT) | instid1(VALU_DEP_4)
	v_add_nc_u32_e32 v38, v38, v36
	v_and_b32_e32 v37, v39, v37
	s_delay_alu instid0(VALU_DEP_4) | instskip(NEXT) | instid1(VALU_DEP_2)
	v_bfe_u32 v49, v48, 21, 1
	v_cmp_eq_u32_e64 s13, v37, v50
	s_delay_alu instid0(VALU_DEP_2) | instskip(NEXT) | instid1(VALU_DEP_1)
	v_add_nc_u32_e32 v39, -1, v49
	v_cndmask_b32_e64 v37, 0, v39, s13
	v_lshrrev_b32_e32 v39, 23, v48
	s_mov_b32 s13, exec_lo
	s_delay_alu instid0(VALU_DEP_2) | instskip(NEXT) | instid1(VALU_DEP_2)
	v_add_nc_u32_e32 v37, v37, v48
	v_xor_b32_e32 v39, 1, v39
	s_delay_alu instid0(VALU_DEP_2) | instskip(NEXT) | instid1(VALU_DEP_1)
	v_and_b32_e32 v36, 0x1fffff, v37
	v_add_nc_u32_e32 v37, v36, v48
                                        ; implicit-def: $vgpr36
	s_delay_alu instid0(VALU_DEP_3)
	v_cmpx_ne_u32_e64 v38, v39
	s_xor_b32 s13, exec_lo, s13
; %bb.4405:                             ;   in Loop: Header=BB6_3265 Depth=4
	s_delay_alu instid0(VALU_DEP_2) | instskip(SKIP_2) | instid1(VALU_DEP_2)
	v_cmp_lt_u32_e32 vcc_lo, 0xffffff, v37
	v_sub_nc_u32_e32 v36, v38, v39
	v_cndmask_b32_e64 v38, 0, 1, vcc_lo
	v_add_co_ci_u32_e32 v36, vcc_lo, 0, v36, vcc_lo
	s_delay_alu instid0(VALU_DEP_2)
	v_lshrrev_b32_e32 v37, v38, v37
; %bb.4406:                             ;   in Loop: Header=BB6_3265 Depth=4
	s_and_not1_saveexec_b32 s13, s13
; %bb.4407:                             ;   in Loop: Header=BB6_3265 Depth=4
	s_delay_alu instid0(VALU_DEP_1)
	v_bfe_u32 v36, v37, 23, 1
; %bb.4408:                             ;   in Loop: Header=BB6_3265 Depth=4
	s_or_b32 exec_lo, exec_lo, s13
	v_lshrrev_b32_e32 v37, 21, v37
	s_delay_alu instid0(VALU_DEP_2) | instskip(SKIP_2) | instid1(VALU_DEP_2)
	v_cmp_gt_i32_e32 vcc_lo, 32, v36
	v_min_i32_e32 v38, 31, v36
	v_lshrrev_b32_e32 v27, 24, v27
	v_dual_cndmask_b32 v37, 3, v37 :: v_dual_lshlrev_b32 v38, 2, v38
	s_delay_alu instid0(VALU_DEP_2) | instskip(NEXT) | instid1(VALU_DEP_2)
	v_and_b32_e32 v27, 0x80, v27
	v_or_b32_e32 v36, v36, v37
	v_and_b32_e32 v39, 3, v37
	s_delay_alu instid0(VALU_DEP_2) | instskip(SKIP_1) | instid1(VALU_DEP_1)
	v_cmp_ne_u32_e32 vcc_lo, 0, v36
	v_and_b32_e32 v38, 0xfc, v38
	v_or3_b32 v27, v38, v27, v39
	s_delay_alu instid0(VALU_DEP_1)
	v_cndmask_b32_e32 v105, 0, v27, vcc_lo
.LBB6_4409:                             ;   in Loop: Header=BB6_3265 Depth=4
	s_or_b32 exec_lo, exec_lo, s35
.LBB6_4410:                             ;   in Loop: Header=BB6_3265 Depth=4
	s_delay_alu instid0(SALU_CYCLE_1) | instskip(SKIP_3) | instid1(VALU_DEP_1)
	s_or_b32 exec_lo, exec_lo, s34
	v_lshrrev_b32_e32 v36, 24, v26
	s_mov_b32 s13, 0
	s_mov_b32 s35, exec_lo
                                        ; implicit-def: $sgpr34
	v_cmpx_lt_i16_e32 0x7f, v36
	s_xor_b32 s35, exec_lo, s35
	s_cbranch_execnz .LBB6_5504
; %bb.4411:                             ;   in Loop: Header=BB6_3265 Depth=4
	s_or_saveexec_b32 s35, s35
	v_mov_b32_e32 v27, s34
	s_xor_b32 exec_lo, exec_lo, s35
	s_cbranch_execnz .LBB6_5507
.LBB6_4412:                             ;   in Loop: Header=BB6_3265 Depth=4
	s_or_b32 exec_lo, exec_lo, s35
	s_and_saveexec_b32 s34, s13
	s_cbranch_execz .LBB6_4414
.LBB6_4413:                             ;   in Loop: Header=BB6_3265 Depth=4
	v_bfe_u32 v27, v26, 24, 2
	s_delay_alu instid0(VALU_DEP_1) | instskip(NEXT) | instid1(VALU_DEP_1)
	v_clz_i32_u32_e32 v37, v27
	v_min_u32_e32 v37, 32, v37
	s_delay_alu instid0(VALU_DEP_1) | instskip(SKIP_1) | instid1(VALU_DEP_2)
	v_subrev_nc_u32_e32 v38, 29, v37
	v_sub_nc_u32_e32 v37, 30, v37
	v_lshlrev_b32_e32 v36, v38, v36
	v_bfe_u32 v38, v26, 26, 5
	v_and_b32_e32 v26, 0x80000000, v26
	s_delay_alu instid0(VALU_DEP_2) | instskip(NEXT) | instid1(VALU_DEP_4)
	v_cmp_eq_u32_e32 vcc_lo, 0, v38
	v_dual_cndmask_b32 v37, v38, v37 :: v_dual_and_b32 v36, 3, v36
	s_delay_alu instid0(VALU_DEP_1) | instskip(NEXT) | instid1(VALU_DEP_2)
	v_cndmask_b32_e32 v27, v27, v36, vcc_lo
	v_lshl_add_u32 v36, v37, 23, 0x37800000
	s_delay_alu instid0(VALU_DEP_2) | instskip(NEXT) | instid1(VALU_DEP_1)
	v_lshlrev_b32_e32 v27, 21, v27
	v_or3_b32 v27, v26, v36, v27
.LBB6_4414:                             ;   in Loop: Header=BB6_3265 Depth=4
	s_or_b32 exec_lo, exec_lo, s34
	v_lshrrev_b32_e32 v26, 24, v17
	s_mov_b32 s13, 0
	s_mov_b32 s35, exec_lo
                                        ; implicit-def: $sgpr34
	s_delay_alu instid0(VALU_DEP_1)
	v_cmpx_lt_i16_e32 0x7f, v26
	s_xor_b32 s35, exec_lo, s35
	s_cbranch_execnz .LBB6_5508
; %bb.4415:                             ;   in Loop: Header=BB6_3265 Depth=4
	s_or_saveexec_b32 s35, s35
	v_mov_b32_e32 v36, s34
	s_xor_b32 exec_lo, exec_lo, s35
	s_cbranch_execnz .LBB6_5511
.LBB6_4416:                             ;   in Loop: Header=BB6_3265 Depth=4
	s_or_b32 exec_lo, exec_lo, s35
	s_and_saveexec_b32 s34, s13
	s_cbranch_execz .LBB6_4418
.LBB6_4417:                             ;   in Loop: Header=BB6_3265 Depth=4
	v_bfe_u32 v36, v17, 24, 2
	s_delay_alu instid0(VALU_DEP_1) | instskip(NEXT) | instid1(VALU_DEP_1)
	v_clz_i32_u32_e32 v37, v36
	v_min_u32_e32 v37, 32, v37
	s_delay_alu instid0(VALU_DEP_1) | instskip(SKIP_1) | instid1(VALU_DEP_2)
	v_subrev_nc_u32_e32 v38, 29, v37
	v_sub_nc_u32_e32 v37, 30, v37
	v_lshlrev_b32_e32 v26, v38, v26
	v_bfe_u32 v38, v17, 26, 5
	v_and_b32_e32 v17, 0x80000000, v17
	s_delay_alu instid0(VALU_DEP_2) | instskip(NEXT) | instid1(VALU_DEP_4)
	v_cmp_eq_u32_e32 vcc_lo, 0, v38
	v_dual_cndmask_b32 v37, v38, v37 :: v_dual_and_b32 v26, 3, v26
	s_delay_alu instid0(VALU_DEP_1) | instskip(NEXT) | instid1(VALU_DEP_2)
	v_cndmask_b32_e32 v26, v36, v26, vcc_lo
	v_lshl_add_u32 v36, v37, 23, 0x37800000
	s_delay_alu instid0(VALU_DEP_2) | instskip(NEXT) | instid1(VALU_DEP_1)
	v_lshlrev_b32_e32 v26, 21, v26
	v_or3_b32 v36, v17, v36, v26
.LBB6_4418:                             ;   in Loop: Header=BB6_3265 Depth=4
	s_or_b32 exec_lo, exec_lo, s34
	s_delay_alu instid0(VALU_DEP_1) | instskip(NEXT) | instid1(VALU_DEP_1)
	v_add_f32_e32 v26, v27, v36
	v_and_b32_e32 v17, 0x7f800000, v26
	s_delay_alu instid0(VALU_DEP_1)
	v_cmp_ne_u32_e32 vcc_lo, 0x7f800000, v17
	v_mov_b32_e32 v17, 0x8000
	s_and_saveexec_b32 s34, vcc_lo
	s_cbranch_execz .LBB6_4426
; %bb.4419:                             ;   in Loop: Header=BB6_3265 Depth=4
	v_mov_b32_e32 v17, 0
	s_mov_b32 s35, exec_lo
	v_cmpx_ne_u32_e32 0, v26
	s_cbranch_execz .LBB6_4425
; %bb.4420:                             ;   in Loop: Header=BB6_3265 Depth=4
	v_bfe_u32 v17, v26, 23, 8
	s_delay_alu instid0(VALU_DEP_1) | instskip(SKIP_1) | instid1(VALU_DEP_2)
	v_sub_nc_u32_e32 v36, 0x70, v17
	v_cmp_gt_u32_e32 vcc_lo, 0x71, v17
	v_dual_cndmask_b32 v36, 0, v36 :: v_dual_and_b32 v27, 0x7fffff, v26
	s_delay_alu instid0(VALU_DEP_1) | instskip(SKIP_2) | instid1(VALU_DEP_4)
	v_or_b32_e32 v37, 0x800000, v27
	v_cmp_eq_u32_e32 vcc_lo, 0, v17
	v_add_nc_u32_e32 v17, 0xffffff91, v17
	v_cndmask_b32_e64 v36, v36, 0x6f, vcc_lo
	s_delay_alu instid0(VALU_DEP_2) | instskip(SKIP_1) | instid1(VALU_DEP_3)
	v_cndmask_b32_e64 v17, v17, 0xffffff92, vcc_lo
	v_cndmask_b32_e32 v27, v37, v27, vcc_lo
	v_lshl_add_u32 v37, 0x200000, v36, -1
	v_lshlrev_b32_e64 v48, v36, 0x100000
	s_delay_alu instid0(VALU_DEP_3) | instskip(SKIP_1) | instid1(VALU_DEP_4)
	v_lshrrev_b32_e32 v38, v36, v27
	v_add_nc_u32_e32 v36, v36, v17
	v_and_b32_e32 v27, v37, v27
	s_delay_alu instid0(VALU_DEP_3) | instskip(NEXT) | instid1(VALU_DEP_2)
	v_bfe_u32 v39, v38, 21, 1
	v_cmp_eq_u32_e64 s13, v27, v48
	s_delay_alu instid0(VALU_DEP_2) | instskip(NEXT) | instid1(VALU_DEP_1)
	v_add_nc_u32_e32 v37, -1, v39
	v_cndmask_b32_e64 v27, 0, v37, s13
	v_lshrrev_b32_e32 v37, 23, v38
	s_mov_b32 s13, exec_lo
	s_delay_alu instid0(VALU_DEP_2) | instskip(NEXT) | instid1(VALU_DEP_2)
	v_add_nc_u32_e32 v27, v27, v38
	v_xor_b32_e32 v37, 1, v37
	s_delay_alu instid0(VALU_DEP_2) | instskip(NEXT) | instid1(VALU_DEP_1)
	v_and_b32_e32 v17, 0x1fffff, v27
	v_add_nc_u32_e32 v27, v17, v38
                                        ; implicit-def: $vgpr17
	s_delay_alu instid0(VALU_DEP_3)
	v_cmpx_ne_u32_e64 v36, v37
	s_xor_b32 s13, exec_lo, s13
; %bb.4421:                             ;   in Loop: Header=BB6_3265 Depth=4
	s_delay_alu instid0(VALU_DEP_2) | instskip(SKIP_2) | instid1(VALU_DEP_2)
	v_cmp_lt_u32_e32 vcc_lo, 0xffffff, v27
	v_sub_nc_u32_e32 v17, v36, v37
	v_cndmask_b32_e64 v36, 0, 1, vcc_lo
	v_add_co_ci_u32_e32 v17, vcc_lo, 0, v17, vcc_lo
	s_delay_alu instid0(VALU_DEP_2)
	v_lshrrev_b32_e32 v27, v36, v27
; %bb.4422:                             ;   in Loop: Header=BB6_3265 Depth=4
	s_and_not1_saveexec_b32 s13, s13
; %bb.4423:                             ;   in Loop: Header=BB6_3265 Depth=4
	s_delay_alu instid0(VALU_DEP_1)
	v_bfe_u32 v17, v27, 23, 1
; %bb.4424:                             ;   in Loop: Header=BB6_3265 Depth=4
	s_or_b32 exec_lo, exec_lo, s13
	v_lshrrev_b32_e32 v27, 21, v27
	s_delay_alu instid0(VALU_DEP_2) | instskip(SKIP_2) | instid1(VALU_DEP_2)
	v_cmp_gt_i32_e32 vcc_lo, 32, v17
	v_min_i32_e32 v36, 31, v17
	v_lshrrev_b32_e32 v26, 24, v26
	v_dual_cndmask_b32 v27, 3, v27 :: v_dual_lshlrev_b32 v36, 2, v36
	s_delay_alu instid0(VALU_DEP_2) | instskip(NEXT) | instid1(VALU_DEP_2)
	v_and_b32_e32 v26, 0x80, v26
	v_or_b32_e32 v17, v17, v27
	v_and_b32_e32 v37, 3, v27
	s_delay_alu instid0(VALU_DEP_2) | instskip(SKIP_1) | instid1(VALU_DEP_1)
	v_cmp_ne_u32_e32 vcc_lo, 0, v17
	v_and_b32_e32 v36, 0xfc, v36
	v_or3_b32 v26, v26, v36, v37
	s_delay_alu instid0(VALU_DEP_1) | instskip(NEXT) | instid1(VALU_DEP_1)
	v_lshlrev_b32_e32 v26, 8, v26
	v_cndmask_b32_e32 v17, 0, v26, vcc_lo
.LBB6_4425:                             ;   in Loop: Header=BB6_3265 Depth=4
	s_or_b32 exec_lo, exec_lo, s35
.LBB6_4426:                             ;   in Loop: Header=BB6_3265 Depth=4
	s_delay_alu instid0(SALU_CYCLE_1) | instskip(SKIP_3) | instid1(VALU_DEP_1)
	s_or_b32 exec_lo, exec_lo, s34
	v_and_b32_e32 v27, 0xff, v95
	s_mov_b32 s13, 0
	s_mov_b32 s35, exec_lo
                                        ; implicit-def: $sgpr34
	v_cmpx_lt_i16_e32 0x7f, v27
	s_xor_b32 s35, exec_lo, s35
	s_cbranch_execnz .LBB6_5512
; %bb.4427:                             ;   in Loop: Header=BB6_3265 Depth=4
	s_or_saveexec_b32 s35, s35
	v_mov_b32_e32 v26, s34
	s_xor_b32 exec_lo, exec_lo, s35
	s_cbranch_execnz .LBB6_5515
.LBB6_4428:                             ;   in Loop: Header=BB6_3265 Depth=4
	s_or_b32 exec_lo, exec_lo, s35
	s_and_saveexec_b32 s34, s13
	s_cbranch_execz .LBB6_4430
.LBB6_4429:                             ;   in Loop: Header=BB6_3265 Depth=4
	v_and_b32_e32 v26, 3, v95
	v_bfe_u32 v37, v95, 2, 5
	v_lshlrev_b32_e32 v38, 24, v95
	s_delay_alu instid0(VALU_DEP_3) | instskip(NEXT) | instid1(VALU_DEP_3)
	v_clz_i32_u32_e32 v27, v26
	v_cmp_eq_u32_e32 vcc_lo, 0, v37
	s_delay_alu instid0(VALU_DEP_2) | instskip(NEXT) | instid1(VALU_DEP_1)
	v_min_u32_e32 v27, 32, v27
	v_subrev_nc_u32_e32 v36, 29, v27
	v_sub_nc_u32_e32 v27, 30, v27
	s_delay_alu instid0(VALU_DEP_2) | instskip(NEXT) | instid1(VALU_DEP_1)
	v_lshlrev_b32_e32 v36, v36, v95
	v_dual_cndmask_b32 v27, v37, v27 :: v_dual_and_b32 v36, 3, v36
	s_delay_alu instid0(VALU_DEP_1) | instskip(NEXT) | instid1(VALU_DEP_2)
	v_lshl_add_u32 v27, v27, 23, 0x37800000
	v_cndmask_b32_e32 v26, v26, v36, vcc_lo
	v_and_b32_e32 v36, 0x80000000, v38
	s_delay_alu instid0(VALU_DEP_2) | instskip(NEXT) | instid1(VALU_DEP_1)
	v_lshlrev_b32_e32 v26, 21, v26
	v_or3_b32 v26, v36, v27, v26
.LBB6_4430:                             ;   in Loop: Header=BB6_3265 Depth=4
	s_or_b32 exec_lo, exec_lo, s34
	v_and_b32_e32 v36, 0xff, v18
	s_mov_b32 s13, 0
	s_mov_b32 s35, exec_lo
                                        ; implicit-def: $sgpr34
	s_delay_alu instid0(VALU_DEP_1)
	v_cmpx_lt_i16_e32 0x7f, v36
	s_xor_b32 s35, exec_lo, s35
	s_cbranch_execnz .LBB6_5516
; %bb.4431:                             ;   in Loop: Header=BB6_3265 Depth=4
	s_or_saveexec_b32 s35, s35
	v_mov_b32_e32 v27, s34
	s_xor_b32 exec_lo, exec_lo, s35
	s_cbranch_execnz .LBB6_5519
.LBB6_4432:                             ;   in Loop: Header=BB6_3265 Depth=4
	s_or_b32 exec_lo, exec_lo, s35
	s_and_saveexec_b32 s34, s13
	s_cbranch_execz .LBB6_4434
.LBB6_4433:                             ;   in Loop: Header=BB6_3265 Depth=4
	v_bfe_u32 v38, v18, 2, 5
	v_lshlrev_b32_e32 v39, 24, v18
	s_delay_alu instid0(VALU_DEP_2) | instskip(SKIP_1) | instid1(VALU_DEP_1)
	v_cmp_eq_u32_e32 vcc_lo, 0, v38
	v_and_b32_e32 v27, 3, v18
	v_clz_i32_u32_e32 v36, v27
	s_delay_alu instid0(VALU_DEP_1) | instskip(NEXT) | instid1(VALU_DEP_1)
	v_min_u32_e32 v36, 32, v36
	v_subrev_nc_u32_e32 v37, 29, v36
	v_sub_nc_u32_e32 v36, 30, v36
	s_delay_alu instid0(VALU_DEP_1) | instskip(NEXT) | instid1(VALU_DEP_1)
	v_dual_cndmask_b32 v36, v38, v36 :: v_dual_lshlrev_b32 v37, v37, v18
	v_and_b32_e32 v37, 3, v37
	s_delay_alu instid0(VALU_DEP_2) | instskip(NEXT) | instid1(VALU_DEP_2)
	v_lshl_add_u32 v36, v36, 23, 0x37800000
	v_cndmask_b32_e32 v27, v27, v37, vcc_lo
	v_and_b32_e32 v37, 0x80000000, v39
	s_delay_alu instid0(VALU_DEP_2) | instskip(NEXT) | instid1(VALU_DEP_1)
	v_lshlrev_b32_e32 v27, 21, v27
	v_or3_b32 v27, v37, v36, v27
.LBB6_4434:                             ;   in Loop: Header=BB6_3265 Depth=4
	s_or_b32 exec_lo, exec_lo, s34
	s_delay_alu instid0(VALU_DEP_1) | instskip(SKIP_1) | instid1(VALU_DEP_1)
	v_dual_add_f32 v26, v26, v27 :: v_dual_mov_b32 v95, 0x80
	s_mov_b32 s34, exec_lo
	v_and_b32_e32 v27, 0x7f800000, v26
	s_delay_alu instid0(VALU_DEP_1)
	v_cmpx_ne_u32_e32 0x7f800000, v27
	s_cbranch_execz .LBB6_4442
; %bb.4435:                             ;   in Loop: Header=BB6_3265 Depth=4
	v_mov_b32_e32 v95, 0
	s_mov_b32 s35, exec_lo
	v_cmpx_ne_u32_e32 0, v26
	s_cbranch_execz .LBB6_4441
; %bb.4436:                             ;   in Loop: Header=BB6_3265 Depth=4
	v_bfe_u32 v27, v26, 23, 8
	s_delay_alu instid0(VALU_DEP_1) | instskip(SKIP_1) | instid1(VALU_DEP_2)
	v_sub_nc_u32_e32 v37, 0x70, v27
	v_cmp_gt_u32_e32 vcc_lo, 0x71, v27
	v_dual_cndmask_b32 v37, 0, v37 :: v_dual_and_b32 v36, 0x7fffff, v26
	s_delay_alu instid0(VALU_DEP_1) | instskip(SKIP_2) | instid1(VALU_DEP_4)
	v_or_b32_e32 v38, 0x800000, v36
	v_cmp_eq_u32_e32 vcc_lo, 0, v27
	v_add_nc_u32_e32 v27, 0xffffff91, v27
	v_cndmask_b32_e64 v37, v37, 0x6f, vcc_lo
	s_delay_alu instid0(VALU_DEP_4) | instskip(NEXT) | instid1(VALU_DEP_3)
	v_cndmask_b32_e32 v36, v38, v36, vcc_lo
	v_cndmask_b32_e64 v27, v27, 0xffffff92, vcc_lo
	s_delay_alu instid0(VALU_DEP_3) | instskip(NEXT) | instid1(VALU_DEP_3)
	v_lshl_add_u32 v38, 0x200000, v37, -1
	v_lshrrev_b32_e32 v39, v37, v36
	v_lshlrev_b32_e64 v49, v37, 0x100000
	s_delay_alu instid0(VALU_DEP_4) | instskip(NEXT) | instid1(VALU_DEP_4)
	v_add_nc_u32_e32 v37, v37, v27
	v_and_b32_e32 v36, v38, v36
	s_delay_alu instid0(VALU_DEP_4) | instskip(NEXT) | instid1(VALU_DEP_2)
	v_bfe_u32 v48, v39, 21, 1
	v_cmp_eq_u32_e64 s13, v36, v49
	s_delay_alu instid0(VALU_DEP_2) | instskip(NEXT) | instid1(VALU_DEP_1)
	v_add_nc_u32_e32 v38, -1, v48
	v_cndmask_b32_e64 v36, 0, v38, s13
	v_lshrrev_b32_e32 v38, 23, v39
	s_mov_b32 s13, exec_lo
	s_delay_alu instid0(VALU_DEP_2) | instskip(NEXT) | instid1(VALU_DEP_2)
	v_add_nc_u32_e32 v36, v36, v39
	v_xor_b32_e32 v38, 1, v38
	s_delay_alu instid0(VALU_DEP_2) | instskip(NEXT) | instid1(VALU_DEP_1)
	v_and_b32_e32 v27, 0x1fffff, v36
	v_add_nc_u32_e32 v36, v27, v39
                                        ; implicit-def: $vgpr27
	s_delay_alu instid0(VALU_DEP_3)
	v_cmpx_ne_u32_e64 v37, v38
	s_xor_b32 s13, exec_lo, s13
; %bb.4437:                             ;   in Loop: Header=BB6_3265 Depth=4
	s_delay_alu instid0(VALU_DEP_2) | instskip(SKIP_2) | instid1(VALU_DEP_2)
	v_cmp_lt_u32_e32 vcc_lo, 0xffffff, v36
	v_sub_nc_u32_e32 v27, v37, v38
	v_cndmask_b32_e64 v37, 0, 1, vcc_lo
	v_add_co_ci_u32_e32 v27, vcc_lo, 0, v27, vcc_lo
	s_delay_alu instid0(VALU_DEP_2)
	v_lshrrev_b32_e32 v36, v37, v36
; %bb.4438:                             ;   in Loop: Header=BB6_3265 Depth=4
	s_and_not1_saveexec_b32 s13, s13
; %bb.4439:                             ;   in Loop: Header=BB6_3265 Depth=4
	s_delay_alu instid0(VALU_DEP_1)
	v_bfe_u32 v27, v36, 23, 1
; %bb.4440:                             ;   in Loop: Header=BB6_3265 Depth=4
	s_or_b32 exec_lo, exec_lo, s13
	v_lshrrev_b32_e32 v36, 21, v36
	s_delay_alu instid0(VALU_DEP_2) | instskip(SKIP_2) | instid1(VALU_DEP_2)
	v_cmp_gt_i32_e32 vcc_lo, 32, v27
	v_min_i32_e32 v37, 31, v27
	v_lshrrev_b32_e32 v26, 24, v26
	v_dual_cndmask_b32 v36, 3, v36 :: v_dual_lshlrev_b32 v37, 2, v37
	s_delay_alu instid0(VALU_DEP_2) | instskip(NEXT) | instid1(VALU_DEP_2)
	v_and_b32_e32 v26, 0x80, v26
	v_or_b32_e32 v27, v27, v36
	s_delay_alu instid0(VALU_DEP_1) | instskip(SKIP_1) | instid1(VALU_DEP_1)
	v_cmp_ne_u32_e32 vcc_lo, 0, v27
	v_and_b32_e32 v38, 3, v36
	v_or3_b32 v26, v37, v26, v38
	s_delay_alu instid0(VALU_DEP_1)
	v_cndmask_b32_e32 v95, 0, v26, vcc_lo
.LBB6_4441:                             ;   in Loop: Header=BB6_3265 Depth=4
	s_or_b32 exec_lo, exec_lo, s35
.LBB6_4442:                             ;   in Loop: Header=BB6_3265 Depth=4
	s_delay_alu instid0(SALU_CYCLE_1) | instskip(SKIP_3) | instid1(VALU_DEP_1)
	s_or_b32 exec_lo, exec_lo, s34
	v_and_b32_e32 v27, 0xff, v93
	s_mov_b32 s13, 0
	s_mov_b32 s35, exec_lo
                                        ; implicit-def: $sgpr34
	v_cmpx_lt_i16_e32 0x7f, v27
	s_xor_b32 s35, exec_lo, s35
	s_cbranch_execnz .LBB6_5520
; %bb.4443:                             ;   in Loop: Header=BB6_3265 Depth=4
	s_or_saveexec_b32 s35, s35
	v_mov_b32_e32 v26, s34
	s_xor_b32 exec_lo, exec_lo, s35
	s_cbranch_execnz .LBB6_5523
.LBB6_4444:                             ;   in Loop: Header=BB6_3265 Depth=4
	s_or_b32 exec_lo, exec_lo, s35
	s_and_saveexec_b32 s34, s13
	s_cbranch_execz .LBB6_4446
.LBB6_4445:                             ;   in Loop: Header=BB6_3265 Depth=4
	v_bfe_u32 v37, v93, 2, 5
	v_lshlrev_b32_e32 v38, 24, v93
	s_delay_alu instid0(VALU_DEP_2) | instskip(SKIP_1) | instid1(VALU_DEP_1)
	v_cmp_eq_u32_e32 vcc_lo, 0, v37
	v_and_b32_e32 v26, 3, v93
	v_clz_i32_u32_e32 v27, v26
	s_delay_alu instid0(VALU_DEP_1) | instskip(NEXT) | instid1(VALU_DEP_1)
	v_min_u32_e32 v27, 32, v27
	v_subrev_nc_u32_e32 v36, 29, v27
	v_sub_nc_u32_e32 v27, 30, v27
	s_delay_alu instid0(VALU_DEP_1) | instskip(NEXT) | instid1(VALU_DEP_1)
	v_dual_cndmask_b32 v27, v37, v27 :: v_dual_lshlrev_b32 v36, v36, v93
	v_and_b32_e32 v36, 3, v36
	s_delay_alu instid0(VALU_DEP_2) | instskip(NEXT) | instid1(VALU_DEP_2)
	v_lshl_add_u32 v27, v27, 23, 0x37800000
	v_cndmask_b32_e32 v26, v26, v36, vcc_lo
	v_and_b32_e32 v36, 0x80000000, v38
	s_delay_alu instid0(VALU_DEP_2) | instskip(NEXT) | instid1(VALU_DEP_1)
	v_lshlrev_b32_e32 v26, 21, v26
	v_or3_b32 v26, v36, v27, v26
.LBB6_4446:                             ;   in Loop: Header=BB6_3265 Depth=4
	s_or_b32 exec_lo, exec_lo, s34
	v_lshrrev_b16 v27, 8, v18
	s_mov_b32 s13, 0
	s_mov_b32 s35, exec_lo
                                        ; implicit-def: $sgpr34
	s_delay_alu instid0(VALU_DEP_1)
	v_cmpx_lt_i16_e32 0x7f, v27
	s_xor_b32 s35, exec_lo, s35
	s_cbranch_execnz .LBB6_5524
; %bb.4447:                             ;   in Loop: Header=BB6_3265 Depth=4
	s_or_saveexec_b32 s35, s35
	v_mov_b32_e32 v36, s34
	s_xor_b32 exec_lo, exec_lo, s35
	s_cbranch_execnz .LBB6_5527
.LBB6_4448:                             ;   in Loop: Header=BB6_3265 Depth=4
	s_or_b32 exec_lo, exec_lo, s35
	s_and_saveexec_b32 s34, s13
	s_cbranch_execz .LBB6_4450
.LBB6_4449:                             ;   in Loop: Header=BB6_3265 Depth=4
	v_and_b32_e32 v36, 0xffff, v27
	v_lshlrev_b32_e32 v27, 24, v27
	s_delay_alu instid0(VALU_DEP_2) | instskip(NEXT) | instid1(VALU_DEP_2)
	v_and_b32_e32 v37, 3, v36
	v_and_b32_e32 v27, 0x80000000, v27
	s_delay_alu instid0(VALU_DEP_2) | instskip(NEXT) | instid1(VALU_DEP_1)
	v_clz_i32_u32_e32 v38, v37
	v_min_u32_e32 v38, 32, v38
	s_delay_alu instid0(VALU_DEP_1) | instskip(SKIP_1) | instid1(VALU_DEP_2)
	v_subrev_nc_u32_e32 v39, 29, v38
	v_sub_nc_u32_e32 v38, 30, v38
	v_lshlrev_b32_e32 v39, v39, v36
	v_bfe_u32 v36, v36, 2, 5
	s_delay_alu instid0(VALU_DEP_2) | instskip(NEXT) | instid1(VALU_DEP_2)
	v_and_b32_e32 v39, 3, v39
	v_cmp_eq_u32_e32 vcc_lo, 0, v36
	s_delay_alu instid0(VALU_DEP_2) | instskip(NEXT) | instid1(VALU_DEP_1)
	v_dual_cndmask_b32 v36, v36, v38 :: v_dual_cndmask_b32 v37, v37, v39
	v_lshl_add_u32 v36, v36, 23, 0x37800000
	s_delay_alu instid0(VALU_DEP_2) | instskip(NEXT) | instid1(VALU_DEP_1)
	v_lshlrev_b32_e32 v37, 21, v37
	v_or3_b32 v36, v27, v36, v37
.LBB6_4450:                             ;   in Loop: Header=BB6_3265 Depth=4
	s_or_b32 exec_lo, exec_lo, s34
	s_delay_alu instid0(VALU_DEP_1) | instskip(SKIP_1) | instid1(VALU_DEP_1)
	v_dual_add_f32 v26, v26, v36 :: v_dual_mov_b32 v93, 0x80
	s_mov_b32 s34, exec_lo
	v_and_b32_e32 v27, 0x7f800000, v26
	s_delay_alu instid0(VALU_DEP_1)
	v_cmpx_ne_u32_e32 0x7f800000, v27
	s_cbranch_execz .LBB6_4458
; %bb.4451:                             ;   in Loop: Header=BB6_3265 Depth=4
	v_mov_b32_e32 v93, 0
	s_mov_b32 s35, exec_lo
	v_cmpx_ne_u32_e32 0, v26
	s_cbranch_execz .LBB6_4457
; %bb.4452:                             ;   in Loop: Header=BB6_3265 Depth=4
	v_bfe_u32 v27, v26, 23, 8
	s_delay_alu instid0(VALU_DEP_1) | instskip(SKIP_1) | instid1(VALU_DEP_2)
	v_sub_nc_u32_e32 v37, 0x70, v27
	v_cmp_gt_u32_e32 vcc_lo, 0x71, v27
	v_dual_cndmask_b32 v37, 0, v37 :: v_dual_and_b32 v36, 0x7fffff, v26
	s_delay_alu instid0(VALU_DEP_1) | instskip(SKIP_2) | instid1(VALU_DEP_4)
	v_or_b32_e32 v38, 0x800000, v36
	v_cmp_eq_u32_e32 vcc_lo, 0, v27
	v_add_nc_u32_e32 v27, 0xffffff91, v27
	v_cndmask_b32_e64 v37, v37, 0x6f, vcc_lo
	s_delay_alu instid0(VALU_DEP_4) | instskip(NEXT) | instid1(VALU_DEP_3)
	v_cndmask_b32_e32 v36, v38, v36, vcc_lo
	v_cndmask_b32_e64 v27, v27, 0xffffff92, vcc_lo
	s_delay_alu instid0(VALU_DEP_3) | instskip(NEXT) | instid1(VALU_DEP_3)
	v_lshl_add_u32 v38, 0x200000, v37, -1
	v_lshrrev_b32_e32 v39, v37, v36
	v_lshlrev_b32_e64 v49, v37, 0x100000
	s_delay_alu instid0(VALU_DEP_4) | instskip(NEXT) | instid1(VALU_DEP_4)
	v_add_nc_u32_e32 v37, v37, v27
	v_and_b32_e32 v36, v38, v36
	s_delay_alu instid0(VALU_DEP_4) | instskip(NEXT) | instid1(VALU_DEP_2)
	v_bfe_u32 v48, v39, 21, 1
	v_cmp_eq_u32_e64 s13, v36, v49
	s_delay_alu instid0(VALU_DEP_2) | instskip(NEXT) | instid1(VALU_DEP_1)
	v_add_nc_u32_e32 v38, -1, v48
	v_cndmask_b32_e64 v36, 0, v38, s13
	v_lshrrev_b32_e32 v38, 23, v39
	s_mov_b32 s13, exec_lo
	s_delay_alu instid0(VALU_DEP_2) | instskip(NEXT) | instid1(VALU_DEP_2)
	v_add_nc_u32_e32 v36, v36, v39
	v_xor_b32_e32 v38, 1, v38
	s_delay_alu instid0(VALU_DEP_2) | instskip(NEXT) | instid1(VALU_DEP_1)
	v_and_b32_e32 v27, 0x1fffff, v36
	v_add_nc_u32_e32 v36, v27, v39
                                        ; implicit-def: $vgpr27
	s_delay_alu instid0(VALU_DEP_3)
	v_cmpx_ne_u32_e64 v37, v38
	s_xor_b32 s13, exec_lo, s13
; %bb.4453:                             ;   in Loop: Header=BB6_3265 Depth=4
	s_delay_alu instid0(VALU_DEP_2) | instskip(SKIP_2) | instid1(VALU_DEP_2)
	v_cmp_lt_u32_e32 vcc_lo, 0xffffff, v36
	v_sub_nc_u32_e32 v27, v37, v38
	v_cndmask_b32_e64 v37, 0, 1, vcc_lo
	v_add_co_ci_u32_e32 v27, vcc_lo, 0, v27, vcc_lo
	s_delay_alu instid0(VALU_DEP_2)
	v_lshrrev_b32_e32 v36, v37, v36
; %bb.4454:                             ;   in Loop: Header=BB6_3265 Depth=4
	s_and_not1_saveexec_b32 s13, s13
; %bb.4455:                             ;   in Loop: Header=BB6_3265 Depth=4
	s_delay_alu instid0(VALU_DEP_1)
	v_bfe_u32 v27, v36, 23, 1
; %bb.4456:                             ;   in Loop: Header=BB6_3265 Depth=4
	s_or_b32 exec_lo, exec_lo, s13
	v_lshrrev_b32_e32 v36, 21, v36
	s_delay_alu instid0(VALU_DEP_2) | instskip(SKIP_2) | instid1(VALU_DEP_2)
	v_cmp_gt_i32_e32 vcc_lo, 32, v27
	v_min_i32_e32 v37, 31, v27
	v_lshrrev_b32_e32 v26, 24, v26
	v_dual_cndmask_b32 v36, 3, v36 :: v_dual_lshlrev_b32 v37, 2, v37
	s_delay_alu instid0(VALU_DEP_2) | instskip(NEXT) | instid1(VALU_DEP_2)
	v_and_b32_e32 v26, 0x80, v26
	v_or_b32_e32 v27, v27, v36
	s_delay_alu instid0(VALU_DEP_1) | instskip(SKIP_1) | instid1(VALU_DEP_1)
	v_cmp_ne_u32_e32 vcc_lo, 0, v27
	v_and_b32_e32 v38, 3, v36
	v_or3_b32 v26, v37, v26, v38
	s_delay_alu instid0(VALU_DEP_1)
	v_cndmask_b32_e32 v93, 0, v26, vcc_lo
.LBB6_4457:                             ;   in Loop: Header=BB6_3265 Depth=4
	s_or_b32 exec_lo, exec_lo, s35
.LBB6_4458:                             ;   in Loop: Header=BB6_3265 Depth=4
	s_delay_alu instid0(SALU_CYCLE_1) | instskip(SKIP_3) | instid1(VALU_DEP_1)
	s_or_b32 exec_lo, exec_lo, s34
	v_and_b32_e32 v27, 0xff, v92
	s_mov_b32 s13, 0
	s_mov_b32 s35, exec_lo
                                        ; implicit-def: $sgpr34
	v_cmpx_lt_i16_e32 0x7f, v27
	s_xor_b32 s35, exec_lo, s35
	s_cbranch_execnz .LBB6_5528
; %bb.4459:                             ;   in Loop: Header=BB6_3265 Depth=4
	s_or_saveexec_b32 s35, s35
	v_mov_b32_e32 v26, s34
	s_xor_b32 exec_lo, exec_lo, s35
	s_cbranch_execnz .LBB6_5531
.LBB6_4460:                             ;   in Loop: Header=BB6_3265 Depth=4
	s_or_b32 exec_lo, exec_lo, s35
	s_and_saveexec_b32 s34, s13
	s_cbranch_execz .LBB6_4462
.LBB6_4461:                             ;   in Loop: Header=BB6_3265 Depth=4
	v_bfe_u32 v37, v92, 2, 5
	v_lshlrev_b32_e32 v38, 24, v92
	s_delay_alu instid0(VALU_DEP_2) | instskip(SKIP_1) | instid1(VALU_DEP_1)
	v_cmp_eq_u32_e32 vcc_lo, 0, v37
	v_and_b32_e32 v26, 3, v92
	v_clz_i32_u32_e32 v27, v26
	s_delay_alu instid0(VALU_DEP_1) | instskip(NEXT) | instid1(VALU_DEP_1)
	v_min_u32_e32 v27, 32, v27
	v_subrev_nc_u32_e32 v36, 29, v27
	v_sub_nc_u32_e32 v27, 30, v27
	s_delay_alu instid0(VALU_DEP_1) | instskip(NEXT) | instid1(VALU_DEP_1)
	v_dual_cndmask_b32 v27, v37, v27 :: v_dual_lshlrev_b32 v36, v36, v92
	v_and_b32_e32 v36, 3, v36
	s_delay_alu instid0(VALU_DEP_2) | instskip(NEXT) | instid1(VALU_DEP_2)
	v_lshl_add_u32 v27, v27, 23, 0x37800000
	v_cndmask_b32_e32 v26, v26, v36, vcc_lo
	v_and_b32_e32 v36, 0x80000000, v38
	s_delay_alu instid0(VALU_DEP_2) | instskip(NEXT) | instid1(VALU_DEP_1)
	v_lshlrev_b32_e32 v26, 21, v26
	v_or3_b32 v26, v36, v27, v26
.LBB6_4462:                             ;   in Loop: Header=BB6_3265 Depth=4
	s_or_b32 exec_lo, exec_lo, s34
	v_lshrrev_b32_e32 v27, 16, v18
	s_mov_b32 s13, 0
	s_mov_b32 s35, exec_lo
                                        ; implicit-def: $sgpr34
	s_delay_alu instid0(VALU_DEP_1) | instskip(NEXT) | instid1(VALU_DEP_1)
	v_and_b32_e32 v37, 0xff, v27
	v_cmpx_lt_i16_e32 0x7f, v37
	s_xor_b32 s35, exec_lo, s35
	s_cbranch_execnz .LBB6_5532
; %bb.4463:                             ;   in Loop: Header=BB6_3265 Depth=4
	s_or_saveexec_b32 s35, s35
	v_mov_b32_e32 v36, s34
	s_xor_b32 exec_lo, exec_lo, s35
	s_cbranch_execnz .LBB6_5535
.LBB6_4464:                             ;   in Loop: Header=BB6_3265 Depth=4
	s_or_b32 exec_lo, exec_lo, s35
	s_and_saveexec_b32 s34, s13
	s_cbranch_execz .LBB6_4466
.LBB6_4465:                             ;   in Loop: Header=BB6_3265 Depth=4
	v_bfe_u32 v36, v18, 16, 2
	v_lshlrev_b32_e32 v39, 8, v18
	s_delay_alu instid0(VALU_DEP_2) | instskip(NEXT) | instid1(VALU_DEP_1)
	v_clz_i32_u32_e32 v37, v36
	v_min_u32_e32 v37, 32, v37
	s_delay_alu instid0(VALU_DEP_1) | instskip(SKIP_1) | instid1(VALU_DEP_2)
	v_subrev_nc_u32_e32 v38, 29, v37
	v_sub_nc_u32_e32 v37, 30, v37
	v_lshlrev_b32_e32 v27, v38, v27
	v_bfe_u32 v38, v18, 18, 5
	s_delay_alu instid0(VALU_DEP_2) | instskip(NEXT) | instid1(VALU_DEP_2)
	v_and_b32_e32 v27, 3, v27
	v_cmp_eq_u32_e32 vcc_lo, 0, v38
	v_cndmask_b32_e32 v37, v38, v37, vcc_lo
	s_delay_alu instid0(VALU_DEP_3) | instskip(SKIP_1) | instid1(VALU_DEP_3)
	v_cndmask_b32_e32 v27, v36, v27, vcc_lo
	v_and_b32_e32 v36, 0x80000000, v39
	v_lshl_add_u32 v37, v37, 23, 0x37800000
	s_delay_alu instid0(VALU_DEP_3) | instskip(NEXT) | instid1(VALU_DEP_1)
	v_lshlrev_b32_e32 v27, 21, v27
	v_or3_b32 v36, v36, v37, v27
.LBB6_4466:                             ;   in Loop: Header=BB6_3265 Depth=4
	s_or_b32 exec_lo, exec_lo, s34
	s_delay_alu instid0(VALU_DEP_1) | instskip(SKIP_2) | instid1(VALU_DEP_2)
	v_add_f32_e32 v26, v26, v36
	v_mov_b32_e32 v92, 0x80
	s_mov_b32 s34, exec_lo
	v_and_b32_e32 v27, 0x7f800000, v26
	s_delay_alu instid0(VALU_DEP_1)
	v_cmpx_ne_u32_e32 0x7f800000, v27
	s_cbranch_execz .LBB6_4474
; %bb.4467:                             ;   in Loop: Header=BB6_3265 Depth=4
	v_mov_b32_e32 v92, 0
	s_mov_b32 s35, exec_lo
	v_cmpx_ne_u32_e32 0, v26
	s_cbranch_execz .LBB6_4473
; %bb.4468:                             ;   in Loop: Header=BB6_3265 Depth=4
	v_bfe_u32 v27, v26, 23, 8
	s_delay_alu instid0(VALU_DEP_1) | instskip(SKIP_1) | instid1(VALU_DEP_2)
	v_sub_nc_u32_e32 v37, 0x70, v27
	v_cmp_gt_u32_e32 vcc_lo, 0x71, v27
	v_dual_cndmask_b32 v37, 0, v37 :: v_dual_and_b32 v36, 0x7fffff, v26
	s_delay_alu instid0(VALU_DEP_1) | instskip(SKIP_2) | instid1(VALU_DEP_4)
	v_or_b32_e32 v38, 0x800000, v36
	v_cmp_eq_u32_e32 vcc_lo, 0, v27
	v_add_nc_u32_e32 v27, 0xffffff91, v27
	v_cndmask_b32_e64 v37, v37, 0x6f, vcc_lo
	s_delay_alu instid0(VALU_DEP_4) | instskip(NEXT) | instid1(VALU_DEP_3)
	v_cndmask_b32_e32 v36, v38, v36, vcc_lo
	v_cndmask_b32_e64 v27, v27, 0xffffff92, vcc_lo
	s_delay_alu instid0(VALU_DEP_3) | instskip(NEXT) | instid1(VALU_DEP_3)
	v_lshl_add_u32 v38, 0x200000, v37, -1
	v_lshrrev_b32_e32 v39, v37, v36
	v_lshlrev_b32_e64 v49, v37, 0x100000
	s_delay_alu instid0(VALU_DEP_4) | instskip(NEXT) | instid1(VALU_DEP_4)
	v_add_nc_u32_e32 v37, v37, v27
	v_and_b32_e32 v36, v38, v36
	s_delay_alu instid0(VALU_DEP_4) | instskip(NEXT) | instid1(VALU_DEP_2)
	v_bfe_u32 v48, v39, 21, 1
	v_cmp_eq_u32_e64 s13, v36, v49
	s_delay_alu instid0(VALU_DEP_2) | instskip(NEXT) | instid1(VALU_DEP_1)
	v_add_nc_u32_e32 v38, -1, v48
	v_cndmask_b32_e64 v36, 0, v38, s13
	v_lshrrev_b32_e32 v38, 23, v39
	s_mov_b32 s13, exec_lo
	s_delay_alu instid0(VALU_DEP_2) | instskip(NEXT) | instid1(VALU_DEP_2)
	v_add_nc_u32_e32 v36, v36, v39
	v_xor_b32_e32 v38, 1, v38
	s_delay_alu instid0(VALU_DEP_2) | instskip(NEXT) | instid1(VALU_DEP_1)
	v_and_b32_e32 v27, 0x1fffff, v36
	v_add_nc_u32_e32 v36, v27, v39
                                        ; implicit-def: $vgpr27
	s_delay_alu instid0(VALU_DEP_3)
	v_cmpx_ne_u32_e64 v37, v38
	s_xor_b32 s13, exec_lo, s13
; %bb.4469:                             ;   in Loop: Header=BB6_3265 Depth=4
	s_delay_alu instid0(VALU_DEP_2) | instskip(SKIP_2) | instid1(VALU_DEP_2)
	v_cmp_lt_u32_e32 vcc_lo, 0xffffff, v36
	v_sub_nc_u32_e32 v27, v37, v38
	v_cndmask_b32_e64 v37, 0, 1, vcc_lo
	v_add_co_ci_u32_e32 v27, vcc_lo, 0, v27, vcc_lo
	s_delay_alu instid0(VALU_DEP_2)
	v_lshrrev_b32_e32 v36, v37, v36
; %bb.4470:                             ;   in Loop: Header=BB6_3265 Depth=4
	s_and_not1_saveexec_b32 s13, s13
; %bb.4471:                             ;   in Loop: Header=BB6_3265 Depth=4
	s_delay_alu instid0(VALU_DEP_1)
	v_bfe_u32 v27, v36, 23, 1
; %bb.4472:                             ;   in Loop: Header=BB6_3265 Depth=4
	s_or_b32 exec_lo, exec_lo, s13
	v_lshrrev_b32_e32 v36, 21, v36
	s_delay_alu instid0(VALU_DEP_2) | instskip(SKIP_2) | instid1(VALU_DEP_4)
	v_cmp_gt_i32_e32 vcc_lo, 32, v27
	v_lshrrev_b32_e32 v26, 24, v26
	v_min_i32_e32 v37, 31, v27
	v_cndmask_b32_e32 v36, 3, v36, vcc_lo
	s_delay_alu instid0(VALU_DEP_3) | instskip(NEXT) | instid1(VALU_DEP_3)
	v_and_b32_e32 v26, 0x80, v26
	v_lshlrev_b32_e32 v37, 2, v37
	s_delay_alu instid0(VALU_DEP_3) | instskip(SKIP_1) | instid1(VALU_DEP_2)
	v_and_b32_e32 v38, 3, v36
	v_or_b32_e32 v27, v27, v36
	v_or3_b32 v26, v37, v26, v38
	s_delay_alu instid0(VALU_DEP_2) | instskip(NEXT) | instid1(VALU_DEP_2)
	v_cmp_ne_u32_e32 vcc_lo, 0, v27
	v_cndmask_b32_e32 v92, 0, v26, vcc_lo
.LBB6_4473:                             ;   in Loop: Header=BB6_3265 Depth=4
	s_or_b32 exec_lo, exec_lo, s35
.LBB6_4474:                             ;   in Loop: Header=BB6_3265 Depth=4
	s_delay_alu instid0(SALU_CYCLE_1) | instskip(SKIP_3) | instid1(VALU_DEP_1)
	s_or_b32 exec_lo, exec_lo, s34
	v_and_b32_e32 v27, 0xff, v90
	s_mov_b32 s13, 0
	s_mov_b32 s35, exec_lo
                                        ; implicit-def: $sgpr34
	v_cmpx_lt_i16_e32 0x7f, v27
	s_xor_b32 s35, exec_lo, s35
	s_cbranch_execnz .LBB6_5536
; %bb.4475:                             ;   in Loop: Header=BB6_3265 Depth=4
	s_or_saveexec_b32 s35, s35
	v_mov_b32_e32 v26, s34
	s_xor_b32 exec_lo, exec_lo, s35
	s_cbranch_execnz .LBB6_5539
.LBB6_4476:                             ;   in Loop: Header=BB6_3265 Depth=4
	s_or_b32 exec_lo, exec_lo, s35
	s_and_saveexec_b32 s34, s13
	s_cbranch_execz .LBB6_4478
.LBB6_4477:                             ;   in Loop: Header=BB6_3265 Depth=4
	v_lshlrev_b32_e32 v26, 8, v90
	s_delay_alu instid0(VALU_DEP_1) | instskip(SKIP_1) | instid1(VALU_DEP_2)
	v_and_b32_e32 v36, 0xff00, v26
	v_bfe_u32 v26, v26, 10, 5
	v_bfe_u32 v37, v36, 8, 2
	s_delay_alu instid0(VALU_DEP_2) | instskip(SKIP_1) | instid1(VALU_DEP_3)
	v_cmp_eq_u32_e32 vcc_lo, 0, v26
	v_lshlrev_b32_e32 v36, 16, v36
	v_clz_i32_u32_e32 v38, v37
	s_delay_alu instid0(VALU_DEP_2) | instskip(NEXT) | instid1(VALU_DEP_2)
	v_and_b32_e32 v36, 0x80000000, v36
	v_min_u32_e32 v38, 32, v38
	s_delay_alu instid0(VALU_DEP_1) | instskip(SKIP_1) | instid1(VALU_DEP_1)
	v_subrev_nc_u32_e32 v39, 29, v38
	v_sub_nc_u32_e32 v38, 30, v38
	v_dual_cndmask_b32 v26, v26, v38 :: v_dual_lshlrev_b32 v27, v39, v27
	s_delay_alu instid0(VALU_DEP_1) | instskip(NEXT) | instid1(VALU_DEP_2)
	v_and_b32_e32 v27, 3, v27
	v_lshl_add_u32 v26, v26, 23, 0x37800000
	s_delay_alu instid0(VALU_DEP_2) | instskip(NEXT) | instid1(VALU_DEP_1)
	v_cndmask_b32_e32 v27, v37, v27, vcc_lo
	v_lshlrev_b32_e32 v27, 21, v27
	s_delay_alu instid0(VALU_DEP_1)
	v_or3_b32 v26, v36, v26, v27
.LBB6_4478:                             ;   in Loop: Header=BB6_3265 Depth=4
	s_or_b32 exec_lo, exec_lo, s34
	v_lshrrev_b32_e32 v27, 24, v18
	s_mov_b32 s13, 0
	s_mov_b32 s35, exec_lo
                                        ; implicit-def: $sgpr34
	s_delay_alu instid0(VALU_DEP_1)
	v_cmpx_lt_i16_e32 0x7f, v27
	s_xor_b32 s35, exec_lo, s35
	s_cbranch_execnz .LBB6_5540
; %bb.4479:                             ;   in Loop: Header=BB6_3265 Depth=4
	s_or_saveexec_b32 s35, s35
	v_mov_b32_e32 v36, s34
	s_xor_b32 exec_lo, exec_lo, s35
	s_cbranch_execnz .LBB6_5543
.LBB6_4480:                             ;   in Loop: Header=BB6_3265 Depth=4
	s_or_b32 exec_lo, exec_lo, s35
	s_and_saveexec_b32 s34, s13
	s_cbranch_execz .LBB6_4482
.LBB6_4481:                             ;   in Loop: Header=BB6_3265 Depth=4
	v_bfe_u32 v36, v18, 24, 2
	s_delay_alu instid0(VALU_DEP_1) | instskip(NEXT) | instid1(VALU_DEP_1)
	v_clz_i32_u32_e32 v37, v36
	v_min_u32_e32 v37, 32, v37
	s_delay_alu instid0(VALU_DEP_1) | instskip(SKIP_1) | instid1(VALU_DEP_2)
	v_subrev_nc_u32_e32 v38, 29, v37
	v_sub_nc_u32_e32 v37, 30, v37
	v_lshlrev_b32_e32 v27, v38, v27
	v_bfe_u32 v38, v18, 26, 5
	v_and_b32_e32 v18, 0x80000000, v18
	s_delay_alu instid0(VALU_DEP_3) | instskip(NEXT) | instid1(VALU_DEP_3)
	v_and_b32_e32 v27, 3, v27
	v_cmp_eq_u32_e32 vcc_lo, 0, v38
	v_cndmask_b32_e32 v37, v38, v37, vcc_lo
	s_delay_alu instid0(VALU_DEP_3) | instskip(NEXT) | instid1(VALU_DEP_2)
	v_cndmask_b32_e32 v27, v36, v27, vcc_lo
	v_lshl_add_u32 v36, v37, 23, 0x37800000
	s_delay_alu instid0(VALU_DEP_2) | instskip(NEXT) | instid1(VALU_DEP_1)
	v_lshlrev_b32_e32 v27, 21, v27
	v_or3_b32 v36, v18, v36, v27
.LBB6_4482:                             ;   in Loop: Header=BB6_3265 Depth=4
	s_or_b32 exec_lo, exec_lo, s34
	s_delay_alu instid0(VALU_DEP_1) | instskip(NEXT) | instid1(VALU_DEP_1)
	v_add_f32_e32 v26, v26, v36
	v_and_b32_e32 v18, 0x7f800000, v26
	s_delay_alu instid0(VALU_DEP_1)
	v_cmp_ne_u32_e32 vcc_lo, 0x7f800000, v18
	v_mov_b32_e32 v18, 0x80
	s_and_saveexec_b32 s34, vcc_lo
	s_cbranch_execz .LBB6_4490
; %bb.4483:                             ;   in Loop: Header=BB6_3265 Depth=4
	v_mov_b32_e32 v18, 0
	s_mov_b32 s35, exec_lo
	v_cmpx_ne_u32_e32 0, v26
	s_cbranch_execz .LBB6_4489
; %bb.4484:                             ;   in Loop: Header=BB6_3265 Depth=4
	v_bfe_u32 v18, v26, 23, 8
	s_delay_alu instid0(VALU_DEP_1) | instskip(SKIP_1) | instid1(VALU_DEP_2)
	v_sub_nc_u32_e32 v36, 0x70, v18
	v_cmp_gt_u32_e32 vcc_lo, 0x71, v18
	v_dual_cndmask_b32 v36, 0, v36 :: v_dual_and_b32 v27, 0x7fffff, v26
	s_delay_alu instid0(VALU_DEP_1) | instskip(SKIP_2) | instid1(VALU_DEP_4)
	v_or_b32_e32 v37, 0x800000, v27
	v_cmp_eq_u32_e32 vcc_lo, 0, v18
	v_add_nc_u32_e32 v18, 0xffffff91, v18
	v_cndmask_b32_e64 v36, v36, 0x6f, vcc_lo
	s_delay_alu instid0(VALU_DEP_4) | instskip(NEXT) | instid1(VALU_DEP_3)
	v_cndmask_b32_e32 v27, v37, v27, vcc_lo
	v_cndmask_b32_e64 v18, v18, 0xffffff92, vcc_lo
	s_delay_alu instid0(VALU_DEP_3) | instskip(NEXT) | instid1(VALU_DEP_3)
	v_lshl_add_u32 v37, 0x200000, v36, -1
	v_lshrrev_b32_e32 v38, v36, v27
	v_lshlrev_b32_e64 v48, v36, 0x100000
	s_delay_alu instid0(VALU_DEP_4) | instskip(NEXT) | instid1(VALU_DEP_4)
	v_add_nc_u32_e32 v36, v36, v18
	v_and_b32_e32 v27, v37, v27
	s_delay_alu instid0(VALU_DEP_4) | instskip(NEXT) | instid1(VALU_DEP_2)
	v_bfe_u32 v39, v38, 21, 1
	v_cmp_eq_u32_e64 s13, v27, v48
	s_delay_alu instid0(VALU_DEP_2) | instskip(NEXT) | instid1(VALU_DEP_1)
	v_add_nc_u32_e32 v37, -1, v39
	v_cndmask_b32_e64 v27, 0, v37, s13
	v_lshrrev_b32_e32 v37, 23, v38
	s_mov_b32 s13, exec_lo
	s_delay_alu instid0(VALU_DEP_2) | instskip(NEXT) | instid1(VALU_DEP_2)
	v_add_nc_u32_e32 v27, v27, v38
	v_xor_b32_e32 v37, 1, v37
	s_delay_alu instid0(VALU_DEP_2) | instskip(NEXT) | instid1(VALU_DEP_1)
	v_and_b32_e32 v18, 0x1fffff, v27
	v_add_nc_u32_e32 v27, v18, v38
                                        ; implicit-def: $vgpr18
	s_delay_alu instid0(VALU_DEP_3)
	v_cmpx_ne_u32_e64 v36, v37
	s_xor_b32 s13, exec_lo, s13
; %bb.4485:                             ;   in Loop: Header=BB6_3265 Depth=4
	s_delay_alu instid0(VALU_DEP_2) | instskip(SKIP_2) | instid1(VALU_DEP_2)
	v_cmp_lt_u32_e32 vcc_lo, 0xffffff, v27
	v_sub_nc_u32_e32 v18, v36, v37
	v_cndmask_b32_e64 v36, 0, 1, vcc_lo
	v_add_co_ci_u32_e32 v18, vcc_lo, 0, v18, vcc_lo
	s_delay_alu instid0(VALU_DEP_2)
	v_lshrrev_b32_e32 v27, v36, v27
; %bb.4486:                             ;   in Loop: Header=BB6_3265 Depth=4
	s_and_not1_saveexec_b32 s13, s13
; %bb.4487:                             ;   in Loop: Header=BB6_3265 Depth=4
	s_delay_alu instid0(VALU_DEP_1)
	v_bfe_u32 v18, v27, 23, 1
; %bb.4488:                             ;   in Loop: Header=BB6_3265 Depth=4
	s_or_b32 exec_lo, exec_lo, s13
	v_lshrrev_b32_e32 v27, 21, v27
	s_delay_alu instid0(VALU_DEP_2) | instskip(SKIP_2) | instid1(VALU_DEP_2)
	v_cmp_gt_i32_e32 vcc_lo, 32, v18
	v_lshrrev_b32_e32 v26, 24, v26
	v_min_i32_e32 v36, 31, v18
	v_dual_cndmask_b32 v27, 3, v27 :: v_dual_and_b32 v26, 0x80, v26
	s_delay_alu instid0(VALU_DEP_2) | instskip(NEXT) | instid1(VALU_DEP_2)
	v_lshlrev_b32_e32 v36, 2, v36
	v_or_b32_e32 v18, v18, v27
	s_delay_alu instid0(VALU_DEP_1) | instskip(SKIP_1) | instid1(VALU_DEP_1)
	v_cmp_ne_u32_e32 vcc_lo, 0, v18
	v_and_b32_e32 v37, 3, v27
	v_or3_b32 v26, v36, v26, v37
	s_delay_alu instid0(VALU_DEP_1)
	v_cndmask_b32_e32 v18, 0, v26, vcc_lo
.LBB6_4489:                             ;   in Loop: Header=BB6_3265 Depth=4
	s_or_b32 exec_lo, exec_lo, s35
.LBB6_4490:                             ;   in Loop: Header=BB6_3265 Depth=4
	s_delay_alu instid0(SALU_CYCLE_1) | instskip(SKIP_3) | instid1(VALU_DEP_1)
	s_or_b32 exec_lo, exec_lo, s34
	v_or_b32_e32 v26, v94, v89
	s_mov_b32 s13, 0
	s_mov_b32 s35, exec_lo
                                        ; implicit-def: $sgpr34
	v_and_b32_e32 v36, 0xff, v26
	s_delay_alu instid0(VALU_DEP_1)
	v_cmpx_lt_i16_e32 0x7f, v36
	s_xor_b32 s35, exec_lo, s35
	s_cbranch_execnz .LBB6_5544
; %bb.4491:                             ;   in Loop: Header=BB6_3265 Depth=4
	s_or_saveexec_b32 s35, s35
	v_mov_b32_e32 v27, s34
	s_xor_b32 exec_lo, exec_lo, s35
	s_cbranch_execnz .LBB6_5547
.LBB6_4492:                             ;   in Loop: Header=BB6_3265 Depth=4
	s_or_b32 exec_lo, exec_lo, s35
	s_and_saveexec_b32 s34, s13
	s_cbranch_execz .LBB6_4494
.LBB6_4493:                             ;   in Loop: Header=BB6_3265 Depth=4
	v_bfe_u32 v38, v26, 2, 5
	v_lshlrev_b32_e32 v39, 24, v26
	s_delay_alu instid0(VALU_DEP_2) | instskip(SKIP_1) | instid1(VALU_DEP_1)
	v_cmp_eq_u32_e32 vcc_lo, 0, v38
	v_and_b32_e32 v27, 3, v26
	v_clz_i32_u32_e32 v36, v27
	s_delay_alu instid0(VALU_DEP_1) | instskip(NEXT) | instid1(VALU_DEP_1)
	v_min_u32_e32 v36, 32, v36
	v_subrev_nc_u32_e32 v37, 29, v36
	v_sub_nc_u32_e32 v36, 30, v36
	s_delay_alu instid0(VALU_DEP_1) | instskip(NEXT) | instid1(VALU_DEP_1)
	v_dual_cndmask_b32 v36, v38, v36 :: v_dual_lshlrev_b32 v37, v37, v26
	v_and_b32_e32 v37, 3, v37
	s_delay_alu instid0(VALU_DEP_2) | instskip(NEXT) | instid1(VALU_DEP_2)
	v_lshl_add_u32 v36, v36, 23, 0x37800000
	v_cndmask_b32_e32 v27, v27, v37, vcc_lo
	v_and_b32_e32 v37, 0x80000000, v39
	s_delay_alu instid0(VALU_DEP_2) | instskip(NEXT) | instid1(VALU_DEP_1)
	v_lshlrev_b32_e32 v27, 21, v27
	v_or3_b32 v27, v37, v36, v27
.LBB6_4494:                             ;   in Loop: Header=BB6_3265 Depth=4
	s_or_b32 exec_lo, exec_lo, s34
	v_and_b32_e32 v37, 0xff, v19
	s_mov_b32 s13, 0
	s_mov_b32 s35, exec_lo
                                        ; implicit-def: $sgpr34
	s_delay_alu instid0(VALU_DEP_1)
	v_cmpx_lt_i16_e32 0x7f, v37
	s_xor_b32 s35, exec_lo, s35
	s_cbranch_execnz .LBB6_5548
; %bb.4495:                             ;   in Loop: Header=BB6_3265 Depth=4
	s_or_saveexec_b32 s35, s35
	v_mov_b32_e32 v36, s34
	s_xor_b32 exec_lo, exec_lo, s35
	s_cbranch_execnz .LBB6_5551
.LBB6_4496:                             ;   in Loop: Header=BB6_3265 Depth=4
	s_or_b32 exec_lo, exec_lo, s35
	s_and_saveexec_b32 s34, s13
	s_cbranch_execz .LBB6_4498
.LBB6_4497:                             ;   in Loop: Header=BB6_3265 Depth=4
	v_bfe_u32 v39, v19, 2, 5
	v_lshlrev_b32_e32 v48, 24, v19
	s_delay_alu instid0(VALU_DEP_2) | instskip(SKIP_1) | instid1(VALU_DEP_1)
	v_cmp_eq_u32_e32 vcc_lo, 0, v39
	v_and_b32_e32 v36, 3, v19
	v_clz_i32_u32_e32 v37, v36
	s_delay_alu instid0(VALU_DEP_1) | instskip(NEXT) | instid1(VALU_DEP_1)
	v_min_u32_e32 v37, 32, v37
	v_subrev_nc_u32_e32 v38, 29, v37
	v_sub_nc_u32_e32 v37, 30, v37
	s_delay_alu instid0(VALU_DEP_1) | instskip(NEXT) | instid1(VALU_DEP_1)
	v_dual_cndmask_b32 v37, v39, v37 :: v_dual_lshlrev_b32 v38, v38, v19
	v_and_b32_e32 v38, 3, v38
	s_delay_alu instid0(VALU_DEP_2) | instskip(NEXT) | instid1(VALU_DEP_2)
	v_lshl_add_u32 v37, v37, 23, 0x37800000
	v_cndmask_b32_e32 v36, v36, v38, vcc_lo
	v_and_b32_e32 v38, 0x80000000, v48
	s_delay_alu instid0(VALU_DEP_2) | instskip(NEXT) | instid1(VALU_DEP_1)
	v_lshlrev_b32_e32 v36, 21, v36
	v_or3_b32 v36, v38, v37, v36
.LBB6_4498:                             ;   in Loop: Header=BB6_3265 Depth=4
	s_or_b32 exec_lo, exec_lo, s34
	s_delay_alu instid0(VALU_DEP_1) | instskip(SKIP_2) | instid1(VALU_DEP_2)
	v_add_f32_e32 v27, v27, v36
	v_mov_b32_e32 v89, 0x80
	s_mov_b32 s34, exec_lo
	v_and_b32_e32 v36, 0x7f800000, v27
	s_delay_alu instid0(VALU_DEP_1)
	v_cmpx_ne_u32_e32 0x7f800000, v36
	s_cbranch_execz .LBB6_4506
; %bb.4499:                             ;   in Loop: Header=BB6_3265 Depth=4
	v_mov_b32_e32 v89, 0
	s_mov_b32 s35, exec_lo
	v_cmpx_ne_u32_e32 0, v27
	s_cbranch_execz .LBB6_4505
; %bb.4500:                             ;   in Loop: Header=BB6_3265 Depth=4
	v_bfe_u32 v36, v27, 23, 8
	s_delay_alu instid0(VALU_DEP_1) | instskip(SKIP_1) | instid1(VALU_DEP_2)
	v_sub_nc_u32_e32 v38, 0x70, v36
	v_cmp_gt_u32_e32 vcc_lo, 0x71, v36
	v_dual_cndmask_b32 v38, 0, v38 :: v_dual_and_b32 v37, 0x7fffff, v27
	s_delay_alu instid0(VALU_DEP_1) | instskip(SKIP_2) | instid1(VALU_DEP_4)
	v_or_b32_e32 v39, 0x800000, v37
	v_cmp_eq_u32_e32 vcc_lo, 0, v36
	v_add_nc_u32_e32 v36, 0xffffff91, v36
	v_cndmask_b32_e64 v38, v38, 0x6f, vcc_lo
	s_delay_alu instid0(VALU_DEP_4) | instskip(NEXT) | instid1(VALU_DEP_3)
	v_cndmask_b32_e32 v37, v39, v37, vcc_lo
	v_cndmask_b32_e64 v36, v36, 0xffffff92, vcc_lo
	s_delay_alu instid0(VALU_DEP_3) | instskip(NEXT) | instid1(VALU_DEP_3)
	v_lshl_add_u32 v39, 0x200000, v38, -1
	v_lshrrev_b32_e32 v48, v38, v37
	v_lshlrev_b32_e64 v50, v38, 0x100000
	s_delay_alu instid0(VALU_DEP_4) | instskip(NEXT) | instid1(VALU_DEP_4)
	v_add_nc_u32_e32 v38, v38, v36
	v_and_b32_e32 v37, v39, v37
	s_delay_alu instid0(VALU_DEP_4) | instskip(NEXT) | instid1(VALU_DEP_2)
	v_bfe_u32 v49, v48, 21, 1
	v_cmp_eq_u32_e64 s13, v37, v50
	s_delay_alu instid0(VALU_DEP_2) | instskip(NEXT) | instid1(VALU_DEP_1)
	v_add_nc_u32_e32 v39, -1, v49
	v_cndmask_b32_e64 v37, 0, v39, s13
	v_lshrrev_b32_e32 v39, 23, v48
	s_mov_b32 s13, exec_lo
	s_delay_alu instid0(VALU_DEP_2) | instskip(NEXT) | instid1(VALU_DEP_2)
	v_add_nc_u32_e32 v37, v37, v48
	v_xor_b32_e32 v39, 1, v39
	s_delay_alu instid0(VALU_DEP_2) | instskip(NEXT) | instid1(VALU_DEP_1)
	v_and_b32_e32 v36, 0x1fffff, v37
	v_add_nc_u32_e32 v37, v36, v48
                                        ; implicit-def: $vgpr36
	s_delay_alu instid0(VALU_DEP_3)
	v_cmpx_ne_u32_e64 v38, v39
	s_xor_b32 s13, exec_lo, s13
; %bb.4501:                             ;   in Loop: Header=BB6_3265 Depth=4
	s_delay_alu instid0(VALU_DEP_2) | instskip(SKIP_2) | instid1(VALU_DEP_2)
	v_cmp_lt_u32_e32 vcc_lo, 0xffffff, v37
	v_sub_nc_u32_e32 v36, v38, v39
	v_cndmask_b32_e64 v38, 0, 1, vcc_lo
	v_add_co_ci_u32_e32 v36, vcc_lo, 0, v36, vcc_lo
	s_delay_alu instid0(VALU_DEP_2)
	v_lshrrev_b32_e32 v37, v38, v37
; %bb.4502:                             ;   in Loop: Header=BB6_3265 Depth=4
	s_and_not1_saveexec_b32 s13, s13
; %bb.4503:                             ;   in Loop: Header=BB6_3265 Depth=4
	s_delay_alu instid0(VALU_DEP_1)
	v_bfe_u32 v36, v37, 23, 1
; %bb.4504:                             ;   in Loop: Header=BB6_3265 Depth=4
	s_or_b32 exec_lo, exec_lo, s13
	v_lshrrev_b32_e32 v37, 21, v37
	s_delay_alu instid0(VALU_DEP_2) | instskip(SKIP_2) | instid1(VALU_DEP_4)
	v_cmp_gt_i32_e32 vcc_lo, 32, v36
	v_lshrrev_b32_e32 v27, 24, v27
	v_min_i32_e32 v38, 31, v36
	v_cndmask_b32_e32 v37, 3, v37, vcc_lo
	s_delay_alu instid0(VALU_DEP_3) | instskip(NEXT) | instid1(VALU_DEP_3)
	v_and_b32_e32 v27, 0x80, v27
	v_lshlrev_b32_e32 v38, 2, v38
	s_delay_alu instid0(VALU_DEP_3) | instskip(SKIP_1) | instid1(VALU_DEP_2)
	v_and_b32_e32 v39, 3, v37
	v_or_b32_e32 v36, v36, v37
	v_or3_b32 v27, v38, v27, v39
	s_delay_alu instid0(VALU_DEP_2) | instskip(NEXT) | instid1(VALU_DEP_2)
	v_cmp_ne_u32_e32 vcc_lo, 0, v36
	v_cndmask_b32_e32 v89, 0, v27, vcc_lo
.LBB6_4505:                             ;   in Loop: Header=BB6_3265 Depth=4
	s_or_b32 exec_lo, exec_lo, s35
.LBB6_4506:                             ;   in Loop: Header=BB6_3265 Depth=4
	s_delay_alu instid0(SALU_CYCLE_1) | instskip(SKIP_3) | instid1(VALU_DEP_1)
	s_or_b32 exec_lo, exec_lo, s34
	v_lshrrev_b16 v36, 8, v26
	s_mov_b32 s13, 0
	s_mov_b32 s35, exec_lo
                                        ; implicit-def: $sgpr34
	v_cmpx_lt_i16_e32 0x7f, v36
	s_xor_b32 s35, exec_lo, s35
	s_cbranch_execnz .LBB6_5552
; %bb.4507:                             ;   in Loop: Header=BB6_3265 Depth=4
	s_or_saveexec_b32 s35, s35
	v_mov_b32_e32 v27, s34
	s_xor_b32 exec_lo, exec_lo, s35
	s_cbranch_execnz .LBB6_5555
.LBB6_4508:                             ;   in Loop: Header=BB6_3265 Depth=4
	s_or_b32 exec_lo, exec_lo, s35
	s_and_saveexec_b32 s34, s13
	s_cbranch_execz .LBB6_4510
.LBB6_4509:                             ;   in Loop: Header=BB6_3265 Depth=4
	v_and_b32_e32 v27, 0xffff, v36
	s_delay_alu instid0(VALU_DEP_1) | instskip(NEXT) | instid1(VALU_DEP_1)
	v_and_b32_e32 v37, 3, v27
	v_clz_i32_u32_e32 v38, v37
	s_delay_alu instid0(VALU_DEP_1) | instskip(NEXT) | instid1(VALU_DEP_1)
	v_min_u32_e32 v38, 32, v38
	v_subrev_nc_u32_e32 v39, 29, v38
	v_sub_nc_u32_e32 v38, 30, v38
	s_delay_alu instid0(VALU_DEP_2) | instskip(SKIP_1) | instid1(VALU_DEP_2)
	v_lshlrev_b32_e32 v39, v39, v27
	v_bfe_u32 v27, v27, 2, 5
	v_and_b32_e32 v39, 3, v39
	s_delay_alu instid0(VALU_DEP_2) | instskip(SKIP_1) | instid1(VALU_DEP_1)
	v_cmp_eq_u32_e32 vcc_lo, 0, v27
	v_dual_cndmask_b32 v27, v27, v38 :: v_dual_lshlrev_b32 v36, 24, v36
	v_dual_cndmask_b32 v37, v37, v39 :: v_dual_and_b32 v36, 0x80000000, v36
	s_delay_alu instid0(VALU_DEP_2) | instskip(NEXT) | instid1(VALU_DEP_2)
	v_lshl_add_u32 v27, v27, 23, 0x37800000
	v_lshlrev_b32_e32 v37, 21, v37
	s_delay_alu instid0(VALU_DEP_1)
	v_or3_b32 v27, v36, v27, v37
.LBB6_4510:                             ;   in Loop: Header=BB6_3265 Depth=4
	s_or_b32 exec_lo, exec_lo, s34
	v_lshrrev_b16 v36, 8, v19
	s_mov_b32 s13, 0
	s_mov_b32 s35, exec_lo
                                        ; implicit-def: $sgpr34
	s_delay_alu instid0(VALU_DEP_1)
	v_cmpx_lt_i16_e32 0x7f, v36
	s_xor_b32 s35, exec_lo, s35
	s_cbranch_execnz .LBB6_5556
; %bb.4511:                             ;   in Loop: Header=BB6_3265 Depth=4
	s_or_saveexec_b32 s35, s35
	v_mov_b32_e32 v37, s34
	s_xor_b32 exec_lo, exec_lo, s35
	s_cbranch_execnz .LBB6_5559
.LBB6_4512:                             ;   in Loop: Header=BB6_3265 Depth=4
	s_or_b32 exec_lo, exec_lo, s35
	s_and_saveexec_b32 s34, s13
	s_cbranch_execz .LBB6_4514
.LBB6_4513:                             ;   in Loop: Header=BB6_3265 Depth=4
	v_and_b32_e32 v37, 0xffff, v36
	v_lshlrev_b32_e32 v36, 24, v36
	s_delay_alu instid0(VALU_DEP_2) | instskip(NEXT) | instid1(VALU_DEP_2)
	v_and_b32_e32 v38, 3, v37
	v_and_b32_e32 v36, 0x80000000, v36
	s_delay_alu instid0(VALU_DEP_2) | instskip(NEXT) | instid1(VALU_DEP_1)
	v_clz_i32_u32_e32 v39, v38
	v_min_u32_e32 v39, 32, v39
	s_delay_alu instid0(VALU_DEP_1) | instskip(SKIP_1) | instid1(VALU_DEP_2)
	v_subrev_nc_u32_e32 v48, 29, v39
	v_sub_nc_u32_e32 v39, 30, v39
	v_lshlrev_b32_e32 v48, v48, v37
	v_bfe_u32 v37, v37, 2, 5
	s_delay_alu instid0(VALU_DEP_2) | instskip(NEXT) | instid1(VALU_DEP_2)
	v_and_b32_e32 v48, 3, v48
	v_cmp_eq_u32_e32 vcc_lo, 0, v37
	s_delay_alu instid0(VALU_DEP_2) | instskip(NEXT) | instid1(VALU_DEP_1)
	v_dual_cndmask_b32 v37, v37, v39 :: v_dual_cndmask_b32 v38, v38, v48
	v_lshl_add_u32 v37, v37, 23, 0x37800000
	s_delay_alu instid0(VALU_DEP_2) | instskip(NEXT) | instid1(VALU_DEP_1)
	v_lshlrev_b32_e32 v38, 21, v38
	v_or3_b32 v37, v36, v37, v38
.LBB6_4514:                             ;   in Loop: Header=BB6_3265 Depth=4
	s_or_b32 exec_lo, exec_lo, s34
	s_delay_alu instid0(VALU_DEP_1) | instskip(SKIP_1) | instid1(VALU_DEP_1)
	v_dual_add_f32 v27, v27, v37 :: v_dual_mov_b32 v90, 0x8000
	s_mov_b32 s34, exec_lo
	v_and_b32_e32 v36, 0x7f800000, v27
	s_delay_alu instid0(VALU_DEP_1)
	v_cmpx_ne_u32_e32 0x7f800000, v36
	s_cbranch_execz .LBB6_4522
; %bb.4515:                             ;   in Loop: Header=BB6_3265 Depth=4
	v_mov_b32_e32 v90, 0
	s_mov_b32 s35, exec_lo
	v_cmpx_ne_u32_e32 0, v27
	s_cbranch_execz .LBB6_4521
; %bb.4516:                             ;   in Loop: Header=BB6_3265 Depth=4
	v_bfe_u32 v36, v27, 23, 8
	s_delay_alu instid0(VALU_DEP_1) | instskip(SKIP_1) | instid1(VALU_DEP_2)
	v_sub_nc_u32_e32 v38, 0x70, v36
	v_cmp_gt_u32_e32 vcc_lo, 0x71, v36
	v_dual_cndmask_b32 v38, 0, v38 :: v_dual_and_b32 v37, 0x7fffff, v27
	s_delay_alu instid0(VALU_DEP_1) | instskip(SKIP_2) | instid1(VALU_DEP_4)
	v_or_b32_e32 v39, 0x800000, v37
	v_cmp_eq_u32_e32 vcc_lo, 0, v36
	v_add_nc_u32_e32 v36, 0xffffff91, v36
	v_cndmask_b32_e64 v38, v38, 0x6f, vcc_lo
	s_delay_alu instid0(VALU_DEP_4) | instskip(NEXT) | instid1(VALU_DEP_3)
	v_cndmask_b32_e32 v37, v39, v37, vcc_lo
	v_cndmask_b32_e64 v36, v36, 0xffffff92, vcc_lo
	s_delay_alu instid0(VALU_DEP_3) | instskip(NEXT) | instid1(VALU_DEP_3)
	v_lshl_add_u32 v39, 0x200000, v38, -1
	v_lshrrev_b32_e32 v48, v38, v37
	v_lshlrev_b32_e64 v50, v38, 0x100000
	s_delay_alu instid0(VALU_DEP_4) | instskip(NEXT) | instid1(VALU_DEP_4)
	v_add_nc_u32_e32 v38, v38, v36
	v_and_b32_e32 v37, v39, v37
	s_delay_alu instid0(VALU_DEP_4) | instskip(NEXT) | instid1(VALU_DEP_2)
	v_bfe_u32 v49, v48, 21, 1
	v_cmp_eq_u32_e64 s13, v37, v50
	s_delay_alu instid0(VALU_DEP_2) | instskip(NEXT) | instid1(VALU_DEP_1)
	v_add_nc_u32_e32 v39, -1, v49
	v_cndmask_b32_e64 v37, 0, v39, s13
	v_lshrrev_b32_e32 v39, 23, v48
	s_mov_b32 s13, exec_lo
	s_delay_alu instid0(VALU_DEP_2) | instskip(NEXT) | instid1(VALU_DEP_2)
	v_add_nc_u32_e32 v37, v37, v48
	v_xor_b32_e32 v39, 1, v39
	s_delay_alu instid0(VALU_DEP_2) | instskip(NEXT) | instid1(VALU_DEP_1)
	v_and_b32_e32 v36, 0x1fffff, v37
	v_add_nc_u32_e32 v37, v36, v48
                                        ; implicit-def: $vgpr36
	s_delay_alu instid0(VALU_DEP_3)
	v_cmpx_ne_u32_e64 v38, v39
	s_xor_b32 s13, exec_lo, s13
; %bb.4517:                             ;   in Loop: Header=BB6_3265 Depth=4
	s_delay_alu instid0(VALU_DEP_2) | instskip(SKIP_2) | instid1(VALU_DEP_2)
	v_cmp_lt_u32_e32 vcc_lo, 0xffffff, v37
	v_sub_nc_u32_e32 v36, v38, v39
	v_cndmask_b32_e64 v38, 0, 1, vcc_lo
	v_add_co_ci_u32_e32 v36, vcc_lo, 0, v36, vcc_lo
	s_delay_alu instid0(VALU_DEP_2)
	v_lshrrev_b32_e32 v37, v38, v37
; %bb.4518:                             ;   in Loop: Header=BB6_3265 Depth=4
	s_and_not1_saveexec_b32 s13, s13
; %bb.4519:                             ;   in Loop: Header=BB6_3265 Depth=4
	s_delay_alu instid0(VALU_DEP_1)
	v_bfe_u32 v36, v37, 23, 1
; %bb.4520:                             ;   in Loop: Header=BB6_3265 Depth=4
	s_or_b32 exec_lo, exec_lo, s13
	v_lshrrev_b32_e32 v37, 21, v37
	s_delay_alu instid0(VALU_DEP_2) | instskip(SKIP_2) | instid1(VALU_DEP_2)
	v_cmp_gt_i32_e32 vcc_lo, 32, v36
	v_min_i32_e32 v38, 31, v36
	v_lshrrev_b32_e32 v27, 24, v27
	v_dual_cndmask_b32 v37, 3, v37 :: v_dual_lshlrev_b32 v38, 2, v38
	s_delay_alu instid0(VALU_DEP_2) | instskip(NEXT) | instid1(VALU_DEP_2)
	v_and_b32_e32 v27, 0x80, v27
	v_or_b32_e32 v36, v36, v37
	s_delay_alu instid0(VALU_DEP_3) | instskip(NEXT) | instid1(VALU_DEP_2)
	v_and_b32_e32 v38, 0xfc, v38
	v_cmp_ne_u32_e32 vcc_lo, 0, v36
	v_and_b32_e32 v39, 3, v37
	s_delay_alu instid0(VALU_DEP_1) | instskip(NEXT) | instid1(VALU_DEP_1)
	v_or3_b32 v27, v27, v38, v39
	v_lshlrev_b32_e32 v27, 8, v27
	s_delay_alu instid0(VALU_DEP_1)
	v_cndmask_b32_e32 v90, 0, v27, vcc_lo
.LBB6_4521:                             ;   in Loop: Header=BB6_3265 Depth=4
	s_or_b32 exec_lo, exec_lo, s35
.LBB6_4522:                             ;   in Loop: Header=BB6_3265 Depth=4
	s_delay_alu instid0(SALU_CYCLE_1) | instskip(SKIP_3) | instid1(VALU_DEP_1)
	s_or_b32 exec_lo, exec_lo, s34
	v_or_b32_e32 v36, v91, v88
	s_mov_b32 s13, 0
	s_mov_b32 s35, exec_lo
                                        ; implicit-def: $sgpr34
	v_and_b32_e32 v37, 0xff, v36
	s_delay_alu instid0(VALU_DEP_1)
	v_cmpx_lt_i16_e32 0x7f, v37
	s_xor_b32 s35, exec_lo, s35
	s_cbranch_execnz .LBB6_5560
; %bb.4523:                             ;   in Loop: Header=BB6_3265 Depth=4
	s_or_saveexec_b32 s35, s35
	v_mov_b32_e32 v27, s34
	s_xor_b32 exec_lo, exec_lo, s35
	s_cbranch_execnz .LBB6_5563
.LBB6_4524:                             ;   in Loop: Header=BB6_3265 Depth=4
	s_or_b32 exec_lo, exec_lo, s35
	v_lshl_or_b32 v26, v36, 16, v26
	s_and_saveexec_b32 s34, s13
	s_cbranch_execz .LBB6_4526
.LBB6_4525:                             ;   in Loop: Header=BB6_3265 Depth=4
	s_delay_alu instid0(VALU_DEP_1) | instskip(SKIP_2) | instid1(VALU_DEP_3)
	v_bfe_u32 v27, v26, 16, 2
	v_lshrrev_b32_e32 v37, 16, v26
	v_lshlrev_b32_e32 v39, 8, v26
	v_clz_i32_u32_e32 v36, v27
	s_delay_alu instid0(VALU_DEP_1) | instskip(NEXT) | instid1(VALU_DEP_1)
	v_min_u32_e32 v36, 32, v36
	v_subrev_nc_u32_e32 v38, 29, v36
	v_sub_nc_u32_e32 v36, 30, v36
	s_delay_alu instid0(VALU_DEP_2) | instskip(SKIP_1) | instid1(VALU_DEP_1)
	v_lshlrev_b32_e32 v37, v38, v37
	v_bfe_u32 v38, v26, 18, 5
	v_cmp_eq_u32_e32 vcc_lo, 0, v38
	s_delay_alu instid0(VALU_DEP_3) | instskip(NEXT) | instid1(VALU_DEP_1)
	v_dual_cndmask_b32 v36, v38, v36 :: v_dual_and_b32 v37, 3, v37
	v_cndmask_b32_e32 v27, v27, v37, vcc_lo
	v_and_b32_e32 v37, 0x80000000, v39
	s_delay_alu instid0(VALU_DEP_3) | instskip(NEXT) | instid1(VALU_DEP_3)
	v_lshl_add_u32 v36, v36, 23, 0x37800000
	v_lshlrev_b32_e32 v27, 21, v27
	s_delay_alu instid0(VALU_DEP_1)
	v_or3_b32 v27, v37, v36, v27
.LBB6_4526:                             ;   in Loop: Header=BB6_3265 Depth=4
	s_or_b32 exec_lo, exec_lo, s34
	v_lshrrev_b32_e32 v36, 16, v19
	s_mov_b32 s13, 0
	s_mov_b32 s35, exec_lo
                                        ; implicit-def: $sgpr34
	s_delay_alu instid0(VALU_DEP_1) | instskip(NEXT) | instid1(VALU_DEP_1)
	v_and_b32_e32 v38, 0xff, v36
	v_cmpx_lt_i16_e32 0x7f, v38
	s_xor_b32 s35, exec_lo, s35
	s_cbranch_execnz .LBB6_5564
; %bb.4527:                             ;   in Loop: Header=BB6_3265 Depth=4
	s_or_saveexec_b32 s35, s35
	v_mov_b32_e32 v37, s34
	s_xor_b32 exec_lo, exec_lo, s35
	s_cbranch_execnz .LBB6_5567
.LBB6_4528:                             ;   in Loop: Header=BB6_3265 Depth=4
	s_or_b32 exec_lo, exec_lo, s35
	s_and_saveexec_b32 s34, s13
	s_cbranch_execz .LBB6_4530
.LBB6_4529:                             ;   in Loop: Header=BB6_3265 Depth=4
	v_bfe_u32 v37, v19, 16, 2
	v_lshlrev_b32_e32 v48, 8, v19
	s_delay_alu instid0(VALU_DEP_2) | instskip(NEXT) | instid1(VALU_DEP_1)
	v_clz_i32_u32_e32 v38, v37
	v_min_u32_e32 v38, 32, v38
	s_delay_alu instid0(VALU_DEP_1) | instskip(SKIP_1) | instid1(VALU_DEP_2)
	v_subrev_nc_u32_e32 v39, 29, v38
	v_sub_nc_u32_e32 v38, 30, v38
	v_lshlrev_b32_e32 v36, v39, v36
	v_bfe_u32 v39, v19, 18, 5
	s_delay_alu instid0(VALU_DEP_2) | instskip(NEXT) | instid1(VALU_DEP_2)
	v_and_b32_e32 v36, 3, v36
	v_cmp_eq_u32_e32 vcc_lo, 0, v39
	v_cndmask_b32_e32 v38, v39, v38, vcc_lo
	s_delay_alu instid0(VALU_DEP_3) | instskip(SKIP_1) | instid1(VALU_DEP_3)
	v_cndmask_b32_e32 v36, v37, v36, vcc_lo
	v_and_b32_e32 v37, 0x80000000, v48
	v_lshl_add_u32 v38, v38, 23, 0x37800000
	s_delay_alu instid0(VALU_DEP_3) | instskip(NEXT) | instid1(VALU_DEP_1)
	v_lshlrev_b32_e32 v36, 21, v36
	v_or3_b32 v37, v37, v38, v36
.LBB6_4530:                             ;   in Loop: Header=BB6_3265 Depth=4
	s_or_b32 exec_lo, exec_lo, s34
	s_delay_alu instid0(VALU_DEP_1) | instskip(SKIP_1) | instid1(VALU_DEP_1)
	v_dual_add_f32 v27, v27, v37 :: v_dual_mov_b32 v88, 0x80
	s_mov_b32 s34, exec_lo
	v_and_b32_e32 v36, 0x7f800000, v27
	s_delay_alu instid0(VALU_DEP_1)
	v_cmpx_ne_u32_e32 0x7f800000, v36
	s_cbranch_execz .LBB6_4538
; %bb.4531:                             ;   in Loop: Header=BB6_3265 Depth=4
	v_mov_b32_e32 v88, 0
	s_mov_b32 s35, exec_lo
	v_cmpx_ne_u32_e32 0, v27
	s_cbranch_execz .LBB6_4537
; %bb.4532:                             ;   in Loop: Header=BB6_3265 Depth=4
	v_bfe_u32 v36, v27, 23, 8
	s_delay_alu instid0(VALU_DEP_1) | instskip(SKIP_1) | instid1(VALU_DEP_2)
	v_sub_nc_u32_e32 v38, 0x70, v36
	v_cmp_gt_u32_e32 vcc_lo, 0x71, v36
	v_dual_cndmask_b32 v38, 0, v38 :: v_dual_and_b32 v37, 0x7fffff, v27
	s_delay_alu instid0(VALU_DEP_1) | instskip(SKIP_2) | instid1(VALU_DEP_4)
	v_or_b32_e32 v39, 0x800000, v37
	v_cmp_eq_u32_e32 vcc_lo, 0, v36
	v_add_nc_u32_e32 v36, 0xffffff91, v36
	v_cndmask_b32_e64 v38, v38, 0x6f, vcc_lo
	s_delay_alu instid0(VALU_DEP_4) | instskip(NEXT) | instid1(VALU_DEP_3)
	v_cndmask_b32_e32 v37, v39, v37, vcc_lo
	v_cndmask_b32_e64 v36, v36, 0xffffff92, vcc_lo
	s_delay_alu instid0(VALU_DEP_3) | instskip(NEXT) | instid1(VALU_DEP_3)
	v_lshl_add_u32 v39, 0x200000, v38, -1
	v_lshrrev_b32_e32 v48, v38, v37
	v_lshlrev_b32_e64 v50, v38, 0x100000
	s_delay_alu instid0(VALU_DEP_4) | instskip(NEXT) | instid1(VALU_DEP_4)
	v_add_nc_u32_e32 v38, v38, v36
	v_and_b32_e32 v37, v39, v37
	s_delay_alu instid0(VALU_DEP_4) | instskip(NEXT) | instid1(VALU_DEP_2)
	v_bfe_u32 v49, v48, 21, 1
	v_cmp_eq_u32_e64 s13, v37, v50
	s_delay_alu instid0(VALU_DEP_2) | instskip(NEXT) | instid1(VALU_DEP_1)
	v_add_nc_u32_e32 v39, -1, v49
	v_cndmask_b32_e64 v37, 0, v39, s13
	v_lshrrev_b32_e32 v39, 23, v48
	s_mov_b32 s13, exec_lo
	s_delay_alu instid0(VALU_DEP_2) | instskip(NEXT) | instid1(VALU_DEP_2)
	v_add_nc_u32_e32 v37, v37, v48
	v_xor_b32_e32 v39, 1, v39
	s_delay_alu instid0(VALU_DEP_2) | instskip(NEXT) | instid1(VALU_DEP_1)
	v_and_b32_e32 v36, 0x1fffff, v37
	v_add_nc_u32_e32 v37, v36, v48
                                        ; implicit-def: $vgpr36
	s_delay_alu instid0(VALU_DEP_3)
	v_cmpx_ne_u32_e64 v38, v39
	s_xor_b32 s13, exec_lo, s13
; %bb.4533:                             ;   in Loop: Header=BB6_3265 Depth=4
	s_delay_alu instid0(VALU_DEP_2) | instskip(SKIP_2) | instid1(VALU_DEP_2)
	v_cmp_lt_u32_e32 vcc_lo, 0xffffff, v37
	v_sub_nc_u32_e32 v36, v38, v39
	v_cndmask_b32_e64 v38, 0, 1, vcc_lo
	v_add_co_ci_u32_e32 v36, vcc_lo, 0, v36, vcc_lo
	s_delay_alu instid0(VALU_DEP_2)
	v_lshrrev_b32_e32 v37, v38, v37
; %bb.4534:                             ;   in Loop: Header=BB6_3265 Depth=4
	s_and_not1_saveexec_b32 s13, s13
; %bb.4535:                             ;   in Loop: Header=BB6_3265 Depth=4
	s_delay_alu instid0(VALU_DEP_1)
	v_bfe_u32 v36, v37, 23, 1
; %bb.4536:                             ;   in Loop: Header=BB6_3265 Depth=4
	s_or_b32 exec_lo, exec_lo, s13
	v_lshrrev_b32_e32 v37, 21, v37
	s_delay_alu instid0(VALU_DEP_2) | instskip(SKIP_2) | instid1(VALU_DEP_2)
	v_cmp_gt_i32_e32 vcc_lo, 32, v36
	v_min_i32_e32 v38, 31, v36
	v_lshrrev_b32_e32 v27, 24, v27
	v_dual_cndmask_b32 v37, 3, v37 :: v_dual_lshlrev_b32 v38, 2, v38
	s_delay_alu instid0(VALU_DEP_2) | instskip(NEXT) | instid1(VALU_DEP_2)
	v_and_b32_e32 v27, 0x80, v27
	v_or_b32_e32 v36, v36, v37
	s_delay_alu instid0(VALU_DEP_3) | instskip(NEXT) | instid1(VALU_DEP_2)
	v_and_b32_e32 v38, 0xfc, v38
	v_cmp_ne_u32_e32 vcc_lo, 0, v36
	v_and_b32_e32 v39, 3, v37
	s_delay_alu instid0(VALU_DEP_1) | instskip(NEXT) | instid1(VALU_DEP_1)
	v_or3_b32 v27, v38, v27, v39
	v_cndmask_b32_e32 v88, 0, v27, vcc_lo
.LBB6_4537:                             ;   in Loop: Header=BB6_3265 Depth=4
	s_or_b32 exec_lo, exec_lo, s35
.LBB6_4538:                             ;   in Loop: Header=BB6_3265 Depth=4
	s_delay_alu instid0(SALU_CYCLE_1) | instskip(SKIP_3) | instid1(VALU_DEP_1)
	s_or_b32 exec_lo, exec_lo, s34
	v_lshrrev_b32_e32 v36, 24, v26
	s_mov_b32 s13, 0
	s_mov_b32 s35, exec_lo
                                        ; implicit-def: $sgpr34
	v_cmpx_lt_i16_e32 0x7f, v36
	s_xor_b32 s35, exec_lo, s35
	s_cbranch_execnz .LBB6_5568
; %bb.4539:                             ;   in Loop: Header=BB6_3265 Depth=4
	s_or_saveexec_b32 s35, s35
	v_mov_b32_e32 v27, s34
	s_xor_b32 exec_lo, exec_lo, s35
	s_cbranch_execnz .LBB6_5571
.LBB6_4540:                             ;   in Loop: Header=BB6_3265 Depth=4
	s_or_b32 exec_lo, exec_lo, s35
	s_and_saveexec_b32 s34, s13
	s_cbranch_execz .LBB6_4542
.LBB6_4541:                             ;   in Loop: Header=BB6_3265 Depth=4
	v_bfe_u32 v27, v26, 24, 2
	s_delay_alu instid0(VALU_DEP_1) | instskip(NEXT) | instid1(VALU_DEP_1)
	v_clz_i32_u32_e32 v37, v27
	v_min_u32_e32 v37, 32, v37
	s_delay_alu instid0(VALU_DEP_1) | instskip(SKIP_1) | instid1(VALU_DEP_2)
	v_subrev_nc_u32_e32 v38, 29, v37
	v_sub_nc_u32_e32 v37, 30, v37
	v_lshlrev_b32_e32 v36, v38, v36
	v_bfe_u32 v38, v26, 26, 5
	v_and_b32_e32 v26, 0x80000000, v26
	s_delay_alu instid0(VALU_DEP_2) | instskip(NEXT) | instid1(VALU_DEP_4)
	v_cmp_eq_u32_e32 vcc_lo, 0, v38
	v_dual_cndmask_b32 v37, v38, v37 :: v_dual_and_b32 v36, 3, v36
	s_delay_alu instid0(VALU_DEP_1) | instskip(NEXT) | instid1(VALU_DEP_2)
	v_cndmask_b32_e32 v27, v27, v36, vcc_lo
	v_lshl_add_u32 v36, v37, 23, 0x37800000
	s_delay_alu instid0(VALU_DEP_2) | instskip(NEXT) | instid1(VALU_DEP_1)
	v_lshlrev_b32_e32 v27, 21, v27
	v_or3_b32 v27, v26, v36, v27
.LBB6_4542:                             ;   in Loop: Header=BB6_3265 Depth=4
	s_or_b32 exec_lo, exec_lo, s34
	v_lshrrev_b32_e32 v26, 24, v19
	s_mov_b32 s13, 0
	s_mov_b32 s35, exec_lo
                                        ; implicit-def: $sgpr34
	s_delay_alu instid0(VALU_DEP_1)
	v_cmpx_lt_i16_e32 0x7f, v26
	s_xor_b32 s35, exec_lo, s35
	s_cbranch_execnz .LBB6_5572
; %bb.4543:                             ;   in Loop: Header=BB6_3265 Depth=4
	s_or_saveexec_b32 s35, s35
	v_mov_b32_e32 v36, s34
	s_xor_b32 exec_lo, exec_lo, s35
	s_cbranch_execnz .LBB6_5575
.LBB6_4544:                             ;   in Loop: Header=BB6_3265 Depth=4
	s_or_b32 exec_lo, exec_lo, s35
	s_and_saveexec_b32 s34, s13
	s_cbranch_execz .LBB6_4546
.LBB6_4545:                             ;   in Loop: Header=BB6_3265 Depth=4
	v_bfe_u32 v36, v19, 24, 2
	s_delay_alu instid0(VALU_DEP_1) | instskip(NEXT) | instid1(VALU_DEP_1)
	v_clz_i32_u32_e32 v37, v36
	v_min_u32_e32 v37, 32, v37
	s_delay_alu instid0(VALU_DEP_1) | instskip(SKIP_1) | instid1(VALU_DEP_2)
	v_subrev_nc_u32_e32 v38, 29, v37
	v_sub_nc_u32_e32 v37, 30, v37
	v_lshlrev_b32_e32 v26, v38, v26
	v_bfe_u32 v38, v19, 26, 5
	v_and_b32_e32 v19, 0x80000000, v19
	s_delay_alu instid0(VALU_DEP_2) | instskip(NEXT) | instid1(VALU_DEP_4)
	v_cmp_eq_u32_e32 vcc_lo, 0, v38
	v_dual_cndmask_b32 v37, v38, v37 :: v_dual_and_b32 v26, 3, v26
	s_delay_alu instid0(VALU_DEP_1) | instskip(NEXT) | instid1(VALU_DEP_2)
	v_cndmask_b32_e32 v26, v36, v26, vcc_lo
	v_lshl_add_u32 v36, v37, 23, 0x37800000
	s_delay_alu instid0(VALU_DEP_2) | instskip(NEXT) | instid1(VALU_DEP_1)
	v_lshlrev_b32_e32 v26, 21, v26
	v_or3_b32 v36, v19, v36, v26
.LBB6_4546:                             ;   in Loop: Header=BB6_3265 Depth=4
	s_or_b32 exec_lo, exec_lo, s34
	s_delay_alu instid0(VALU_DEP_1) | instskip(NEXT) | instid1(VALU_DEP_1)
	v_add_f32_e32 v26, v27, v36
	v_and_b32_e32 v19, 0x7f800000, v26
	s_delay_alu instid0(VALU_DEP_1)
	v_cmp_ne_u32_e32 vcc_lo, 0x7f800000, v19
	v_mov_b32_e32 v19, 0x8000
	s_and_saveexec_b32 s34, vcc_lo
	s_cbranch_execz .LBB6_4554
; %bb.4547:                             ;   in Loop: Header=BB6_3265 Depth=4
	v_mov_b32_e32 v19, 0
	s_mov_b32 s35, exec_lo
	v_cmpx_ne_u32_e32 0, v26
	s_cbranch_execz .LBB6_4553
; %bb.4548:                             ;   in Loop: Header=BB6_3265 Depth=4
	v_bfe_u32 v19, v26, 23, 8
	s_delay_alu instid0(VALU_DEP_1) | instskip(SKIP_1) | instid1(VALU_DEP_2)
	v_sub_nc_u32_e32 v36, 0x70, v19
	v_cmp_gt_u32_e32 vcc_lo, 0x71, v19
	v_dual_cndmask_b32 v36, 0, v36 :: v_dual_and_b32 v27, 0x7fffff, v26
	s_delay_alu instid0(VALU_DEP_1) | instskip(SKIP_2) | instid1(VALU_DEP_4)
	v_or_b32_e32 v37, 0x800000, v27
	v_cmp_eq_u32_e32 vcc_lo, 0, v19
	v_add_nc_u32_e32 v19, 0xffffff91, v19
	v_cndmask_b32_e64 v36, v36, 0x6f, vcc_lo
	s_delay_alu instid0(VALU_DEP_4) | instskip(NEXT) | instid1(VALU_DEP_3)
	v_cndmask_b32_e32 v27, v37, v27, vcc_lo
	v_cndmask_b32_e64 v19, v19, 0xffffff92, vcc_lo
	s_delay_alu instid0(VALU_DEP_3) | instskip(NEXT) | instid1(VALU_DEP_3)
	v_lshl_add_u32 v37, 0x200000, v36, -1
	v_lshrrev_b32_e32 v38, v36, v27
	v_lshlrev_b32_e64 v48, v36, 0x100000
	s_delay_alu instid0(VALU_DEP_4) | instskip(NEXT) | instid1(VALU_DEP_4)
	v_add_nc_u32_e32 v36, v36, v19
	v_and_b32_e32 v27, v37, v27
	s_delay_alu instid0(VALU_DEP_4) | instskip(NEXT) | instid1(VALU_DEP_2)
	v_bfe_u32 v39, v38, 21, 1
	v_cmp_eq_u32_e64 s13, v27, v48
	s_delay_alu instid0(VALU_DEP_2) | instskip(NEXT) | instid1(VALU_DEP_1)
	v_add_nc_u32_e32 v37, -1, v39
	v_cndmask_b32_e64 v27, 0, v37, s13
	v_lshrrev_b32_e32 v37, 23, v38
	s_mov_b32 s13, exec_lo
	s_delay_alu instid0(VALU_DEP_2) | instskip(NEXT) | instid1(VALU_DEP_2)
	v_add_nc_u32_e32 v27, v27, v38
	v_xor_b32_e32 v37, 1, v37
	s_delay_alu instid0(VALU_DEP_2) | instskip(NEXT) | instid1(VALU_DEP_1)
	v_and_b32_e32 v19, 0x1fffff, v27
	v_add_nc_u32_e32 v27, v19, v38
                                        ; implicit-def: $vgpr19
	s_delay_alu instid0(VALU_DEP_3)
	v_cmpx_ne_u32_e64 v36, v37
	s_xor_b32 s13, exec_lo, s13
; %bb.4549:                             ;   in Loop: Header=BB6_3265 Depth=4
	s_delay_alu instid0(VALU_DEP_2) | instskip(SKIP_2) | instid1(VALU_DEP_2)
	v_cmp_lt_u32_e32 vcc_lo, 0xffffff, v27
	v_sub_nc_u32_e32 v19, v36, v37
	v_cndmask_b32_e64 v36, 0, 1, vcc_lo
	v_add_co_ci_u32_e32 v19, vcc_lo, 0, v19, vcc_lo
	s_delay_alu instid0(VALU_DEP_2)
	v_lshrrev_b32_e32 v27, v36, v27
; %bb.4550:                             ;   in Loop: Header=BB6_3265 Depth=4
	s_and_not1_saveexec_b32 s13, s13
; %bb.4551:                             ;   in Loop: Header=BB6_3265 Depth=4
	s_delay_alu instid0(VALU_DEP_1)
	v_bfe_u32 v19, v27, 23, 1
; %bb.4552:                             ;   in Loop: Header=BB6_3265 Depth=4
	s_or_b32 exec_lo, exec_lo, s13
	v_lshrrev_b32_e32 v27, 21, v27
	s_delay_alu instid0(VALU_DEP_2) | instskip(SKIP_2) | instid1(VALU_DEP_2)
	v_cmp_gt_i32_e32 vcc_lo, 32, v19
	v_min_i32_e32 v36, 31, v19
	v_lshrrev_b32_e32 v26, 24, v26
	v_dual_cndmask_b32 v27, 3, v27 :: v_dual_lshlrev_b32 v36, 2, v36
	s_delay_alu instid0(VALU_DEP_2) | instskip(NEXT) | instid1(VALU_DEP_2)
	v_and_b32_e32 v26, 0x80, v26
	v_or_b32_e32 v19, v19, v27
	v_and_b32_e32 v37, 3, v27
	s_delay_alu instid0(VALU_DEP_2) | instskip(SKIP_1) | instid1(VALU_DEP_1)
	v_cmp_ne_u32_e32 vcc_lo, 0, v19
	v_and_b32_e32 v36, 0xfc, v36
	v_or3_b32 v26, v26, v36, v37
	s_delay_alu instid0(VALU_DEP_1) | instskip(NEXT) | instid1(VALU_DEP_1)
	v_lshlrev_b32_e32 v26, 8, v26
	v_cndmask_b32_e32 v19, 0, v26, vcc_lo
.LBB6_4553:                             ;   in Loop: Header=BB6_3265 Depth=4
	s_or_b32 exec_lo, exec_lo, s35
.LBB6_4554:                             ;   in Loop: Header=BB6_3265 Depth=4
	s_delay_alu instid0(SALU_CYCLE_1) | instskip(SKIP_3) | instid1(VALU_DEP_1)
	s_or_b32 exec_lo, exec_lo, s34
	v_and_b32_e32 v27, 0xff, v78
	s_mov_b32 s13, 0
	s_mov_b32 s35, exec_lo
                                        ; implicit-def: $sgpr34
	v_cmpx_lt_i16_e32 0x7f, v27
	s_xor_b32 s35, exec_lo, s35
	s_cbranch_execnz .LBB6_5576
; %bb.4555:                             ;   in Loop: Header=BB6_3265 Depth=4
	s_or_saveexec_b32 s35, s35
	v_mov_b32_e32 v26, s34
	s_xor_b32 exec_lo, exec_lo, s35
	s_cbranch_execnz .LBB6_5579
.LBB6_4556:                             ;   in Loop: Header=BB6_3265 Depth=4
	s_or_b32 exec_lo, exec_lo, s35
	s_and_saveexec_b32 s34, s13
	s_cbranch_execz .LBB6_4558
.LBB6_4557:                             ;   in Loop: Header=BB6_3265 Depth=4
	v_bfe_u32 v37, v78, 2, 5
	v_lshlrev_b32_e32 v38, 24, v78
	s_delay_alu instid0(VALU_DEP_2) | instskip(SKIP_1) | instid1(VALU_DEP_1)
	v_cmp_eq_u32_e32 vcc_lo, 0, v37
	v_and_b32_e32 v26, 3, v78
	v_clz_i32_u32_e32 v27, v26
	s_delay_alu instid0(VALU_DEP_1) | instskip(NEXT) | instid1(VALU_DEP_1)
	v_min_u32_e32 v27, 32, v27
	v_subrev_nc_u32_e32 v36, 29, v27
	v_sub_nc_u32_e32 v27, 30, v27
	s_delay_alu instid0(VALU_DEP_1) | instskip(NEXT) | instid1(VALU_DEP_1)
	v_dual_cndmask_b32 v27, v37, v27 :: v_dual_lshlrev_b32 v36, v36, v78
	v_and_b32_e32 v36, 3, v36
	s_delay_alu instid0(VALU_DEP_2) | instskip(NEXT) | instid1(VALU_DEP_2)
	v_lshl_add_u32 v27, v27, 23, 0x37800000
	v_cndmask_b32_e32 v26, v26, v36, vcc_lo
	v_and_b32_e32 v36, 0x80000000, v38
	s_delay_alu instid0(VALU_DEP_2) | instskip(NEXT) | instid1(VALU_DEP_1)
	v_lshlrev_b32_e32 v26, 21, v26
	v_or3_b32 v26, v36, v27, v26
.LBB6_4558:                             ;   in Loop: Header=BB6_3265 Depth=4
	s_or_b32 exec_lo, exec_lo, s34
	s_waitcnt vmcnt(1)
	v_and_b32_e32 v36, 0xff, v12
	s_mov_b32 s13, 0
	s_mov_b32 s35, exec_lo
                                        ; implicit-def: $sgpr34
	s_delay_alu instid0(VALU_DEP_1)
	v_cmpx_lt_i16_e32 0x7f, v36
	s_xor_b32 s35, exec_lo, s35
	s_cbranch_execnz .LBB6_5580
; %bb.4559:                             ;   in Loop: Header=BB6_3265 Depth=4
	s_or_saveexec_b32 s35, s35
	v_mov_b32_e32 v27, s34
	s_xor_b32 exec_lo, exec_lo, s35
	s_cbranch_execnz .LBB6_5583
.LBB6_4560:                             ;   in Loop: Header=BB6_3265 Depth=4
	s_or_b32 exec_lo, exec_lo, s35
	s_and_saveexec_b32 s34, s13
	s_cbranch_execz .LBB6_4562
.LBB6_4561:                             ;   in Loop: Header=BB6_3265 Depth=4
	v_and_b32_e32 v27, 3, v12
	v_bfe_u32 v38, v12, 2, 5
	v_lshlrev_b32_e32 v39, 24, v12
	s_delay_alu instid0(VALU_DEP_3) | instskip(NEXT) | instid1(VALU_DEP_3)
	v_clz_i32_u32_e32 v36, v27
	v_cmp_eq_u32_e32 vcc_lo, 0, v38
	s_delay_alu instid0(VALU_DEP_2) | instskip(NEXT) | instid1(VALU_DEP_1)
	v_min_u32_e32 v36, 32, v36
	v_subrev_nc_u32_e32 v37, 29, v36
	v_sub_nc_u32_e32 v36, 30, v36
	s_delay_alu instid0(VALU_DEP_2) | instskip(NEXT) | instid1(VALU_DEP_1)
	v_lshlrev_b32_e32 v37, v37, v12
	v_dual_cndmask_b32 v36, v38, v36 :: v_dual_and_b32 v37, 3, v37
	s_delay_alu instid0(VALU_DEP_1) | instskip(NEXT) | instid1(VALU_DEP_2)
	v_lshl_add_u32 v36, v36, 23, 0x37800000
	v_cndmask_b32_e32 v27, v27, v37, vcc_lo
	v_and_b32_e32 v37, 0x80000000, v39
	s_delay_alu instid0(VALU_DEP_2) | instskip(NEXT) | instid1(VALU_DEP_1)
	v_lshlrev_b32_e32 v27, 21, v27
	v_or3_b32 v27, v37, v36, v27
.LBB6_4562:                             ;   in Loop: Header=BB6_3265 Depth=4
	s_or_b32 exec_lo, exec_lo, s34
	s_delay_alu instid0(VALU_DEP_1) | instskip(SKIP_2) | instid1(VALU_DEP_2)
	v_add_f32_e32 v26, v26, v27
	v_mov_b32_e32 v78, 0x80
	s_mov_b32 s34, exec_lo
	v_and_b32_e32 v27, 0x7f800000, v26
	s_delay_alu instid0(VALU_DEP_1)
	v_cmpx_ne_u32_e32 0x7f800000, v27
	s_cbranch_execz .LBB6_4570
; %bb.4563:                             ;   in Loop: Header=BB6_3265 Depth=4
	v_mov_b32_e32 v78, 0
	s_mov_b32 s35, exec_lo
	v_cmpx_ne_u32_e32 0, v26
	s_cbranch_execz .LBB6_4569
; %bb.4564:                             ;   in Loop: Header=BB6_3265 Depth=4
	v_bfe_u32 v27, v26, 23, 8
	s_delay_alu instid0(VALU_DEP_1) | instskip(SKIP_1) | instid1(VALU_DEP_2)
	v_sub_nc_u32_e32 v37, 0x70, v27
	v_cmp_gt_u32_e32 vcc_lo, 0x71, v27
	v_dual_cndmask_b32 v37, 0, v37 :: v_dual_and_b32 v36, 0x7fffff, v26
	s_delay_alu instid0(VALU_DEP_1) | instskip(SKIP_2) | instid1(VALU_DEP_4)
	v_or_b32_e32 v38, 0x800000, v36
	v_cmp_eq_u32_e32 vcc_lo, 0, v27
	v_add_nc_u32_e32 v27, 0xffffff91, v27
	v_cndmask_b32_e64 v37, v37, 0x6f, vcc_lo
	s_delay_alu instid0(VALU_DEP_4) | instskip(NEXT) | instid1(VALU_DEP_3)
	v_cndmask_b32_e32 v36, v38, v36, vcc_lo
	v_cndmask_b32_e64 v27, v27, 0xffffff92, vcc_lo
	s_delay_alu instid0(VALU_DEP_3) | instskip(NEXT) | instid1(VALU_DEP_3)
	v_lshl_add_u32 v38, 0x200000, v37, -1
	v_lshrrev_b32_e32 v39, v37, v36
	v_lshlrev_b32_e64 v49, v37, 0x100000
	s_delay_alu instid0(VALU_DEP_4) | instskip(NEXT) | instid1(VALU_DEP_4)
	v_add_nc_u32_e32 v37, v37, v27
	v_and_b32_e32 v36, v38, v36
	s_delay_alu instid0(VALU_DEP_4) | instskip(NEXT) | instid1(VALU_DEP_2)
	v_bfe_u32 v48, v39, 21, 1
	v_cmp_eq_u32_e64 s13, v36, v49
	s_delay_alu instid0(VALU_DEP_2) | instskip(NEXT) | instid1(VALU_DEP_1)
	v_add_nc_u32_e32 v38, -1, v48
	v_cndmask_b32_e64 v36, 0, v38, s13
	v_lshrrev_b32_e32 v38, 23, v39
	s_mov_b32 s13, exec_lo
	s_delay_alu instid0(VALU_DEP_2) | instskip(NEXT) | instid1(VALU_DEP_2)
	v_add_nc_u32_e32 v36, v36, v39
	v_xor_b32_e32 v38, 1, v38
	s_delay_alu instid0(VALU_DEP_2) | instskip(NEXT) | instid1(VALU_DEP_1)
	v_and_b32_e32 v27, 0x1fffff, v36
	v_add_nc_u32_e32 v36, v27, v39
                                        ; implicit-def: $vgpr27
	s_delay_alu instid0(VALU_DEP_3)
	v_cmpx_ne_u32_e64 v37, v38
	s_xor_b32 s13, exec_lo, s13
; %bb.4565:                             ;   in Loop: Header=BB6_3265 Depth=4
	s_delay_alu instid0(VALU_DEP_2) | instskip(SKIP_2) | instid1(VALU_DEP_2)
	v_cmp_lt_u32_e32 vcc_lo, 0xffffff, v36
	v_sub_nc_u32_e32 v27, v37, v38
	v_cndmask_b32_e64 v37, 0, 1, vcc_lo
	v_add_co_ci_u32_e32 v27, vcc_lo, 0, v27, vcc_lo
	s_delay_alu instid0(VALU_DEP_2)
	v_lshrrev_b32_e32 v36, v37, v36
; %bb.4566:                             ;   in Loop: Header=BB6_3265 Depth=4
	s_and_not1_saveexec_b32 s13, s13
; %bb.4567:                             ;   in Loop: Header=BB6_3265 Depth=4
	s_delay_alu instid0(VALU_DEP_1)
	v_bfe_u32 v27, v36, 23, 1
; %bb.4568:                             ;   in Loop: Header=BB6_3265 Depth=4
	s_or_b32 exec_lo, exec_lo, s13
	v_lshrrev_b32_e32 v36, 21, v36
	s_delay_alu instid0(VALU_DEP_2) | instskip(SKIP_2) | instid1(VALU_DEP_4)
	v_cmp_gt_i32_e32 vcc_lo, 32, v27
	v_lshrrev_b32_e32 v26, 24, v26
	v_min_i32_e32 v37, 31, v27
	v_cndmask_b32_e32 v36, 3, v36, vcc_lo
	s_delay_alu instid0(VALU_DEP_3) | instskip(NEXT) | instid1(VALU_DEP_3)
	v_and_b32_e32 v26, 0x80, v26
	v_lshlrev_b32_e32 v37, 2, v37
	s_delay_alu instid0(VALU_DEP_3) | instskip(SKIP_1) | instid1(VALU_DEP_2)
	v_and_b32_e32 v38, 3, v36
	v_or_b32_e32 v27, v27, v36
	v_or3_b32 v26, v37, v26, v38
	s_delay_alu instid0(VALU_DEP_2) | instskip(NEXT) | instid1(VALU_DEP_2)
	v_cmp_ne_u32_e32 vcc_lo, 0, v27
	v_cndmask_b32_e32 v78, 0, v26, vcc_lo
.LBB6_4569:                             ;   in Loop: Header=BB6_3265 Depth=4
	s_or_b32 exec_lo, exec_lo, s35
.LBB6_4570:                             ;   in Loop: Header=BB6_3265 Depth=4
	s_delay_alu instid0(SALU_CYCLE_1) | instskip(SKIP_3) | instid1(VALU_DEP_1)
	s_or_b32 exec_lo, exec_lo, s34
	v_and_b32_e32 v27, 0xff, v76
	s_mov_b32 s13, 0
	s_mov_b32 s35, exec_lo
                                        ; implicit-def: $sgpr34
	v_cmpx_lt_i16_e32 0x7f, v27
	s_xor_b32 s35, exec_lo, s35
	s_cbranch_execnz .LBB6_5584
; %bb.4571:                             ;   in Loop: Header=BB6_3265 Depth=4
	s_or_saveexec_b32 s35, s35
	v_mov_b32_e32 v26, s34
	s_xor_b32 exec_lo, exec_lo, s35
	s_cbranch_execnz .LBB6_5587
.LBB6_4572:                             ;   in Loop: Header=BB6_3265 Depth=4
	s_or_b32 exec_lo, exec_lo, s35
	s_and_saveexec_b32 s34, s13
	s_cbranch_execz .LBB6_4574
.LBB6_4573:                             ;   in Loop: Header=BB6_3265 Depth=4
	v_bfe_u32 v37, v76, 2, 5
	v_lshlrev_b32_e32 v38, 24, v76
	s_delay_alu instid0(VALU_DEP_2) | instskip(SKIP_1) | instid1(VALU_DEP_1)
	v_cmp_eq_u32_e32 vcc_lo, 0, v37
	v_and_b32_e32 v26, 3, v76
	v_clz_i32_u32_e32 v27, v26
	s_delay_alu instid0(VALU_DEP_1) | instskip(NEXT) | instid1(VALU_DEP_1)
	v_min_u32_e32 v27, 32, v27
	v_subrev_nc_u32_e32 v36, 29, v27
	v_sub_nc_u32_e32 v27, 30, v27
	s_delay_alu instid0(VALU_DEP_1) | instskip(NEXT) | instid1(VALU_DEP_1)
	v_dual_cndmask_b32 v27, v37, v27 :: v_dual_lshlrev_b32 v36, v36, v76
	v_and_b32_e32 v36, 3, v36
	s_delay_alu instid0(VALU_DEP_2) | instskip(NEXT) | instid1(VALU_DEP_2)
	v_lshl_add_u32 v27, v27, 23, 0x37800000
	v_cndmask_b32_e32 v26, v26, v36, vcc_lo
	v_and_b32_e32 v36, 0x80000000, v38
	s_delay_alu instid0(VALU_DEP_2) | instskip(NEXT) | instid1(VALU_DEP_1)
	v_lshlrev_b32_e32 v26, 21, v26
	v_or3_b32 v26, v36, v27, v26
.LBB6_4574:                             ;   in Loop: Header=BB6_3265 Depth=4
	s_or_b32 exec_lo, exec_lo, s34
	v_lshrrev_b16 v27, 8, v12
	s_mov_b32 s13, 0
	s_mov_b32 s35, exec_lo
                                        ; implicit-def: $sgpr34
	s_delay_alu instid0(VALU_DEP_1)
	v_cmpx_lt_i16_e32 0x7f, v27
	s_xor_b32 s35, exec_lo, s35
	s_cbranch_execnz .LBB6_5588
; %bb.4575:                             ;   in Loop: Header=BB6_3265 Depth=4
	s_or_saveexec_b32 s35, s35
	v_mov_b32_e32 v36, s34
	s_xor_b32 exec_lo, exec_lo, s35
	s_cbranch_execnz .LBB6_5591
.LBB6_4576:                             ;   in Loop: Header=BB6_3265 Depth=4
	s_or_b32 exec_lo, exec_lo, s35
	s_and_saveexec_b32 s34, s13
	s_cbranch_execz .LBB6_4578
.LBB6_4577:                             ;   in Loop: Header=BB6_3265 Depth=4
	v_and_b32_e32 v36, 0xffff, v27
	v_lshlrev_b32_e32 v27, 24, v27
	s_delay_alu instid0(VALU_DEP_2) | instskip(NEXT) | instid1(VALU_DEP_2)
	v_and_b32_e32 v37, 3, v36
	v_and_b32_e32 v27, 0x80000000, v27
	s_delay_alu instid0(VALU_DEP_2) | instskip(NEXT) | instid1(VALU_DEP_1)
	v_clz_i32_u32_e32 v38, v37
	v_min_u32_e32 v38, 32, v38
	s_delay_alu instid0(VALU_DEP_1) | instskip(SKIP_1) | instid1(VALU_DEP_2)
	v_subrev_nc_u32_e32 v39, 29, v38
	v_sub_nc_u32_e32 v38, 30, v38
	v_lshlrev_b32_e32 v39, v39, v36
	v_bfe_u32 v36, v36, 2, 5
	s_delay_alu instid0(VALU_DEP_2) | instskip(NEXT) | instid1(VALU_DEP_2)
	v_and_b32_e32 v39, 3, v39
	v_cmp_eq_u32_e32 vcc_lo, 0, v36
	s_delay_alu instid0(VALU_DEP_2) | instskip(NEXT) | instid1(VALU_DEP_1)
	v_dual_cndmask_b32 v36, v36, v38 :: v_dual_cndmask_b32 v37, v37, v39
	v_lshl_add_u32 v36, v36, 23, 0x37800000
	s_delay_alu instid0(VALU_DEP_2) | instskip(NEXT) | instid1(VALU_DEP_1)
	v_lshlrev_b32_e32 v37, 21, v37
	v_or3_b32 v36, v27, v36, v37
.LBB6_4578:                             ;   in Loop: Header=BB6_3265 Depth=4
	s_or_b32 exec_lo, exec_lo, s34
	s_delay_alu instid0(VALU_DEP_1) | instskip(SKIP_2) | instid1(VALU_DEP_2)
	v_add_f32_e32 v26, v26, v36
	v_mov_b32_e32 v76, 0x80
	s_mov_b32 s34, exec_lo
	v_and_b32_e32 v27, 0x7f800000, v26
	s_delay_alu instid0(VALU_DEP_1)
	v_cmpx_ne_u32_e32 0x7f800000, v27
	s_cbranch_execz .LBB6_4586
; %bb.4579:                             ;   in Loop: Header=BB6_3265 Depth=4
	v_mov_b32_e32 v76, 0
	s_mov_b32 s35, exec_lo
	v_cmpx_ne_u32_e32 0, v26
	s_cbranch_execz .LBB6_4585
; %bb.4580:                             ;   in Loop: Header=BB6_3265 Depth=4
	v_bfe_u32 v27, v26, 23, 8
	s_delay_alu instid0(VALU_DEP_1) | instskip(SKIP_1) | instid1(VALU_DEP_2)
	v_sub_nc_u32_e32 v37, 0x70, v27
	v_cmp_gt_u32_e32 vcc_lo, 0x71, v27
	v_dual_cndmask_b32 v37, 0, v37 :: v_dual_and_b32 v36, 0x7fffff, v26
	s_delay_alu instid0(VALU_DEP_1) | instskip(SKIP_2) | instid1(VALU_DEP_4)
	v_or_b32_e32 v38, 0x800000, v36
	v_cmp_eq_u32_e32 vcc_lo, 0, v27
	v_add_nc_u32_e32 v27, 0xffffff91, v27
	v_cndmask_b32_e64 v37, v37, 0x6f, vcc_lo
	s_delay_alu instid0(VALU_DEP_4) | instskip(NEXT) | instid1(VALU_DEP_3)
	v_cndmask_b32_e32 v36, v38, v36, vcc_lo
	v_cndmask_b32_e64 v27, v27, 0xffffff92, vcc_lo
	s_delay_alu instid0(VALU_DEP_3) | instskip(NEXT) | instid1(VALU_DEP_3)
	v_lshl_add_u32 v38, 0x200000, v37, -1
	v_lshrrev_b32_e32 v39, v37, v36
	v_lshlrev_b32_e64 v49, v37, 0x100000
	s_delay_alu instid0(VALU_DEP_4) | instskip(NEXT) | instid1(VALU_DEP_4)
	v_add_nc_u32_e32 v37, v37, v27
	v_and_b32_e32 v36, v38, v36
	s_delay_alu instid0(VALU_DEP_4) | instskip(NEXT) | instid1(VALU_DEP_2)
	v_bfe_u32 v48, v39, 21, 1
	v_cmp_eq_u32_e64 s13, v36, v49
	s_delay_alu instid0(VALU_DEP_2) | instskip(NEXT) | instid1(VALU_DEP_1)
	v_add_nc_u32_e32 v38, -1, v48
	v_cndmask_b32_e64 v36, 0, v38, s13
	v_lshrrev_b32_e32 v38, 23, v39
	s_mov_b32 s13, exec_lo
	s_delay_alu instid0(VALU_DEP_2) | instskip(NEXT) | instid1(VALU_DEP_2)
	v_add_nc_u32_e32 v36, v36, v39
	v_xor_b32_e32 v38, 1, v38
	s_delay_alu instid0(VALU_DEP_2) | instskip(NEXT) | instid1(VALU_DEP_1)
	v_and_b32_e32 v27, 0x1fffff, v36
	v_add_nc_u32_e32 v36, v27, v39
                                        ; implicit-def: $vgpr27
	s_delay_alu instid0(VALU_DEP_3)
	v_cmpx_ne_u32_e64 v37, v38
	s_xor_b32 s13, exec_lo, s13
; %bb.4581:                             ;   in Loop: Header=BB6_3265 Depth=4
	s_delay_alu instid0(VALU_DEP_2) | instskip(SKIP_2) | instid1(VALU_DEP_2)
	v_cmp_lt_u32_e32 vcc_lo, 0xffffff, v36
	v_sub_nc_u32_e32 v27, v37, v38
	v_cndmask_b32_e64 v37, 0, 1, vcc_lo
	v_add_co_ci_u32_e32 v27, vcc_lo, 0, v27, vcc_lo
	s_delay_alu instid0(VALU_DEP_2)
	v_lshrrev_b32_e32 v36, v37, v36
; %bb.4582:                             ;   in Loop: Header=BB6_3265 Depth=4
	s_and_not1_saveexec_b32 s13, s13
; %bb.4583:                             ;   in Loop: Header=BB6_3265 Depth=4
	s_delay_alu instid0(VALU_DEP_1)
	v_bfe_u32 v27, v36, 23, 1
; %bb.4584:                             ;   in Loop: Header=BB6_3265 Depth=4
	s_or_b32 exec_lo, exec_lo, s13
	v_lshrrev_b32_e32 v36, 21, v36
	s_delay_alu instid0(VALU_DEP_2) | instskip(SKIP_2) | instid1(VALU_DEP_4)
	v_cmp_gt_i32_e32 vcc_lo, 32, v27
	v_lshrrev_b32_e32 v26, 24, v26
	v_min_i32_e32 v37, 31, v27
	v_cndmask_b32_e32 v36, 3, v36, vcc_lo
	s_delay_alu instid0(VALU_DEP_3) | instskip(NEXT) | instid1(VALU_DEP_3)
	v_and_b32_e32 v26, 0x80, v26
	v_lshlrev_b32_e32 v37, 2, v37
	s_delay_alu instid0(VALU_DEP_3) | instskip(SKIP_1) | instid1(VALU_DEP_2)
	v_and_b32_e32 v38, 3, v36
	v_or_b32_e32 v27, v27, v36
	v_or3_b32 v26, v37, v26, v38
	s_delay_alu instid0(VALU_DEP_2) | instskip(NEXT) | instid1(VALU_DEP_2)
	v_cmp_ne_u32_e32 vcc_lo, 0, v27
	v_cndmask_b32_e32 v76, 0, v26, vcc_lo
.LBB6_4585:                             ;   in Loop: Header=BB6_3265 Depth=4
	s_or_b32 exec_lo, exec_lo, s35
.LBB6_4586:                             ;   in Loop: Header=BB6_3265 Depth=4
	s_delay_alu instid0(SALU_CYCLE_1) | instskip(SKIP_3) | instid1(VALU_DEP_1)
	s_or_b32 exec_lo, exec_lo, s34
	v_and_b32_e32 v27, 0xff, v74
	s_mov_b32 s13, 0
	s_mov_b32 s35, exec_lo
                                        ; implicit-def: $sgpr34
	v_cmpx_lt_i16_e32 0x7f, v27
	s_xor_b32 s35, exec_lo, s35
	s_cbranch_execnz .LBB6_5592
; %bb.4587:                             ;   in Loop: Header=BB6_3265 Depth=4
	s_or_saveexec_b32 s35, s35
	v_mov_b32_e32 v26, s34
	s_xor_b32 exec_lo, exec_lo, s35
	s_cbranch_execnz .LBB6_5595
.LBB6_4588:                             ;   in Loop: Header=BB6_3265 Depth=4
	s_or_b32 exec_lo, exec_lo, s35
	s_and_saveexec_b32 s34, s13
	s_cbranch_execz .LBB6_4590
.LBB6_4589:                             ;   in Loop: Header=BB6_3265 Depth=4
	v_bfe_u32 v37, v74, 2, 5
	v_lshlrev_b32_e32 v38, 24, v74
	s_delay_alu instid0(VALU_DEP_2) | instskip(SKIP_1) | instid1(VALU_DEP_1)
	v_cmp_eq_u32_e32 vcc_lo, 0, v37
	v_and_b32_e32 v26, 3, v74
	v_clz_i32_u32_e32 v27, v26
	s_delay_alu instid0(VALU_DEP_1) | instskip(NEXT) | instid1(VALU_DEP_1)
	v_min_u32_e32 v27, 32, v27
	v_subrev_nc_u32_e32 v36, 29, v27
	v_sub_nc_u32_e32 v27, 30, v27
	s_delay_alu instid0(VALU_DEP_1) | instskip(NEXT) | instid1(VALU_DEP_1)
	v_dual_cndmask_b32 v27, v37, v27 :: v_dual_lshlrev_b32 v36, v36, v74
	v_and_b32_e32 v36, 3, v36
	s_delay_alu instid0(VALU_DEP_2) | instskip(NEXT) | instid1(VALU_DEP_2)
	v_lshl_add_u32 v27, v27, 23, 0x37800000
	v_cndmask_b32_e32 v26, v26, v36, vcc_lo
	v_and_b32_e32 v36, 0x80000000, v38
	s_delay_alu instid0(VALU_DEP_2) | instskip(NEXT) | instid1(VALU_DEP_1)
	v_lshlrev_b32_e32 v26, 21, v26
	v_or3_b32 v26, v36, v27, v26
.LBB6_4590:                             ;   in Loop: Header=BB6_3265 Depth=4
	s_or_b32 exec_lo, exec_lo, s34
	v_lshrrev_b32_e32 v27, 16, v12
	s_mov_b32 s13, 0
	s_mov_b32 s35, exec_lo
                                        ; implicit-def: $sgpr34
	s_delay_alu instid0(VALU_DEP_1) | instskip(NEXT) | instid1(VALU_DEP_1)
	v_and_b32_e32 v37, 0xff, v27
	v_cmpx_lt_i16_e32 0x7f, v37
	s_xor_b32 s35, exec_lo, s35
	s_cbranch_execnz .LBB6_5596
; %bb.4591:                             ;   in Loop: Header=BB6_3265 Depth=4
	s_or_saveexec_b32 s35, s35
	v_mov_b32_e32 v36, s34
	s_xor_b32 exec_lo, exec_lo, s35
	s_cbranch_execnz .LBB6_5599
.LBB6_4592:                             ;   in Loop: Header=BB6_3265 Depth=4
	s_or_b32 exec_lo, exec_lo, s35
	s_and_saveexec_b32 s34, s13
	s_cbranch_execz .LBB6_4594
.LBB6_4593:                             ;   in Loop: Header=BB6_3265 Depth=4
	v_bfe_u32 v36, v12, 16, 2
	v_lshlrev_b32_e32 v39, 8, v12
	s_delay_alu instid0(VALU_DEP_2) | instskip(NEXT) | instid1(VALU_DEP_1)
	v_clz_i32_u32_e32 v37, v36
	v_min_u32_e32 v37, 32, v37
	s_delay_alu instid0(VALU_DEP_1) | instskip(SKIP_1) | instid1(VALU_DEP_2)
	v_subrev_nc_u32_e32 v38, 29, v37
	v_sub_nc_u32_e32 v37, 30, v37
	v_lshlrev_b32_e32 v27, v38, v27
	v_bfe_u32 v38, v12, 18, 5
	s_delay_alu instid0(VALU_DEP_2) | instskip(NEXT) | instid1(VALU_DEP_2)
	v_and_b32_e32 v27, 3, v27
	v_cmp_eq_u32_e32 vcc_lo, 0, v38
	v_cndmask_b32_e32 v37, v38, v37, vcc_lo
	s_delay_alu instid0(VALU_DEP_3) | instskip(SKIP_1) | instid1(VALU_DEP_3)
	v_cndmask_b32_e32 v27, v36, v27, vcc_lo
	v_and_b32_e32 v36, 0x80000000, v39
	v_lshl_add_u32 v37, v37, 23, 0x37800000
	s_delay_alu instid0(VALU_DEP_3) | instskip(NEXT) | instid1(VALU_DEP_1)
	v_lshlrev_b32_e32 v27, 21, v27
	v_or3_b32 v36, v36, v37, v27
.LBB6_4594:                             ;   in Loop: Header=BB6_3265 Depth=4
	s_or_b32 exec_lo, exec_lo, s34
	s_delay_alu instid0(VALU_DEP_1) | instskip(SKIP_2) | instid1(VALU_DEP_2)
	v_add_f32_e32 v26, v26, v36
	v_mov_b32_e32 v74, 0x80
	s_mov_b32 s34, exec_lo
	v_and_b32_e32 v27, 0x7f800000, v26
	s_delay_alu instid0(VALU_DEP_1)
	v_cmpx_ne_u32_e32 0x7f800000, v27
	s_cbranch_execz .LBB6_4602
; %bb.4595:                             ;   in Loop: Header=BB6_3265 Depth=4
	v_mov_b32_e32 v74, 0
	s_mov_b32 s35, exec_lo
	v_cmpx_ne_u32_e32 0, v26
	s_cbranch_execz .LBB6_4601
; %bb.4596:                             ;   in Loop: Header=BB6_3265 Depth=4
	v_bfe_u32 v27, v26, 23, 8
	s_delay_alu instid0(VALU_DEP_1) | instskip(SKIP_1) | instid1(VALU_DEP_2)
	v_sub_nc_u32_e32 v37, 0x70, v27
	v_cmp_gt_u32_e32 vcc_lo, 0x71, v27
	v_dual_cndmask_b32 v37, 0, v37 :: v_dual_and_b32 v36, 0x7fffff, v26
	s_delay_alu instid0(VALU_DEP_1) | instskip(SKIP_2) | instid1(VALU_DEP_4)
	v_or_b32_e32 v38, 0x800000, v36
	v_cmp_eq_u32_e32 vcc_lo, 0, v27
	v_add_nc_u32_e32 v27, 0xffffff91, v27
	v_cndmask_b32_e64 v37, v37, 0x6f, vcc_lo
	s_delay_alu instid0(VALU_DEP_4) | instskip(NEXT) | instid1(VALU_DEP_3)
	v_cndmask_b32_e32 v36, v38, v36, vcc_lo
	v_cndmask_b32_e64 v27, v27, 0xffffff92, vcc_lo
	s_delay_alu instid0(VALU_DEP_3) | instskip(NEXT) | instid1(VALU_DEP_3)
	v_lshl_add_u32 v38, 0x200000, v37, -1
	v_lshrrev_b32_e32 v39, v37, v36
	v_lshlrev_b32_e64 v49, v37, 0x100000
	s_delay_alu instid0(VALU_DEP_4) | instskip(NEXT) | instid1(VALU_DEP_4)
	v_add_nc_u32_e32 v37, v37, v27
	v_and_b32_e32 v36, v38, v36
	s_delay_alu instid0(VALU_DEP_4) | instskip(NEXT) | instid1(VALU_DEP_2)
	v_bfe_u32 v48, v39, 21, 1
	v_cmp_eq_u32_e64 s13, v36, v49
	s_delay_alu instid0(VALU_DEP_2) | instskip(NEXT) | instid1(VALU_DEP_1)
	v_add_nc_u32_e32 v38, -1, v48
	v_cndmask_b32_e64 v36, 0, v38, s13
	v_lshrrev_b32_e32 v38, 23, v39
	s_mov_b32 s13, exec_lo
	s_delay_alu instid0(VALU_DEP_2) | instskip(NEXT) | instid1(VALU_DEP_2)
	v_add_nc_u32_e32 v36, v36, v39
	v_xor_b32_e32 v38, 1, v38
	s_delay_alu instid0(VALU_DEP_2) | instskip(NEXT) | instid1(VALU_DEP_1)
	v_and_b32_e32 v27, 0x1fffff, v36
	v_add_nc_u32_e32 v36, v27, v39
                                        ; implicit-def: $vgpr27
	s_delay_alu instid0(VALU_DEP_3)
	v_cmpx_ne_u32_e64 v37, v38
	s_xor_b32 s13, exec_lo, s13
; %bb.4597:                             ;   in Loop: Header=BB6_3265 Depth=4
	s_delay_alu instid0(VALU_DEP_2) | instskip(SKIP_2) | instid1(VALU_DEP_2)
	v_cmp_lt_u32_e32 vcc_lo, 0xffffff, v36
	v_sub_nc_u32_e32 v27, v37, v38
	v_cndmask_b32_e64 v37, 0, 1, vcc_lo
	v_add_co_ci_u32_e32 v27, vcc_lo, 0, v27, vcc_lo
	s_delay_alu instid0(VALU_DEP_2)
	v_lshrrev_b32_e32 v36, v37, v36
; %bb.4598:                             ;   in Loop: Header=BB6_3265 Depth=4
	s_and_not1_saveexec_b32 s13, s13
; %bb.4599:                             ;   in Loop: Header=BB6_3265 Depth=4
	s_delay_alu instid0(VALU_DEP_1)
	v_bfe_u32 v27, v36, 23, 1
; %bb.4600:                             ;   in Loop: Header=BB6_3265 Depth=4
	s_or_b32 exec_lo, exec_lo, s13
	v_lshrrev_b32_e32 v36, 21, v36
	s_delay_alu instid0(VALU_DEP_2) | instskip(SKIP_2) | instid1(VALU_DEP_4)
	v_cmp_gt_i32_e32 vcc_lo, 32, v27
	v_lshrrev_b32_e32 v26, 24, v26
	v_min_i32_e32 v37, 31, v27
	v_cndmask_b32_e32 v36, 3, v36, vcc_lo
	s_delay_alu instid0(VALU_DEP_3) | instskip(NEXT) | instid1(VALU_DEP_3)
	v_and_b32_e32 v26, 0x80, v26
	v_lshlrev_b32_e32 v37, 2, v37
	s_delay_alu instid0(VALU_DEP_3) | instskip(SKIP_1) | instid1(VALU_DEP_2)
	v_and_b32_e32 v38, 3, v36
	v_or_b32_e32 v27, v27, v36
	v_or3_b32 v26, v37, v26, v38
	s_delay_alu instid0(VALU_DEP_2) | instskip(NEXT) | instid1(VALU_DEP_2)
	v_cmp_ne_u32_e32 vcc_lo, 0, v27
	v_cndmask_b32_e32 v74, 0, v26, vcc_lo
.LBB6_4601:                             ;   in Loop: Header=BB6_3265 Depth=4
	s_or_b32 exec_lo, exec_lo, s35
.LBB6_4602:                             ;   in Loop: Header=BB6_3265 Depth=4
	s_delay_alu instid0(SALU_CYCLE_1) | instskip(SKIP_3) | instid1(VALU_DEP_1)
	s_or_b32 exec_lo, exec_lo, s34
	v_and_b32_e32 v27, 0xff, v72
	s_mov_b32 s13, 0
	s_mov_b32 s35, exec_lo
                                        ; implicit-def: $sgpr34
	v_cmpx_lt_i16_e32 0x7f, v27
	s_xor_b32 s35, exec_lo, s35
	s_cbranch_execnz .LBB6_5600
; %bb.4603:                             ;   in Loop: Header=BB6_3265 Depth=4
	s_or_saveexec_b32 s35, s35
	v_mov_b32_e32 v26, s34
	s_xor_b32 exec_lo, exec_lo, s35
	s_cbranch_execnz .LBB6_5603
.LBB6_4604:                             ;   in Loop: Header=BB6_3265 Depth=4
	s_or_b32 exec_lo, exec_lo, s35
	s_and_saveexec_b32 s34, s13
	s_cbranch_execz .LBB6_4606
.LBB6_4605:                             ;   in Loop: Header=BB6_3265 Depth=4
	v_lshlrev_b32_e32 v26, 8, v72
	s_delay_alu instid0(VALU_DEP_1) | instskip(SKIP_1) | instid1(VALU_DEP_2)
	v_and_b32_e32 v36, 0xff00, v26
	v_bfe_u32 v26, v26, 10, 5
	v_bfe_u32 v37, v36, 8, 2
	s_delay_alu instid0(VALU_DEP_2) | instskip(SKIP_1) | instid1(VALU_DEP_3)
	v_cmp_eq_u32_e32 vcc_lo, 0, v26
	v_lshlrev_b32_e32 v36, 16, v36
	v_clz_i32_u32_e32 v38, v37
	s_delay_alu instid0(VALU_DEP_2) | instskip(NEXT) | instid1(VALU_DEP_2)
	v_and_b32_e32 v36, 0x80000000, v36
	v_min_u32_e32 v38, 32, v38
	s_delay_alu instid0(VALU_DEP_1) | instskip(SKIP_1) | instid1(VALU_DEP_1)
	v_subrev_nc_u32_e32 v39, 29, v38
	v_sub_nc_u32_e32 v38, 30, v38
	v_dual_cndmask_b32 v26, v26, v38 :: v_dual_lshlrev_b32 v27, v39, v27
	s_delay_alu instid0(VALU_DEP_1) | instskip(NEXT) | instid1(VALU_DEP_2)
	v_and_b32_e32 v27, 3, v27
	v_lshl_add_u32 v26, v26, 23, 0x37800000
	s_delay_alu instid0(VALU_DEP_2) | instskip(NEXT) | instid1(VALU_DEP_1)
	v_cndmask_b32_e32 v27, v37, v27, vcc_lo
	v_lshlrev_b32_e32 v27, 21, v27
	s_delay_alu instid0(VALU_DEP_1)
	v_or3_b32 v26, v36, v26, v27
.LBB6_4606:                             ;   in Loop: Header=BB6_3265 Depth=4
	s_or_b32 exec_lo, exec_lo, s34
	v_lshrrev_b32_e32 v27, 24, v12
	s_mov_b32 s13, 0
	s_mov_b32 s35, exec_lo
                                        ; implicit-def: $sgpr34
	s_delay_alu instid0(VALU_DEP_1)
	v_cmpx_lt_i16_e32 0x7f, v27
	s_xor_b32 s35, exec_lo, s35
	s_cbranch_execnz .LBB6_5604
; %bb.4607:                             ;   in Loop: Header=BB6_3265 Depth=4
	s_or_saveexec_b32 s35, s35
	v_mov_b32_e32 v36, s34
	s_xor_b32 exec_lo, exec_lo, s35
	s_cbranch_execnz .LBB6_5607
.LBB6_4608:                             ;   in Loop: Header=BB6_3265 Depth=4
	s_or_b32 exec_lo, exec_lo, s35
	s_and_saveexec_b32 s34, s13
	s_cbranch_execz .LBB6_4610
.LBB6_4609:                             ;   in Loop: Header=BB6_3265 Depth=4
	v_bfe_u32 v36, v12, 24, 2
	s_delay_alu instid0(VALU_DEP_1) | instskip(NEXT) | instid1(VALU_DEP_1)
	v_clz_i32_u32_e32 v37, v36
	v_min_u32_e32 v37, 32, v37
	s_delay_alu instid0(VALU_DEP_1) | instskip(SKIP_1) | instid1(VALU_DEP_2)
	v_subrev_nc_u32_e32 v38, 29, v37
	v_sub_nc_u32_e32 v37, 30, v37
	v_lshlrev_b32_e32 v27, v38, v27
	v_bfe_u32 v38, v12, 26, 5
	v_and_b32_e32 v12, 0x80000000, v12
	s_delay_alu instid0(VALU_DEP_3) | instskip(NEXT) | instid1(VALU_DEP_3)
	v_and_b32_e32 v27, 3, v27
	v_cmp_eq_u32_e32 vcc_lo, 0, v38
	v_cndmask_b32_e32 v37, v38, v37, vcc_lo
	s_delay_alu instid0(VALU_DEP_3) | instskip(NEXT) | instid1(VALU_DEP_2)
	v_cndmask_b32_e32 v27, v36, v27, vcc_lo
	v_lshl_add_u32 v36, v37, 23, 0x37800000
	s_delay_alu instid0(VALU_DEP_2) | instskip(NEXT) | instid1(VALU_DEP_1)
	v_lshlrev_b32_e32 v27, 21, v27
	v_or3_b32 v36, v12, v36, v27
.LBB6_4610:                             ;   in Loop: Header=BB6_3265 Depth=4
	s_or_b32 exec_lo, exec_lo, s34
	s_delay_alu instid0(VALU_DEP_1) | instskip(NEXT) | instid1(VALU_DEP_1)
	v_add_f32_e32 v26, v26, v36
	v_and_b32_e32 v12, 0x7f800000, v26
	s_delay_alu instid0(VALU_DEP_1)
	v_cmp_ne_u32_e32 vcc_lo, 0x7f800000, v12
	v_mov_b32_e32 v12, 0x80
	s_and_saveexec_b32 s34, vcc_lo
	s_cbranch_execz .LBB6_4618
; %bb.4611:                             ;   in Loop: Header=BB6_3265 Depth=4
	v_mov_b32_e32 v12, 0
	s_mov_b32 s35, exec_lo
	v_cmpx_ne_u32_e32 0, v26
	s_cbranch_execz .LBB6_4617
; %bb.4612:                             ;   in Loop: Header=BB6_3265 Depth=4
	v_bfe_u32 v12, v26, 23, 8
	s_delay_alu instid0(VALU_DEP_1) | instskip(SKIP_1) | instid1(VALU_DEP_2)
	v_sub_nc_u32_e32 v36, 0x70, v12
	v_cmp_gt_u32_e32 vcc_lo, 0x71, v12
	v_dual_cndmask_b32 v36, 0, v36 :: v_dual_and_b32 v27, 0x7fffff, v26
	s_delay_alu instid0(VALU_DEP_1) | instskip(SKIP_2) | instid1(VALU_DEP_4)
	v_or_b32_e32 v37, 0x800000, v27
	v_cmp_eq_u32_e32 vcc_lo, 0, v12
	v_add_nc_u32_e32 v12, 0xffffff91, v12
	v_cndmask_b32_e64 v36, v36, 0x6f, vcc_lo
	s_delay_alu instid0(VALU_DEP_4) | instskip(NEXT) | instid1(VALU_DEP_3)
	v_cndmask_b32_e32 v27, v37, v27, vcc_lo
	v_cndmask_b32_e64 v12, v12, 0xffffff92, vcc_lo
	s_delay_alu instid0(VALU_DEP_3) | instskip(NEXT) | instid1(VALU_DEP_3)
	v_lshl_add_u32 v37, 0x200000, v36, -1
	v_lshrrev_b32_e32 v38, v36, v27
	v_lshlrev_b32_e64 v48, v36, 0x100000
	s_delay_alu instid0(VALU_DEP_4) | instskip(NEXT) | instid1(VALU_DEP_4)
	v_add_nc_u32_e32 v36, v36, v12
	v_and_b32_e32 v27, v37, v27
	s_delay_alu instid0(VALU_DEP_4) | instskip(NEXT) | instid1(VALU_DEP_2)
	v_bfe_u32 v39, v38, 21, 1
	v_cmp_eq_u32_e64 s13, v27, v48
	s_delay_alu instid0(VALU_DEP_2) | instskip(NEXT) | instid1(VALU_DEP_1)
	v_add_nc_u32_e32 v37, -1, v39
	v_cndmask_b32_e64 v27, 0, v37, s13
	v_lshrrev_b32_e32 v37, 23, v38
	s_mov_b32 s13, exec_lo
	s_delay_alu instid0(VALU_DEP_2) | instskip(NEXT) | instid1(VALU_DEP_2)
	v_add_nc_u32_e32 v27, v27, v38
	v_xor_b32_e32 v37, 1, v37
	s_delay_alu instid0(VALU_DEP_2) | instskip(NEXT) | instid1(VALU_DEP_1)
	v_and_b32_e32 v12, 0x1fffff, v27
	v_add_nc_u32_e32 v27, v12, v38
                                        ; implicit-def: $vgpr12
	s_delay_alu instid0(VALU_DEP_3)
	v_cmpx_ne_u32_e64 v36, v37
	s_xor_b32 s13, exec_lo, s13
; %bb.4613:                             ;   in Loop: Header=BB6_3265 Depth=4
	s_delay_alu instid0(VALU_DEP_2) | instskip(SKIP_2) | instid1(VALU_DEP_2)
	v_cmp_lt_u32_e32 vcc_lo, 0xffffff, v27
	v_sub_nc_u32_e32 v12, v36, v37
	v_cndmask_b32_e64 v36, 0, 1, vcc_lo
	v_add_co_ci_u32_e32 v12, vcc_lo, 0, v12, vcc_lo
	s_delay_alu instid0(VALU_DEP_2)
	v_lshrrev_b32_e32 v27, v36, v27
; %bb.4614:                             ;   in Loop: Header=BB6_3265 Depth=4
	s_and_not1_saveexec_b32 s13, s13
; %bb.4615:                             ;   in Loop: Header=BB6_3265 Depth=4
	s_delay_alu instid0(VALU_DEP_1)
	v_bfe_u32 v12, v27, 23, 1
; %bb.4616:                             ;   in Loop: Header=BB6_3265 Depth=4
	s_or_b32 exec_lo, exec_lo, s13
	v_lshrrev_b32_e32 v27, 21, v27
	s_delay_alu instid0(VALU_DEP_2) | instskip(SKIP_2) | instid1(VALU_DEP_2)
	v_cmp_gt_i32_e32 vcc_lo, 32, v12
	v_lshrrev_b32_e32 v26, 24, v26
	v_min_i32_e32 v36, 31, v12
	v_dual_cndmask_b32 v27, 3, v27 :: v_dual_and_b32 v26, 0x80, v26
	s_delay_alu instid0(VALU_DEP_2) | instskip(NEXT) | instid1(VALU_DEP_2)
	v_lshlrev_b32_e32 v36, 2, v36
	v_or_b32_e32 v12, v12, v27
	s_delay_alu instid0(VALU_DEP_1) | instskip(SKIP_1) | instid1(VALU_DEP_1)
	v_cmp_ne_u32_e32 vcc_lo, 0, v12
	v_and_b32_e32 v37, 3, v27
	v_or3_b32 v26, v36, v26, v37
	s_delay_alu instid0(VALU_DEP_1)
	v_cndmask_b32_e32 v12, 0, v26, vcc_lo
.LBB6_4617:                             ;   in Loop: Header=BB6_3265 Depth=4
	s_or_b32 exec_lo, exec_lo, s35
.LBB6_4618:                             ;   in Loop: Header=BB6_3265 Depth=4
	s_delay_alu instid0(SALU_CYCLE_1) | instskip(SKIP_3) | instid1(VALU_DEP_1)
	s_or_b32 exec_lo, exec_lo, s34
	v_or_b32_e32 v26, v77, v63
	s_mov_b32 s13, 0
	s_mov_b32 s35, exec_lo
                                        ; implicit-def: $sgpr34
	v_and_b32_e32 v36, 0xff, v26
	s_delay_alu instid0(VALU_DEP_1)
	v_cmpx_lt_i16_e32 0x7f, v36
	s_xor_b32 s35, exec_lo, s35
	s_cbranch_execnz .LBB6_5608
; %bb.4619:                             ;   in Loop: Header=BB6_3265 Depth=4
	s_or_saveexec_b32 s35, s35
	v_mov_b32_e32 v27, s34
	s_xor_b32 exec_lo, exec_lo, s35
	s_cbranch_execnz .LBB6_5611
.LBB6_4620:                             ;   in Loop: Header=BB6_3265 Depth=4
	s_or_b32 exec_lo, exec_lo, s35
	s_and_saveexec_b32 s34, s13
	s_cbranch_execz .LBB6_4622
.LBB6_4621:                             ;   in Loop: Header=BB6_3265 Depth=4
	v_bfe_u32 v38, v26, 2, 5
	v_lshlrev_b32_e32 v39, 24, v26
	s_delay_alu instid0(VALU_DEP_2) | instskip(SKIP_1) | instid1(VALU_DEP_1)
	v_cmp_eq_u32_e32 vcc_lo, 0, v38
	v_and_b32_e32 v27, 3, v26
	v_clz_i32_u32_e32 v36, v27
	s_delay_alu instid0(VALU_DEP_1) | instskip(NEXT) | instid1(VALU_DEP_1)
	v_min_u32_e32 v36, 32, v36
	v_subrev_nc_u32_e32 v37, 29, v36
	v_sub_nc_u32_e32 v36, 30, v36
	s_delay_alu instid0(VALU_DEP_1) | instskip(NEXT) | instid1(VALU_DEP_1)
	v_dual_cndmask_b32 v36, v38, v36 :: v_dual_lshlrev_b32 v37, v37, v26
	v_and_b32_e32 v37, 3, v37
	s_delay_alu instid0(VALU_DEP_2) | instskip(NEXT) | instid1(VALU_DEP_2)
	v_lshl_add_u32 v36, v36, 23, 0x37800000
	v_cndmask_b32_e32 v27, v27, v37, vcc_lo
	v_and_b32_e32 v37, 0x80000000, v39
	s_delay_alu instid0(VALU_DEP_2) | instskip(NEXT) | instid1(VALU_DEP_1)
	v_lshlrev_b32_e32 v27, 21, v27
	v_or3_b32 v27, v37, v36, v27
.LBB6_4622:                             ;   in Loop: Header=BB6_3265 Depth=4
	s_or_b32 exec_lo, exec_lo, s34
	v_and_b32_e32 v37, 0xff, v13
	s_mov_b32 s13, 0
	s_mov_b32 s35, exec_lo
                                        ; implicit-def: $sgpr34
	s_delay_alu instid0(VALU_DEP_1)
	v_cmpx_lt_i16_e32 0x7f, v37
	s_xor_b32 s35, exec_lo, s35
	s_cbranch_execnz .LBB6_5612
; %bb.4623:                             ;   in Loop: Header=BB6_3265 Depth=4
	s_or_saveexec_b32 s35, s35
	v_mov_b32_e32 v36, s34
	s_xor_b32 exec_lo, exec_lo, s35
	s_cbranch_execnz .LBB6_5615
.LBB6_4624:                             ;   in Loop: Header=BB6_3265 Depth=4
	s_or_b32 exec_lo, exec_lo, s35
	s_and_saveexec_b32 s34, s13
	s_cbranch_execz .LBB6_4626
.LBB6_4625:                             ;   in Loop: Header=BB6_3265 Depth=4
	v_and_b32_e32 v36, 3, v13
	v_bfe_u32 v39, v13, 2, 5
	v_lshlrev_b32_e32 v48, 24, v13
	s_delay_alu instid0(VALU_DEP_3) | instskip(NEXT) | instid1(VALU_DEP_3)
	v_clz_i32_u32_e32 v37, v36
	v_cmp_eq_u32_e32 vcc_lo, 0, v39
	s_delay_alu instid0(VALU_DEP_2) | instskip(NEXT) | instid1(VALU_DEP_1)
	v_min_u32_e32 v37, 32, v37
	v_subrev_nc_u32_e32 v38, 29, v37
	v_sub_nc_u32_e32 v37, 30, v37
	s_delay_alu instid0(VALU_DEP_2) | instskip(NEXT) | instid1(VALU_DEP_1)
	v_lshlrev_b32_e32 v38, v38, v13
	v_dual_cndmask_b32 v37, v39, v37 :: v_dual_and_b32 v38, 3, v38
	s_delay_alu instid0(VALU_DEP_1) | instskip(NEXT) | instid1(VALU_DEP_2)
	v_lshl_add_u32 v37, v37, 23, 0x37800000
	v_cndmask_b32_e32 v36, v36, v38, vcc_lo
	v_and_b32_e32 v38, 0x80000000, v48
	s_delay_alu instid0(VALU_DEP_2) | instskip(NEXT) | instid1(VALU_DEP_1)
	v_lshlrev_b32_e32 v36, 21, v36
	v_or3_b32 v36, v38, v37, v36
.LBB6_4626:                             ;   in Loop: Header=BB6_3265 Depth=4
	s_or_b32 exec_lo, exec_lo, s34
	s_delay_alu instid0(VALU_DEP_1) | instskip(SKIP_2) | instid1(VALU_DEP_2)
	v_add_f32_e32 v27, v27, v36
	v_mov_b32_e32 v63, 0x80
	s_mov_b32 s34, exec_lo
	v_and_b32_e32 v36, 0x7f800000, v27
	s_delay_alu instid0(VALU_DEP_1)
	v_cmpx_ne_u32_e32 0x7f800000, v36
	s_cbranch_execz .LBB6_4634
; %bb.4627:                             ;   in Loop: Header=BB6_3265 Depth=4
	v_mov_b32_e32 v63, 0
	s_mov_b32 s35, exec_lo
	v_cmpx_ne_u32_e32 0, v27
	s_cbranch_execz .LBB6_4633
; %bb.4628:                             ;   in Loop: Header=BB6_3265 Depth=4
	v_bfe_u32 v36, v27, 23, 8
	s_delay_alu instid0(VALU_DEP_1) | instskip(SKIP_1) | instid1(VALU_DEP_2)
	v_sub_nc_u32_e32 v38, 0x70, v36
	v_cmp_gt_u32_e32 vcc_lo, 0x71, v36
	v_dual_cndmask_b32 v38, 0, v38 :: v_dual_and_b32 v37, 0x7fffff, v27
	s_delay_alu instid0(VALU_DEP_1) | instskip(SKIP_2) | instid1(VALU_DEP_4)
	v_or_b32_e32 v39, 0x800000, v37
	v_cmp_eq_u32_e32 vcc_lo, 0, v36
	v_add_nc_u32_e32 v36, 0xffffff91, v36
	v_cndmask_b32_e64 v38, v38, 0x6f, vcc_lo
	s_delay_alu instid0(VALU_DEP_4) | instskip(NEXT) | instid1(VALU_DEP_3)
	v_cndmask_b32_e32 v37, v39, v37, vcc_lo
	v_cndmask_b32_e64 v36, v36, 0xffffff92, vcc_lo
	s_delay_alu instid0(VALU_DEP_3) | instskip(NEXT) | instid1(VALU_DEP_3)
	v_lshl_add_u32 v39, 0x200000, v38, -1
	v_lshrrev_b32_e32 v48, v38, v37
	v_lshlrev_b32_e64 v50, v38, 0x100000
	s_delay_alu instid0(VALU_DEP_4) | instskip(NEXT) | instid1(VALU_DEP_4)
	v_add_nc_u32_e32 v38, v38, v36
	v_and_b32_e32 v37, v39, v37
	s_delay_alu instid0(VALU_DEP_4) | instskip(NEXT) | instid1(VALU_DEP_2)
	v_bfe_u32 v49, v48, 21, 1
	v_cmp_eq_u32_e64 s13, v37, v50
	s_delay_alu instid0(VALU_DEP_2) | instskip(NEXT) | instid1(VALU_DEP_1)
	v_add_nc_u32_e32 v39, -1, v49
	v_cndmask_b32_e64 v37, 0, v39, s13
	v_lshrrev_b32_e32 v39, 23, v48
	s_mov_b32 s13, exec_lo
	s_delay_alu instid0(VALU_DEP_2) | instskip(NEXT) | instid1(VALU_DEP_2)
	v_add_nc_u32_e32 v37, v37, v48
	v_xor_b32_e32 v39, 1, v39
	s_delay_alu instid0(VALU_DEP_2) | instskip(NEXT) | instid1(VALU_DEP_1)
	v_and_b32_e32 v36, 0x1fffff, v37
	v_add_nc_u32_e32 v37, v36, v48
                                        ; implicit-def: $vgpr36
	s_delay_alu instid0(VALU_DEP_3)
	v_cmpx_ne_u32_e64 v38, v39
	s_xor_b32 s13, exec_lo, s13
; %bb.4629:                             ;   in Loop: Header=BB6_3265 Depth=4
	s_delay_alu instid0(VALU_DEP_2) | instskip(SKIP_2) | instid1(VALU_DEP_2)
	v_cmp_lt_u32_e32 vcc_lo, 0xffffff, v37
	v_sub_nc_u32_e32 v36, v38, v39
	v_cndmask_b32_e64 v38, 0, 1, vcc_lo
	v_add_co_ci_u32_e32 v36, vcc_lo, 0, v36, vcc_lo
	s_delay_alu instid0(VALU_DEP_2)
	v_lshrrev_b32_e32 v37, v38, v37
; %bb.4630:                             ;   in Loop: Header=BB6_3265 Depth=4
	s_and_not1_saveexec_b32 s13, s13
; %bb.4631:                             ;   in Loop: Header=BB6_3265 Depth=4
	s_delay_alu instid0(VALU_DEP_1)
	v_bfe_u32 v36, v37, 23, 1
; %bb.4632:                             ;   in Loop: Header=BB6_3265 Depth=4
	s_or_b32 exec_lo, exec_lo, s13
	v_lshrrev_b32_e32 v37, 21, v37
	s_delay_alu instid0(VALU_DEP_2) | instskip(SKIP_2) | instid1(VALU_DEP_4)
	v_cmp_gt_i32_e32 vcc_lo, 32, v36
	v_lshrrev_b32_e32 v27, 24, v27
	v_min_i32_e32 v38, 31, v36
	v_cndmask_b32_e32 v37, 3, v37, vcc_lo
	s_delay_alu instid0(VALU_DEP_3) | instskip(NEXT) | instid1(VALU_DEP_3)
	v_and_b32_e32 v27, 0x80, v27
	v_lshlrev_b32_e32 v38, 2, v38
	s_delay_alu instid0(VALU_DEP_3) | instskip(SKIP_1) | instid1(VALU_DEP_2)
	v_and_b32_e32 v39, 3, v37
	v_or_b32_e32 v36, v36, v37
	v_or3_b32 v27, v38, v27, v39
	s_delay_alu instid0(VALU_DEP_2) | instskip(NEXT) | instid1(VALU_DEP_2)
	v_cmp_ne_u32_e32 vcc_lo, 0, v36
	v_cndmask_b32_e32 v63, 0, v27, vcc_lo
.LBB6_4633:                             ;   in Loop: Header=BB6_3265 Depth=4
	s_or_b32 exec_lo, exec_lo, s35
.LBB6_4634:                             ;   in Loop: Header=BB6_3265 Depth=4
	s_delay_alu instid0(SALU_CYCLE_1) | instskip(SKIP_3) | instid1(VALU_DEP_1)
	s_or_b32 exec_lo, exec_lo, s34
	v_lshrrev_b16 v36, 8, v26
	s_mov_b32 s13, 0
	s_mov_b32 s35, exec_lo
                                        ; implicit-def: $sgpr34
	v_cmpx_lt_i16_e32 0x7f, v36
	s_xor_b32 s35, exec_lo, s35
	s_cbranch_execnz .LBB6_5616
; %bb.4635:                             ;   in Loop: Header=BB6_3265 Depth=4
	s_or_saveexec_b32 s35, s35
	v_mov_b32_e32 v27, s34
	s_xor_b32 exec_lo, exec_lo, s35
	s_cbranch_execnz .LBB6_5619
.LBB6_4636:                             ;   in Loop: Header=BB6_3265 Depth=4
	s_or_b32 exec_lo, exec_lo, s35
	s_and_saveexec_b32 s34, s13
	s_cbranch_execz .LBB6_4638
.LBB6_4637:                             ;   in Loop: Header=BB6_3265 Depth=4
	v_and_b32_e32 v27, 0xffff, v36
	s_delay_alu instid0(VALU_DEP_1) | instskip(NEXT) | instid1(VALU_DEP_1)
	v_and_b32_e32 v37, 3, v27
	v_clz_i32_u32_e32 v38, v37
	s_delay_alu instid0(VALU_DEP_1) | instskip(NEXT) | instid1(VALU_DEP_1)
	v_min_u32_e32 v38, 32, v38
	v_subrev_nc_u32_e32 v39, 29, v38
	v_sub_nc_u32_e32 v38, 30, v38
	s_delay_alu instid0(VALU_DEP_2) | instskip(SKIP_1) | instid1(VALU_DEP_2)
	v_lshlrev_b32_e32 v39, v39, v27
	v_bfe_u32 v27, v27, 2, 5
	v_and_b32_e32 v39, 3, v39
	s_delay_alu instid0(VALU_DEP_2) | instskip(SKIP_1) | instid1(VALU_DEP_1)
	v_cmp_eq_u32_e32 vcc_lo, 0, v27
	v_dual_cndmask_b32 v27, v27, v38 :: v_dual_lshlrev_b32 v36, 24, v36
	v_dual_cndmask_b32 v37, v37, v39 :: v_dual_and_b32 v36, 0x80000000, v36
	s_delay_alu instid0(VALU_DEP_2) | instskip(NEXT) | instid1(VALU_DEP_2)
	v_lshl_add_u32 v27, v27, 23, 0x37800000
	v_lshlrev_b32_e32 v37, 21, v37
	s_delay_alu instid0(VALU_DEP_1)
	v_or3_b32 v27, v36, v27, v37
.LBB6_4638:                             ;   in Loop: Header=BB6_3265 Depth=4
	s_or_b32 exec_lo, exec_lo, s34
	v_lshrrev_b16 v36, 8, v13
	s_mov_b32 s13, 0
	s_mov_b32 s35, exec_lo
                                        ; implicit-def: $sgpr34
	s_delay_alu instid0(VALU_DEP_1)
	v_cmpx_lt_i16_e32 0x7f, v36
	s_xor_b32 s35, exec_lo, s35
	s_cbranch_execnz .LBB6_5620
; %bb.4639:                             ;   in Loop: Header=BB6_3265 Depth=4
	s_or_saveexec_b32 s35, s35
	v_mov_b32_e32 v37, s34
	s_xor_b32 exec_lo, exec_lo, s35
	s_cbranch_execnz .LBB6_5623
.LBB6_4640:                             ;   in Loop: Header=BB6_3265 Depth=4
	s_or_b32 exec_lo, exec_lo, s35
	s_and_saveexec_b32 s34, s13
	s_cbranch_execz .LBB6_4642
.LBB6_4641:                             ;   in Loop: Header=BB6_3265 Depth=4
	v_and_b32_e32 v37, 0xffff, v36
	v_lshlrev_b32_e32 v36, 24, v36
	s_delay_alu instid0(VALU_DEP_2) | instskip(NEXT) | instid1(VALU_DEP_2)
	v_and_b32_e32 v38, 3, v37
	v_and_b32_e32 v36, 0x80000000, v36
	s_delay_alu instid0(VALU_DEP_2) | instskip(NEXT) | instid1(VALU_DEP_1)
	v_clz_i32_u32_e32 v39, v38
	v_min_u32_e32 v39, 32, v39
	s_delay_alu instid0(VALU_DEP_1) | instskip(SKIP_1) | instid1(VALU_DEP_2)
	v_subrev_nc_u32_e32 v48, 29, v39
	v_sub_nc_u32_e32 v39, 30, v39
	v_lshlrev_b32_e32 v48, v48, v37
	v_bfe_u32 v37, v37, 2, 5
	s_delay_alu instid0(VALU_DEP_2) | instskip(NEXT) | instid1(VALU_DEP_2)
	v_and_b32_e32 v48, 3, v48
	v_cmp_eq_u32_e32 vcc_lo, 0, v37
	s_delay_alu instid0(VALU_DEP_2) | instskip(NEXT) | instid1(VALU_DEP_1)
	v_dual_cndmask_b32 v37, v37, v39 :: v_dual_cndmask_b32 v38, v38, v48
	v_lshl_add_u32 v37, v37, 23, 0x37800000
	s_delay_alu instid0(VALU_DEP_2) | instskip(NEXT) | instid1(VALU_DEP_1)
	v_lshlrev_b32_e32 v38, 21, v38
	v_or3_b32 v37, v36, v37, v38
.LBB6_4642:                             ;   in Loop: Header=BB6_3265 Depth=4
	s_or_b32 exec_lo, exec_lo, s34
	s_delay_alu instid0(VALU_DEP_1) | instskip(SKIP_1) | instid1(VALU_DEP_1)
	v_dual_add_f32 v27, v27, v37 :: v_dual_mov_b32 v72, 0x8000
	s_mov_b32 s34, exec_lo
	v_and_b32_e32 v36, 0x7f800000, v27
	s_delay_alu instid0(VALU_DEP_1)
	v_cmpx_ne_u32_e32 0x7f800000, v36
	s_cbranch_execz .LBB6_4650
; %bb.4643:                             ;   in Loop: Header=BB6_3265 Depth=4
	v_mov_b32_e32 v72, 0
	s_mov_b32 s35, exec_lo
	v_cmpx_ne_u32_e32 0, v27
	s_cbranch_execz .LBB6_4649
; %bb.4644:                             ;   in Loop: Header=BB6_3265 Depth=4
	v_bfe_u32 v36, v27, 23, 8
	s_delay_alu instid0(VALU_DEP_1) | instskip(SKIP_1) | instid1(VALU_DEP_2)
	v_sub_nc_u32_e32 v38, 0x70, v36
	v_cmp_gt_u32_e32 vcc_lo, 0x71, v36
	v_dual_cndmask_b32 v38, 0, v38 :: v_dual_and_b32 v37, 0x7fffff, v27
	s_delay_alu instid0(VALU_DEP_1) | instskip(SKIP_2) | instid1(VALU_DEP_4)
	v_or_b32_e32 v39, 0x800000, v37
	v_cmp_eq_u32_e32 vcc_lo, 0, v36
	v_add_nc_u32_e32 v36, 0xffffff91, v36
	v_cndmask_b32_e64 v38, v38, 0x6f, vcc_lo
	s_delay_alu instid0(VALU_DEP_4) | instskip(NEXT) | instid1(VALU_DEP_3)
	v_cndmask_b32_e32 v37, v39, v37, vcc_lo
	v_cndmask_b32_e64 v36, v36, 0xffffff92, vcc_lo
	s_delay_alu instid0(VALU_DEP_3) | instskip(NEXT) | instid1(VALU_DEP_3)
	v_lshl_add_u32 v39, 0x200000, v38, -1
	v_lshrrev_b32_e32 v48, v38, v37
	v_lshlrev_b32_e64 v50, v38, 0x100000
	s_delay_alu instid0(VALU_DEP_4) | instskip(NEXT) | instid1(VALU_DEP_4)
	v_add_nc_u32_e32 v38, v38, v36
	v_and_b32_e32 v37, v39, v37
	s_delay_alu instid0(VALU_DEP_4) | instskip(NEXT) | instid1(VALU_DEP_2)
	v_bfe_u32 v49, v48, 21, 1
	v_cmp_eq_u32_e64 s13, v37, v50
	s_delay_alu instid0(VALU_DEP_2) | instskip(NEXT) | instid1(VALU_DEP_1)
	v_add_nc_u32_e32 v39, -1, v49
	v_cndmask_b32_e64 v37, 0, v39, s13
	v_lshrrev_b32_e32 v39, 23, v48
	s_mov_b32 s13, exec_lo
	s_delay_alu instid0(VALU_DEP_2) | instskip(NEXT) | instid1(VALU_DEP_2)
	v_add_nc_u32_e32 v37, v37, v48
	v_xor_b32_e32 v39, 1, v39
	s_delay_alu instid0(VALU_DEP_2) | instskip(NEXT) | instid1(VALU_DEP_1)
	v_and_b32_e32 v36, 0x1fffff, v37
	v_add_nc_u32_e32 v37, v36, v48
                                        ; implicit-def: $vgpr36
	s_delay_alu instid0(VALU_DEP_3)
	v_cmpx_ne_u32_e64 v38, v39
	s_xor_b32 s13, exec_lo, s13
; %bb.4645:                             ;   in Loop: Header=BB6_3265 Depth=4
	s_delay_alu instid0(VALU_DEP_2) | instskip(SKIP_2) | instid1(VALU_DEP_2)
	v_cmp_lt_u32_e32 vcc_lo, 0xffffff, v37
	v_sub_nc_u32_e32 v36, v38, v39
	v_cndmask_b32_e64 v38, 0, 1, vcc_lo
	v_add_co_ci_u32_e32 v36, vcc_lo, 0, v36, vcc_lo
	s_delay_alu instid0(VALU_DEP_2)
	v_lshrrev_b32_e32 v37, v38, v37
; %bb.4646:                             ;   in Loop: Header=BB6_3265 Depth=4
	s_and_not1_saveexec_b32 s13, s13
; %bb.4647:                             ;   in Loop: Header=BB6_3265 Depth=4
	s_delay_alu instid0(VALU_DEP_1)
	v_bfe_u32 v36, v37, 23, 1
; %bb.4648:                             ;   in Loop: Header=BB6_3265 Depth=4
	s_or_b32 exec_lo, exec_lo, s13
	v_lshrrev_b32_e32 v37, 21, v37
	s_delay_alu instid0(VALU_DEP_2) | instskip(SKIP_2) | instid1(VALU_DEP_2)
	v_cmp_gt_i32_e32 vcc_lo, 32, v36
	v_min_i32_e32 v38, 31, v36
	v_lshrrev_b32_e32 v27, 24, v27
	v_dual_cndmask_b32 v37, 3, v37 :: v_dual_lshlrev_b32 v38, 2, v38
	s_delay_alu instid0(VALU_DEP_2) | instskip(NEXT) | instid1(VALU_DEP_2)
	v_and_b32_e32 v27, 0x80, v27
	v_or_b32_e32 v36, v36, v37
	s_delay_alu instid0(VALU_DEP_3) | instskip(NEXT) | instid1(VALU_DEP_2)
	v_and_b32_e32 v38, 0xfc, v38
	v_cmp_ne_u32_e32 vcc_lo, 0, v36
	v_and_b32_e32 v39, 3, v37
	s_delay_alu instid0(VALU_DEP_1) | instskip(NEXT) | instid1(VALU_DEP_1)
	v_or3_b32 v27, v27, v38, v39
	v_lshlrev_b32_e32 v27, 8, v27
	s_delay_alu instid0(VALU_DEP_1)
	v_cndmask_b32_e32 v72, 0, v27, vcc_lo
.LBB6_4649:                             ;   in Loop: Header=BB6_3265 Depth=4
	s_or_b32 exec_lo, exec_lo, s35
.LBB6_4650:                             ;   in Loop: Header=BB6_3265 Depth=4
	s_delay_alu instid0(SALU_CYCLE_1) | instskip(SKIP_3) | instid1(VALU_DEP_1)
	s_or_b32 exec_lo, exec_lo, s34
	v_or_b32_e32 v36, v73, v61
	s_mov_b32 s13, 0
	s_mov_b32 s35, exec_lo
                                        ; implicit-def: $sgpr34
	v_and_b32_e32 v37, 0xff, v36
	s_delay_alu instid0(VALU_DEP_1)
	v_cmpx_lt_i16_e32 0x7f, v37
	s_xor_b32 s35, exec_lo, s35
	s_cbranch_execnz .LBB6_5624
; %bb.4651:                             ;   in Loop: Header=BB6_3265 Depth=4
	s_or_saveexec_b32 s35, s35
	v_mov_b32_e32 v27, s34
	s_xor_b32 exec_lo, exec_lo, s35
	s_cbranch_execnz .LBB6_5627
.LBB6_4652:                             ;   in Loop: Header=BB6_3265 Depth=4
	s_or_b32 exec_lo, exec_lo, s35
	v_lshl_or_b32 v26, v36, 16, v26
	s_and_saveexec_b32 s34, s13
	s_cbranch_execz .LBB6_4654
.LBB6_4653:                             ;   in Loop: Header=BB6_3265 Depth=4
	s_delay_alu instid0(VALU_DEP_1) | instskip(SKIP_2) | instid1(VALU_DEP_3)
	v_bfe_u32 v27, v26, 16, 2
	v_lshrrev_b32_e32 v37, 16, v26
	v_lshlrev_b32_e32 v39, 8, v26
	v_clz_i32_u32_e32 v36, v27
	s_delay_alu instid0(VALU_DEP_1) | instskip(NEXT) | instid1(VALU_DEP_1)
	v_min_u32_e32 v36, 32, v36
	v_subrev_nc_u32_e32 v38, 29, v36
	v_sub_nc_u32_e32 v36, 30, v36
	s_delay_alu instid0(VALU_DEP_2) | instskip(SKIP_1) | instid1(VALU_DEP_1)
	v_lshlrev_b32_e32 v37, v38, v37
	v_bfe_u32 v38, v26, 18, 5
	v_cmp_eq_u32_e32 vcc_lo, 0, v38
	s_delay_alu instid0(VALU_DEP_3) | instskip(NEXT) | instid1(VALU_DEP_1)
	v_dual_cndmask_b32 v36, v38, v36 :: v_dual_and_b32 v37, 3, v37
	v_cndmask_b32_e32 v27, v27, v37, vcc_lo
	v_and_b32_e32 v37, 0x80000000, v39
	s_delay_alu instid0(VALU_DEP_3) | instskip(NEXT) | instid1(VALU_DEP_3)
	v_lshl_add_u32 v36, v36, 23, 0x37800000
	v_lshlrev_b32_e32 v27, 21, v27
	s_delay_alu instid0(VALU_DEP_1)
	v_or3_b32 v27, v37, v36, v27
.LBB6_4654:                             ;   in Loop: Header=BB6_3265 Depth=4
	s_or_b32 exec_lo, exec_lo, s34
	v_lshrrev_b32_e32 v36, 16, v13
	s_mov_b32 s13, 0
	s_mov_b32 s35, exec_lo
                                        ; implicit-def: $sgpr34
	s_delay_alu instid0(VALU_DEP_1) | instskip(NEXT) | instid1(VALU_DEP_1)
	v_and_b32_e32 v38, 0xff, v36
	v_cmpx_lt_i16_e32 0x7f, v38
	s_xor_b32 s35, exec_lo, s35
	s_cbranch_execnz .LBB6_5628
; %bb.4655:                             ;   in Loop: Header=BB6_3265 Depth=4
	s_or_saveexec_b32 s35, s35
	v_mov_b32_e32 v37, s34
	s_xor_b32 exec_lo, exec_lo, s35
	s_cbranch_execnz .LBB6_5631
.LBB6_4656:                             ;   in Loop: Header=BB6_3265 Depth=4
	s_or_b32 exec_lo, exec_lo, s35
	s_and_saveexec_b32 s34, s13
	s_cbranch_execz .LBB6_4658
.LBB6_4657:                             ;   in Loop: Header=BB6_3265 Depth=4
	v_bfe_u32 v37, v13, 16, 2
	v_lshlrev_b32_e32 v48, 8, v13
	s_delay_alu instid0(VALU_DEP_2) | instskip(NEXT) | instid1(VALU_DEP_1)
	v_clz_i32_u32_e32 v38, v37
	v_min_u32_e32 v38, 32, v38
	s_delay_alu instid0(VALU_DEP_1) | instskip(SKIP_1) | instid1(VALU_DEP_2)
	v_subrev_nc_u32_e32 v39, 29, v38
	v_sub_nc_u32_e32 v38, 30, v38
	v_lshlrev_b32_e32 v36, v39, v36
	v_bfe_u32 v39, v13, 18, 5
	s_delay_alu instid0(VALU_DEP_2) | instskip(NEXT) | instid1(VALU_DEP_2)
	v_and_b32_e32 v36, 3, v36
	v_cmp_eq_u32_e32 vcc_lo, 0, v39
	v_cndmask_b32_e32 v38, v39, v38, vcc_lo
	s_delay_alu instid0(VALU_DEP_3) | instskip(SKIP_1) | instid1(VALU_DEP_3)
	v_cndmask_b32_e32 v36, v37, v36, vcc_lo
	v_and_b32_e32 v37, 0x80000000, v48
	v_lshl_add_u32 v38, v38, 23, 0x37800000
	s_delay_alu instid0(VALU_DEP_3) | instskip(NEXT) | instid1(VALU_DEP_1)
	v_lshlrev_b32_e32 v36, 21, v36
	v_or3_b32 v37, v37, v38, v36
.LBB6_4658:                             ;   in Loop: Header=BB6_3265 Depth=4
	s_or_b32 exec_lo, exec_lo, s34
	s_delay_alu instid0(VALU_DEP_1) | instskip(SKIP_2) | instid1(VALU_DEP_2)
	v_add_f32_e32 v27, v27, v37
	v_mov_b32_e32 v61, 0x80
	s_mov_b32 s34, exec_lo
	v_and_b32_e32 v36, 0x7f800000, v27
	s_delay_alu instid0(VALU_DEP_1)
	v_cmpx_ne_u32_e32 0x7f800000, v36
	s_cbranch_execz .LBB6_4666
; %bb.4659:                             ;   in Loop: Header=BB6_3265 Depth=4
	v_mov_b32_e32 v61, 0
	s_mov_b32 s35, exec_lo
	v_cmpx_ne_u32_e32 0, v27
	s_cbranch_execz .LBB6_4665
; %bb.4660:                             ;   in Loop: Header=BB6_3265 Depth=4
	v_bfe_u32 v36, v27, 23, 8
	s_delay_alu instid0(VALU_DEP_1) | instskip(SKIP_1) | instid1(VALU_DEP_2)
	v_sub_nc_u32_e32 v38, 0x70, v36
	v_cmp_gt_u32_e32 vcc_lo, 0x71, v36
	v_dual_cndmask_b32 v38, 0, v38 :: v_dual_and_b32 v37, 0x7fffff, v27
	s_delay_alu instid0(VALU_DEP_1) | instskip(SKIP_2) | instid1(VALU_DEP_4)
	v_or_b32_e32 v39, 0x800000, v37
	v_cmp_eq_u32_e32 vcc_lo, 0, v36
	v_add_nc_u32_e32 v36, 0xffffff91, v36
	v_cndmask_b32_e64 v38, v38, 0x6f, vcc_lo
	s_delay_alu instid0(VALU_DEP_4) | instskip(NEXT) | instid1(VALU_DEP_3)
	v_cndmask_b32_e32 v37, v39, v37, vcc_lo
	v_cndmask_b32_e64 v36, v36, 0xffffff92, vcc_lo
	s_delay_alu instid0(VALU_DEP_3) | instskip(NEXT) | instid1(VALU_DEP_3)
	v_lshl_add_u32 v39, 0x200000, v38, -1
	v_lshrrev_b32_e32 v48, v38, v37
	v_lshlrev_b32_e64 v50, v38, 0x100000
	s_delay_alu instid0(VALU_DEP_4) | instskip(NEXT) | instid1(VALU_DEP_4)
	v_add_nc_u32_e32 v38, v38, v36
	v_and_b32_e32 v37, v39, v37
	s_delay_alu instid0(VALU_DEP_4) | instskip(NEXT) | instid1(VALU_DEP_2)
	v_bfe_u32 v49, v48, 21, 1
	v_cmp_eq_u32_e64 s13, v37, v50
	s_delay_alu instid0(VALU_DEP_2) | instskip(NEXT) | instid1(VALU_DEP_1)
	v_add_nc_u32_e32 v39, -1, v49
	v_cndmask_b32_e64 v37, 0, v39, s13
	v_lshrrev_b32_e32 v39, 23, v48
	s_mov_b32 s13, exec_lo
	s_delay_alu instid0(VALU_DEP_2) | instskip(NEXT) | instid1(VALU_DEP_2)
	v_add_nc_u32_e32 v37, v37, v48
	v_xor_b32_e32 v39, 1, v39
	s_delay_alu instid0(VALU_DEP_2) | instskip(NEXT) | instid1(VALU_DEP_1)
	v_and_b32_e32 v36, 0x1fffff, v37
	v_add_nc_u32_e32 v37, v36, v48
                                        ; implicit-def: $vgpr36
	s_delay_alu instid0(VALU_DEP_3)
	v_cmpx_ne_u32_e64 v38, v39
	s_xor_b32 s13, exec_lo, s13
; %bb.4661:                             ;   in Loop: Header=BB6_3265 Depth=4
	s_delay_alu instid0(VALU_DEP_2) | instskip(SKIP_2) | instid1(VALU_DEP_2)
	v_cmp_lt_u32_e32 vcc_lo, 0xffffff, v37
	v_sub_nc_u32_e32 v36, v38, v39
	v_cndmask_b32_e64 v38, 0, 1, vcc_lo
	v_add_co_ci_u32_e32 v36, vcc_lo, 0, v36, vcc_lo
	s_delay_alu instid0(VALU_DEP_2)
	v_lshrrev_b32_e32 v37, v38, v37
; %bb.4662:                             ;   in Loop: Header=BB6_3265 Depth=4
	s_and_not1_saveexec_b32 s13, s13
; %bb.4663:                             ;   in Loop: Header=BB6_3265 Depth=4
	s_delay_alu instid0(VALU_DEP_1)
	v_bfe_u32 v36, v37, 23, 1
; %bb.4664:                             ;   in Loop: Header=BB6_3265 Depth=4
	s_or_b32 exec_lo, exec_lo, s13
	v_lshrrev_b32_e32 v37, 21, v37
	s_delay_alu instid0(VALU_DEP_2) | instskip(SKIP_2) | instid1(VALU_DEP_2)
	v_cmp_gt_i32_e32 vcc_lo, 32, v36
	v_min_i32_e32 v38, 31, v36
	v_lshrrev_b32_e32 v27, 24, v27
	v_dual_cndmask_b32 v37, 3, v37 :: v_dual_lshlrev_b32 v38, 2, v38
	s_delay_alu instid0(VALU_DEP_2) | instskip(NEXT) | instid1(VALU_DEP_2)
	v_and_b32_e32 v27, 0x80, v27
	v_or_b32_e32 v36, v36, v37
	v_and_b32_e32 v39, 3, v37
	s_delay_alu instid0(VALU_DEP_2) | instskip(SKIP_1) | instid1(VALU_DEP_1)
	v_cmp_ne_u32_e32 vcc_lo, 0, v36
	v_and_b32_e32 v38, 0xfc, v38
	v_or3_b32 v27, v38, v27, v39
	s_delay_alu instid0(VALU_DEP_1)
	v_cndmask_b32_e32 v61, 0, v27, vcc_lo
.LBB6_4665:                             ;   in Loop: Header=BB6_3265 Depth=4
	s_or_b32 exec_lo, exec_lo, s35
.LBB6_4666:                             ;   in Loop: Header=BB6_3265 Depth=4
	s_delay_alu instid0(SALU_CYCLE_1) | instskip(SKIP_3) | instid1(VALU_DEP_1)
	s_or_b32 exec_lo, exec_lo, s34
	v_lshrrev_b32_e32 v36, 24, v26
	s_mov_b32 s13, 0
	s_mov_b32 s35, exec_lo
                                        ; implicit-def: $sgpr34
	v_cmpx_lt_i16_e32 0x7f, v36
	s_xor_b32 s35, exec_lo, s35
	s_cbranch_execnz .LBB6_5632
; %bb.4667:                             ;   in Loop: Header=BB6_3265 Depth=4
	s_or_saveexec_b32 s35, s35
	v_mov_b32_e32 v27, s34
	s_xor_b32 exec_lo, exec_lo, s35
	s_cbranch_execnz .LBB6_5635
.LBB6_4668:                             ;   in Loop: Header=BB6_3265 Depth=4
	s_or_b32 exec_lo, exec_lo, s35
	s_and_saveexec_b32 s34, s13
	s_cbranch_execz .LBB6_4670
.LBB6_4669:                             ;   in Loop: Header=BB6_3265 Depth=4
	v_bfe_u32 v27, v26, 24, 2
	s_delay_alu instid0(VALU_DEP_1) | instskip(NEXT) | instid1(VALU_DEP_1)
	v_clz_i32_u32_e32 v37, v27
	v_min_u32_e32 v37, 32, v37
	s_delay_alu instid0(VALU_DEP_1) | instskip(SKIP_1) | instid1(VALU_DEP_2)
	v_subrev_nc_u32_e32 v38, 29, v37
	v_sub_nc_u32_e32 v37, 30, v37
	v_lshlrev_b32_e32 v36, v38, v36
	v_bfe_u32 v38, v26, 26, 5
	v_and_b32_e32 v26, 0x80000000, v26
	s_delay_alu instid0(VALU_DEP_2) | instskip(NEXT) | instid1(VALU_DEP_4)
	v_cmp_eq_u32_e32 vcc_lo, 0, v38
	v_dual_cndmask_b32 v37, v38, v37 :: v_dual_and_b32 v36, 3, v36
	s_delay_alu instid0(VALU_DEP_1) | instskip(NEXT) | instid1(VALU_DEP_2)
	v_cndmask_b32_e32 v27, v27, v36, vcc_lo
	v_lshl_add_u32 v36, v37, 23, 0x37800000
	s_delay_alu instid0(VALU_DEP_2) | instskip(NEXT) | instid1(VALU_DEP_1)
	v_lshlrev_b32_e32 v27, 21, v27
	v_or3_b32 v27, v26, v36, v27
.LBB6_4670:                             ;   in Loop: Header=BB6_3265 Depth=4
	s_or_b32 exec_lo, exec_lo, s34
	v_lshrrev_b32_e32 v26, 24, v13
	s_mov_b32 s13, 0
	s_mov_b32 s35, exec_lo
                                        ; implicit-def: $sgpr34
	s_delay_alu instid0(VALU_DEP_1)
	v_cmpx_lt_i16_e32 0x7f, v26
	s_xor_b32 s35, exec_lo, s35
	s_cbranch_execnz .LBB6_5636
; %bb.4671:                             ;   in Loop: Header=BB6_3265 Depth=4
	s_or_saveexec_b32 s35, s35
	v_mov_b32_e32 v36, s34
	s_xor_b32 exec_lo, exec_lo, s35
	s_cbranch_execnz .LBB6_5639
.LBB6_4672:                             ;   in Loop: Header=BB6_3265 Depth=4
	s_or_b32 exec_lo, exec_lo, s35
	s_and_saveexec_b32 s34, s13
	s_cbranch_execz .LBB6_4674
.LBB6_4673:                             ;   in Loop: Header=BB6_3265 Depth=4
	v_bfe_u32 v36, v13, 24, 2
	s_delay_alu instid0(VALU_DEP_1) | instskip(NEXT) | instid1(VALU_DEP_1)
	v_clz_i32_u32_e32 v37, v36
	v_min_u32_e32 v37, 32, v37
	s_delay_alu instid0(VALU_DEP_1) | instskip(SKIP_1) | instid1(VALU_DEP_2)
	v_subrev_nc_u32_e32 v38, 29, v37
	v_sub_nc_u32_e32 v37, 30, v37
	v_lshlrev_b32_e32 v26, v38, v26
	v_bfe_u32 v38, v13, 26, 5
	v_and_b32_e32 v13, 0x80000000, v13
	s_delay_alu instid0(VALU_DEP_2) | instskip(NEXT) | instid1(VALU_DEP_4)
	v_cmp_eq_u32_e32 vcc_lo, 0, v38
	v_dual_cndmask_b32 v37, v38, v37 :: v_dual_and_b32 v26, 3, v26
	s_delay_alu instid0(VALU_DEP_1) | instskip(NEXT) | instid1(VALU_DEP_2)
	v_cndmask_b32_e32 v26, v36, v26, vcc_lo
	v_lshl_add_u32 v36, v37, 23, 0x37800000
	s_delay_alu instid0(VALU_DEP_2) | instskip(NEXT) | instid1(VALU_DEP_1)
	v_lshlrev_b32_e32 v26, 21, v26
	v_or3_b32 v36, v13, v36, v26
.LBB6_4674:                             ;   in Loop: Header=BB6_3265 Depth=4
	s_or_b32 exec_lo, exec_lo, s34
	s_delay_alu instid0(VALU_DEP_1) | instskip(NEXT) | instid1(VALU_DEP_1)
	v_add_f32_e32 v26, v27, v36
	v_and_b32_e32 v13, 0x7f800000, v26
	s_delay_alu instid0(VALU_DEP_1)
	v_cmp_ne_u32_e32 vcc_lo, 0x7f800000, v13
	v_mov_b32_e32 v13, 0x8000
	s_and_saveexec_b32 s34, vcc_lo
	s_cbranch_execz .LBB6_4682
; %bb.4675:                             ;   in Loop: Header=BB6_3265 Depth=4
	v_mov_b32_e32 v13, 0
	s_mov_b32 s35, exec_lo
	v_cmpx_ne_u32_e32 0, v26
	s_cbranch_execz .LBB6_4681
; %bb.4676:                             ;   in Loop: Header=BB6_3265 Depth=4
	v_bfe_u32 v13, v26, 23, 8
	s_delay_alu instid0(VALU_DEP_1) | instskip(SKIP_1) | instid1(VALU_DEP_2)
	v_sub_nc_u32_e32 v36, 0x70, v13
	v_cmp_gt_u32_e32 vcc_lo, 0x71, v13
	v_dual_cndmask_b32 v36, 0, v36 :: v_dual_and_b32 v27, 0x7fffff, v26
	s_delay_alu instid0(VALU_DEP_1) | instskip(SKIP_2) | instid1(VALU_DEP_4)
	v_or_b32_e32 v37, 0x800000, v27
	v_cmp_eq_u32_e32 vcc_lo, 0, v13
	v_add_nc_u32_e32 v13, 0xffffff91, v13
	v_cndmask_b32_e64 v36, v36, 0x6f, vcc_lo
	s_delay_alu instid0(VALU_DEP_2) | instskip(SKIP_1) | instid1(VALU_DEP_3)
	v_cndmask_b32_e64 v13, v13, 0xffffff92, vcc_lo
	v_cndmask_b32_e32 v27, v37, v27, vcc_lo
	v_lshl_add_u32 v37, 0x200000, v36, -1
	v_lshlrev_b32_e64 v48, v36, 0x100000
	s_delay_alu instid0(VALU_DEP_3) | instskip(SKIP_1) | instid1(VALU_DEP_4)
	v_lshrrev_b32_e32 v38, v36, v27
	v_add_nc_u32_e32 v36, v36, v13
	v_and_b32_e32 v27, v37, v27
	s_delay_alu instid0(VALU_DEP_3) | instskip(NEXT) | instid1(VALU_DEP_2)
	v_bfe_u32 v39, v38, 21, 1
	v_cmp_eq_u32_e64 s13, v27, v48
	s_delay_alu instid0(VALU_DEP_2) | instskip(NEXT) | instid1(VALU_DEP_1)
	v_add_nc_u32_e32 v37, -1, v39
	v_cndmask_b32_e64 v27, 0, v37, s13
	v_lshrrev_b32_e32 v37, 23, v38
	s_mov_b32 s13, exec_lo
	s_delay_alu instid0(VALU_DEP_2) | instskip(NEXT) | instid1(VALU_DEP_2)
	v_add_nc_u32_e32 v27, v27, v38
	v_xor_b32_e32 v37, 1, v37
	s_delay_alu instid0(VALU_DEP_2) | instskip(NEXT) | instid1(VALU_DEP_1)
	v_and_b32_e32 v13, 0x1fffff, v27
	v_add_nc_u32_e32 v27, v13, v38
                                        ; implicit-def: $vgpr13
	s_delay_alu instid0(VALU_DEP_3)
	v_cmpx_ne_u32_e64 v36, v37
	s_xor_b32 s13, exec_lo, s13
; %bb.4677:                             ;   in Loop: Header=BB6_3265 Depth=4
	s_delay_alu instid0(VALU_DEP_2) | instskip(SKIP_2) | instid1(VALU_DEP_2)
	v_cmp_lt_u32_e32 vcc_lo, 0xffffff, v27
	v_sub_nc_u32_e32 v13, v36, v37
	v_cndmask_b32_e64 v36, 0, 1, vcc_lo
	v_add_co_ci_u32_e32 v13, vcc_lo, 0, v13, vcc_lo
	s_delay_alu instid0(VALU_DEP_2)
	v_lshrrev_b32_e32 v27, v36, v27
; %bb.4678:                             ;   in Loop: Header=BB6_3265 Depth=4
	s_and_not1_saveexec_b32 s13, s13
; %bb.4679:                             ;   in Loop: Header=BB6_3265 Depth=4
	s_delay_alu instid0(VALU_DEP_1)
	v_bfe_u32 v13, v27, 23, 1
; %bb.4680:                             ;   in Loop: Header=BB6_3265 Depth=4
	s_or_b32 exec_lo, exec_lo, s13
	v_lshrrev_b32_e32 v27, 21, v27
	s_delay_alu instid0(VALU_DEP_2) | instskip(SKIP_2) | instid1(VALU_DEP_2)
	v_cmp_gt_i32_e32 vcc_lo, 32, v13
	v_min_i32_e32 v36, 31, v13
	v_lshrrev_b32_e32 v26, 24, v26
	v_dual_cndmask_b32 v27, 3, v27 :: v_dual_lshlrev_b32 v36, 2, v36
	s_delay_alu instid0(VALU_DEP_2) | instskip(NEXT) | instid1(VALU_DEP_2)
	v_and_b32_e32 v26, 0x80, v26
	v_or_b32_e32 v13, v13, v27
	v_and_b32_e32 v37, 3, v27
	s_delay_alu instid0(VALU_DEP_2) | instskip(SKIP_1) | instid1(VALU_DEP_1)
	v_cmp_ne_u32_e32 vcc_lo, 0, v13
	v_and_b32_e32 v36, 0xfc, v36
	v_or3_b32 v26, v26, v36, v37
	s_delay_alu instid0(VALU_DEP_1) | instskip(NEXT) | instid1(VALU_DEP_1)
	v_lshlrev_b32_e32 v26, 8, v26
	v_cndmask_b32_e32 v13, 0, v26, vcc_lo
.LBB6_4681:                             ;   in Loop: Header=BB6_3265 Depth=4
	s_or_b32 exec_lo, exec_lo, s35
.LBB6_4682:                             ;   in Loop: Header=BB6_3265 Depth=4
	s_delay_alu instid0(SALU_CYCLE_1) | instskip(SKIP_3) | instid1(VALU_DEP_1)
	s_or_b32 exec_lo, exec_lo, s34
	v_and_b32_e32 v27, 0xff, v60
	s_mov_b32 s13, 0
	s_mov_b32 s35, exec_lo
                                        ; implicit-def: $sgpr34
	v_cmpx_lt_i16_e32 0x7f, v27
	s_xor_b32 s35, exec_lo, s35
	s_cbranch_execnz .LBB6_5640
; %bb.4683:                             ;   in Loop: Header=BB6_3265 Depth=4
	s_or_saveexec_b32 s35, s35
	v_mov_b32_e32 v26, s34
	s_xor_b32 exec_lo, exec_lo, s35
	s_cbranch_execnz .LBB6_5643
.LBB6_4684:                             ;   in Loop: Header=BB6_3265 Depth=4
	s_or_b32 exec_lo, exec_lo, s35
	s_and_saveexec_b32 s34, s13
	s_cbranch_execz .LBB6_4686
.LBB6_4685:                             ;   in Loop: Header=BB6_3265 Depth=4
	v_bfe_u32 v37, v60, 2, 5
	v_lshlrev_b32_e32 v38, 24, v60
	s_delay_alu instid0(VALU_DEP_2) | instskip(SKIP_1) | instid1(VALU_DEP_1)
	v_cmp_eq_u32_e32 vcc_lo, 0, v37
	v_and_b32_e32 v26, 3, v60
	v_clz_i32_u32_e32 v27, v26
	s_delay_alu instid0(VALU_DEP_1) | instskip(NEXT) | instid1(VALU_DEP_1)
	v_min_u32_e32 v27, 32, v27
	v_subrev_nc_u32_e32 v36, 29, v27
	v_sub_nc_u32_e32 v27, 30, v27
	s_delay_alu instid0(VALU_DEP_1) | instskip(NEXT) | instid1(VALU_DEP_1)
	v_dual_cndmask_b32 v27, v37, v27 :: v_dual_lshlrev_b32 v36, v36, v60
	v_and_b32_e32 v36, 3, v36
	s_delay_alu instid0(VALU_DEP_2) | instskip(NEXT) | instid1(VALU_DEP_2)
	v_lshl_add_u32 v27, v27, 23, 0x37800000
	v_cndmask_b32_e32 v26, v26, v36, vcc_lo
	v_and_b32_e32 v36, 0x80000000, v38
	s_delay_alu instid0(VALU_DEP_2) | instskip(NEXT) | instid1(VALU_DEP_1)
	v_lshlrev_b32_e32 v26, 21, v26
	v_or3_b32 v26, v36, v27, v26
.LBB6_4686:                             ;   in Loop: Header=BB6_3265 Depth=4
	s_or_b32 exec_lo, exec_lo, s34
	v_and_b32_e32 v36, 0xff, v14
	s_mov_b32 s13, 0
	s_mov_b32 s35, exec_lo
                                        ; implicit-def: $sgpr34
	s_delay_alu instid0(VALU_DEP_1)
	v_cmpx_lt_i16_e32 0x7f, v36
	s_xor_b32 s35, exec_lo, s35
	s_cbranch_execnz .LBB6_5644
; %bb.4687:                             ;   in Loop: Header=BB6_3265 Depth=4
	s_or_saveexec_b32 s35, s35
	v_mov_b32_e32 v27, s34
	s_xor_b32 exec_lo, exec_lo, s35
	s_cbranch_execnz .LBB6_5647
.LBB6_4688:                             ;   in Loop: Header=BB6_3265 Depth=4
	s_or_b32 exec_lo, exec_lo, s35
	s_and_saveexec_b32 s34, s13
	s_cbranch_execz .LBB6_4690
.LBB6_4689:                             ;   in Loop: Header=BB6_3265 Depth=4
	v_bfe_u32 v38, v14, 2, 5
	v_lshlrev_b32_e32 v39, 24, v14
	s_delay_alu instid0(VALU_DEP_2) | instskip(SKIP_1) | instid1(VALU_DEP_1)
	v_cmp_eq_u32_e32 vcc_lo, 0, v38
	v_and_b32_e32 v27, 3, v14
	v_clz_i32_u32_e32 v36, v27
	s_delay_alu instid0(VALU_DEP_1) | instskip(NEXT) | instid1(VALU_DEP_1)
	v_min_u32_e32 v36, 32, v36
	v_subrev_nc_u32_e32 v37, 29, v36
	v_sub_nc_u32_e32 v36, 30, v36
	s_delay_alu instid0(VALU_DEP_1) | instskip(NEXT) | instid1(VALU_DEP_1)
	v_dual_cndmask_b32 v36, v38, v36 :: v_dual_lshlrev_b32 v37, v37, v14
	v_and_b32_e32 v37, 3, v37
	s_delay_alu instid0(VALU_DEP_2) | instskip(NEXT) | instid1(VALU_DEP_2)
	v_lshl_add_u32 v36, v36, 23, 0x37800000
	v_cndmask_b32_e32 v27, v27, v37, vcc_lo
	v_and_b32_e32 v37, 0x80000000, v39
	s_delay_alu instid0(VALU_DEP_2) | instskip(NEXT) | instid1(VALU_DEP_1)
	v_lshlrev_b32_e32 v27, 21, v27
	v_or3_b32 v27, v37, v36, v27
.LBB6_4690:                             ;   in Loop: Header=BB6_3265 Depth=4
	s_or_b32 exec_lo, exec_lo, s34
	s_delay_alu instid0(VALU_DEP_1) | instskip(SKIP_2) | instid1(VALU_DEP_2)
	v_add_f32_e32 v26, v26, v27
	v_mov_b32_e32 v60, 0x80
	s_mov_b32 s34, exec_lo
	v_and_b32_e32 v27, 0x7f800000, v26
	s_delay_alu instid0(VALU_DEP_1)
	v_cmpx_ne_u32_e32 0x7f800000, v27
	s_cbranch_execz .LBB6_4698
; %bb.4691:                             ;   in Loop: Header=BB6_3265 Depth=4
	v_mov_b32_e32 v60, 0
	s_mov_b32 s35, exec_lo
	v_cmpx_ne_u32_e32 0, v26
	s_cbranch_execz .LBB6_4697
; %bb.4692:                             ;   in Loop: Header=BB6_3265 Depth=4
	v_bfe_u32 v27, v26, 23, 8
	s_delay_alu instid0(VALU_DEP_1) | instskip(SKIP_1) | instid1(VALU_DEP_2)
	v_sub_nc_u32_e32 v37, 0x70, v27
	v_cmp_gt_u32_e32 vcc_lo, 0x71, v27
	v_dual_cndmask_b32 v37, 0, v37 :: v_dual_and_b32 v36, 0x7fffff, v26
	s_delay_alu instid0(VALU_DEP_1) | instskip(SKIP_2) | instid1(VALU_DEP_4)
	v_or_b32_e32 v38, 0x800000, v36
	v_cmp_eq_u32_e32 vcc_lo, 0, v27
	v_add_nc_u32_e32 v27, 0xffffff91, v27
	v_cndmask_b32_e64 v37, v37, 0x6f, vcc_lo
	s_delay_alu instid0(VALU_DEP_4) | instskip(NEXT) | instid1(VALU_DEP_3)
	v_cndmask_b32_e32 v36, v38, v36, vcc_lo
	v_cndmask_b32_e64 v27, v27, 0xffffff92, vcc_lo
	s_delay_alu instid0(VALU_DEP_3) | instskip(NEXT) | instid1(VALU_DEP_3)
	v_lshl_add_u32 v38, 0x200000, v37, -1
	v_lshrrev_b32_e32 v39, v37, v36
	v_lshlrev_b32_e64 v49, v37, 0x100000
	s_delay_alu instid0(VALU_DEP_4) | instskip(NEXT) | instid1(VALU_DEP_4)
	v_add_nc_u32_e32 v37, v37, v27
	v_and_b32_e32 v36, v38, v36
	s_delay_alu instid0(VALU_DEP_4) | instskip(NEXT) | instid1(VALU_DEP_2)
	v_bfe_u32 v48, v39, 21, 1
	v_cmp_eq_u32_e64 s13, v36, v49
	s_delay_alu instid0(VALU_DEP_2) | instskip(NEXT) | instid1(VALU_DEP_1)
	v_add_nc_u32_e32 v38, -1, v48
	v_cndmask_b32_e64 v36, 0, v38, s13
	v_lshrrev_b32_e32 v38, 23, v39
	s_mov_b32 s13, exec_lo
	s_delay_alu instid0(VALU_DEP_2) | instskip(NEXT) | instid1(VALU_DEP_2)
	v_add_nc_u32_e32 v36, v36, v39
	v_xor_b32_e32 v38, 1, v38
	s_delay_alu instid0(VALU_DEP_2) | instskip(NEXT) | instid1(VALU_DEP_1)
	v_and_b32_e32 v27, 0x1fffff, v36
	v_add_nc_u32_e32 v36, v27, v39
                                        ; implicit-def: $vgpr27
	s_delay_alu instid0(VALU_DEP_3)
	v_cmpx_ne_u32_e64 v37, v38
	s_xor_b32 s13, exec_lo, s13
; %bb.4693:                             ;   in Loop: Header=BB6_3265 Depth=4
	s_delay_alu instid0(VALU_DEP_2) | instskip(SKIP_2) | instid1(VALU_DEP_2)
	v_cmp_lt_u32_e32 vcc_lo, 0xffffff, v36
	v_sub_nc_u32_e32 v27, v37, v38
	v_cndmask_b32_e64 v37, 0, 1, vcc_lo
	v_add_co_ci_u32_e32 v27, vcc_lo, 0, v27, vcc_lo
	s_delay_alu instid0(VALU_DEP_2)
	v_lshrrev_b32_e32 v36, v37, v36
; %bb.4694:                             ;   in Loop: Header=BB6_3265 Depth=4
	s_and_not1_saveexec_b32 s13, s13
; %bb.4695:                             ;   in Loop: Header=BB6_3265 Depth=4
	s_delay_alu instid0(VALU_DEP_1)
	v_bfe_u32 v27, v36, 23, 1
; %bb.4696:                             ;   in Loop: Header=BB6_3265 Depth=4
	s_or_b32 exec_lo, exec_lo, s13
	v_lshrrev_b32_e32 v36, 21, v36
	s_delay_alu instid0(VALU_DEP_2) | instskip(SKIP_2) | instid1(VALU_DEP_4)
	v_cmp_gt_i32_e32 vcc_lo, 32, v27
	v_lshrrev_b32_e32 v26, 24, v26
	v_min_i32_e32 v37, 31, v27
	v_cndmask_b32_e32 v36, 3, v36, vcc_lo
	s_delay_alu instid0(VALU_DEP_3) | instskip(NEXT) | instid1(VALU_DEP_3)
	v_and_b32_e32 v26, 0x80, v26
	v_lshlrev_b32_e32 v37, 2, v37
	s_delay_alu instid0(VALU_DEP_3) | instskip(SKIP_1) | instid1(VALU_DEP_2)
	v_and_b32_e32 v38, 3, v36
	v_or_b32_e32 v27, v27, v36
	v_or3_b32 v26, v37, v26, v38
	s_delay_alu instid0(VALU_DEP_2) | instskip(NEXT) | instid1(VALU_DEP_2)
	v_cmp_ne_u32_e32 vcc_lo, 0, v27
	v_cndmask_b32_e32 v60, 0, v26, vcc_lo
.LBB6_4697:                             ;   in Loop: Header=BB6_3265 Depth=4
	s_or_b32 exec_lo, exec_lo, s35
.LBB6_4698:                             ;   in Loop: Header=BB6_3265 Depth=4
	s_delay_alu instid0(SALU_CYCLE_1) | instskip(SKIP_3) | instid1(VALU_DEP_1)
	s_or_b32 exec_lo, exec_lo, s34
	v_and_b32_e32 v27, 0xff, v58
	s_mov_b32 s13, 0
	s_mov_b32 s35, exec_lo
                                        ; implicit-def: $sgpr34
	v_cmpx_lt_i16_e32 0x7f, v27
	s_xor_b32 s35, exec_lo, s35
	s_cbranch_execnz .LBB6_5648
; %bb.4699:                             ;   in Loop: Header=BB6_3265 Depth=4
	s_or_saveexec_b32 s35, s35
	v_mov_b32_e32 v26, s34
	s_xor_b32 exec_lo, exec_lo, s35
	s_cbranch_execnz .LBB6_5651
.LBB6_4700:                             ;   in Loop: Header=BB6_3265 Depth=4
	s_or_b32 exec_lo, exec_lo, s35
	s_and_saveexec_b32 s34, s13
	s_cbranch_execz .LBB6_4702
.LBB6_4701:                             ;   in Loop: Header=BB6_3265 Depth=4
	v_bfe_u32 v37, v58, 2, 5
	v_lshlrev_b32_e32 v38, 24, v58
	s_delay_alu instid0(VALU_DEP_2) | instskip(SKIP_1) | instid1(VALU_DEP_1)
	v_cmp_eq_u32_e32 vcc_lo, 0, v37
	v_and_b32_e32 v26, 3, v58
	v_clz_i32_u32_e32 v27, v26
	s_delay_alu instid0(VALU_DEP_1) | instskip(NEXT) | instid1(VALU_DEP_1)
	v_min_u32_e32 v27, 32, v27
	v_subrev_nc_u32_e32 v36, 29, v27
	v_sub_nc_u32_e32 v27, 30, v27
	s_delay_alu instid0(VALU_DEP_1) | instskip(NEXT) | instid1(VALU_DEP_1)
	v_dual_cndmask_b32 v27, v37, v27 :: v_dual_lshlrev_b32 v36, v36, v58
	v_and_b32_e32 v36, 3, v36
	s_delay_alu instid0(VALU_DEP_2) | instskip(NEXT) | instid1(VALU_DEP_2)
	v_lshl_add_u32 v27, v27, 23, 0x37800000
	v_cndmask_b32_e32 v26, v26, v36, vcc_lo
	v_and_b32_e32 v36, 0x80000000, v38
	s_delay_alu instid0(VALU_DEP_2) | instskip(NEXT) | instid1(VALU_DEP_1)
	v_lshlrev_b32_e32 v26, 21, v26
	v_or3_b32 v26, v36, v27, v26
.LBB6_4702:                             ;   in Loop: Header=BB6_3265 Depth=4
	s_or_b32 exec_lo, exec_lo, s34
	v_lshrrev_b16 v27, 8, v14
	s_mov_b32 s13, 0
	s_mov_b32 s35, exec_lo
                                        ; implicit-def: $sgpr34
	s_delay_alu instid0(VALU_DEP_1)
	v_cmpx_lt_i16_e32 0x7f, v27
	s_xor_b32 s35, exec_lo, s35
	s_cbranch_execnz .LBB6_5652
; %bb.4703:                             ;   in Loop: Header=BB6_3265 Depth=4
	s_or_saveexec_b32 s35, s35
	v_mov_b32_e32 v36, s34
	s_xor_b32 exec_lo, exec_lo, s35
	s_cbranch_execnz .LBB6_5655
.LBB6_4704:                             ;   in Loop: Header=BB6_3265 Depth=4
	s_or_b32 exec_lo, exec_lo, s35
	s_and_saveexec_b32 s34, s13
	s_cbranch_execz .LBB6_4706
.LBB6_4705:                             ;   in Loop: Header=BB6_3265 Depth=4
	v_and_b32_e32 v36, 0xffff, v27
	v_lshlrev_b32_e32 v27, 24, v27
	s_delay_alu instid0(VALU_DEP_2) | instskip(NEXT) | instid1(VALU_DEP_2)
	v_and_b32_e32 v37, 3, v36
	v_and_b32_e32 v27, 0x80000000, v27
	s_delay_alu instid0(VALU_DEP_2) | instskip(NEXT) | instid1(VALU_DEP_1)
	v_clz_i32_u32_e32 v38, v37
	v_min_u32_e32 v38, 32, v38
	s_delay_alu instid0(VALU_DEP_1) | instskip(SKIP_1) | instid1(VALU_DEP_2)
	v_subrev_nc_u32_e32 v39, 29, v38
	v_sub_nc_u32_e32 v38, 30, v38
	v_lshlrev_b32_e32 v39, v39, v36
	v_bfe_u32 v36, v36, 2, 5
	s_delay_alu instid0(VALU_DEP_2) | instskip(NEXT) | instid1(VALU_DEP_2)
	v_and_b32_e32 v39, 3, v39
	v_cmp_eq_u32_e32 vcc_lo, 0, v36
	s_delay_alu instid0(VALU_DEP_2) | instskip(NEXT) | instid1(VALU_DEP_1)
	v_dual_cndmask_b32 v36, v36, v38 :: v_dual_cndmask_b32 v37, v37, v39
	v_lshl_add_u32 v36, v36, 23, 0x37800000
	s_delay_alu instid0(VALU_DEP_2) | instskip(NEXT) | instid1(VALU_DEP_1)
	v_lshlrev_b32_e32 v37, 21, v37
	v_or3_b32 v36, v27, v36, v37
.LBB6_4706:                             ;   in Loop: Header=BB6_3265 Depth=4
	s_or_b32 exec_lo, exec_lo, s34
	s_delay_alu instid0(VALU_DEP_1) | instskip(SKIP_2) | instid1(VALU_DEP_2)
	v_add_f32_e32 v26, v26, v36
	v_mov_b32_e32 v58, 0x80
	s_mov_b32 s34, exec_lo
	v_and_b32_e32 v27, 0x7f800000, v26
	s_delay_alu instid0(VALU_DEP_1)
	v_cmpx_ne_u32_e32 0x7f800000, v27
	s_cbranch_execz .LBB6_4714
; %bb.4707:                             ;   in Loop: Header=BB6_3265 Depth=4
	v_mov_b32_e32 v58, 0
	s_mov_b32 s35, exec_lo
	v_cmpx_ne_u32_e32 0, v26
	s_cbranch_execz .LBB6_4713
; %bb.4708:                             ;   in Loop: Header=BB6_3265 Depth=4
	v_bfe_u32 v27, v26, 23, 8
	s_delay_alu instid0(VALU_DEP_1) | instskip(SKIP_1) | instid1(VALU_DEP_2)
	v_sub_nc_u32_e32 v37, 0x70, v27
	v_cmp_gt_u32_e32 vcc_lo, 0x71, v27
	v_dual_cndmask_b32 v37, 0, v37 :: v_dual_and_b32 v36, 0x7fffff, v26
	s_delay_alu instid0(VALU_DEP_1) | instskip(SKIP_2) | instid1(VALU_DEP_4)
	v_or_b32_e32 v38, 0x800000, v36
	v_cmp_eq_u32_e32 vcc_lo, 0, v27
	v_add_nc_u32_e32 v27, 0xffffff91, v27
	v_cndmask_b32_e64 v37, v37, 0x6f, vcc_lo
	s_delay_alu instid0(VALU_DEP_4) | instskip(NEXT) | instid1(VALU_DEP_3)
	v_cndmask_b32_e32 v36, v38, v36, vcc_lo
	v_cndmask_b32_e64 v27, v27, 0xffffff92, vcc_lo
	s_delay_alu instid0(VALU_DEP_3) | instskip(NEXT) | instid1(VALU_DEP_3)
	v_lshl_add_u32 v38, 0x200000, v37, -1
	v_lshrrev_b32_e32 v39, v37, v36
	v_lshlrev_b32_e64 v49, v37, 0x100000
	s_delay_alu instid0(VALU_DEP_4) | instskip(NEXT) | instid1(VALU_DEP_4)
	v_add_nc_u32_e32 v37, v37, v27
	v_and_b32_e32 v36, v38, v36
	s_delay_alu instid0(VALU_DEP_4) | instskip(NEXT) | instid1(VALU_DEP_2)
	v_bfe_u32 v48, v39, 21, 1
	v_cmp_eq_u32_e64 s13, v36, v49
	s_delay_alu instid0(VALU_DEP_2) | instskip(NEXT) | instid1(VALU_DEP_1)
	v_add_nc_u32_e32 v38, -1, v48
	v_cndmask_b32_e64 v36, 0, v38, s13
	v_lshrrev_b32_e32 v38, 23, v39
	s_mov_b32 s13, exec_lo
	s_delay_alu instid0(VALU_DEP_2) | instskip(NEXT) | instid1(VALU_DEP_2)
	v_add_nc_u32_e32 v36, v36, v39
	v_xor_b32_e32 v38, 1, v38
	s_delay_alu instid0(VALU_DEP_2) | instskip(NEXT) | instid1(VALU_DEP_1)
	v_and_b32_e32 v27, 0x1fffff, v36
	v_add_nc_u32_e32 v36, v27, v39
                                        ; implicit-def: $vgpr27
	s_delay_alu instid0(VALU_DEP_3)
	v_cmpx_ne_u32_e64 v37, v38
	s_xor_b32 s13, exec_lo, s13
; %bb.4709:                             ;   in Loop: Header=BB6_3265 Depth=4
	s_delay_alu instid0(VALU_DEP_2) | instskip(SKIP_2) | instid1(VALU_DEP_2)
	v_cmp_lt_u32_e32 vcc_lo, 0xffffff, v36
	v_sub_nc_u32_e32 v27, v37, v38
	v_cndmask_b32_e64 v37, 0, 1, vcc_lo
	v_add_co_ci_u32_e32 v27, vcc_lo, 0, v27, vcc_lo
	s_delay_alu instid0(VALU_DEP_2)
	v_lshrrev_b32_e32 v36, v37, v36
; %bb.4710:                             ;   in Loop: Header=BB6_3265 Depth=4
	s_and_not1_saveexec_b32 s13, s13
; %bb.4711:                             ;   in Loop: Header=BB6_3265 Depth=4
	s_delay_alu instid0(VALU_DEP_1)
	v_bfe_u32 v27, v36, 23, 1
; %bb.4712:                             ;   in Loop: Header=BB6_3265 Depth=4
	s_or_b32 exec_lo, exec_lo, s13
	v_lshrrev_b32_e32 v36, 21, v36
	s_delay_alu instid0(VALU_DEP_2) | instskip(SKIP_2) | instid1(VALU_DEP_4)
	v_cmp_gt_i32_e32 vcc_lo, 32, v27
	v_lshrrev_b32_e32 v26, 24, v26
	v_min_i32_e32 v37, 31, v27
	v_cndmask_b32_e32 v36, 3, v36, vcc_lo
	s_delay_alu instid0(VALU_DEP_3) | instskip(NEXT) | instid1(VALU_DEP_3)
	v_and_b32_e32 v26, 0x80, v26
	v_lshlrev_b32_e32 v37, 2, v37
	s_delay_alu instid0(VALU_DEP_3) | instskip(SKIP_1) | instid1(VALU_DEP_2)
	v_and_b32_e32 v38, 3, v36
	v_or_b32_e32 v27, v27, v36
	v_or3_b32 v26, v37, v26, v38
	s_delay_alu instid0(VALU_DEP_2) | instskip(NEXT) | instid1(VALU_DEP_2)
	v_cmp_ne_u32_e32 vcc_lo, 0, v27
	v_cndmask_b32_e32 v58, 0, v26, vcc_lo
.LBB6_4713:                             ;   in Loop: Header=BB6_3265 Depth=4
	s_or_b32 exec_lo, exec_lo, s35
.LBB6_4714:                             ;   in Loop: Header=BB6_3265 Depth=4
	s_delay_alu instid0(SALU_CYCLE_1) | instskip(SKIP_3) | instid1(VALU_DEP_1)
	s_or_b32 exec_lo, exec_lo, s34
	v_and_b32_e32 v27, 0xff, v57
	s_mov_b32 s13, 0
	s_mov_b32 s35, exec_lo
                                        ; implicit-def: $sgpr34
	v_cmpx_lt_i16_e32 0x7f, v27
	s_xor_b32 s35, exec_lo, s35
	s_cbranch_execnz .LBB6_5656
; %bb.4715:                             ;   in Loop: Header=BB6_3265 Depth=4
	s_or_saveexec_b32 s35, s35
	v_mov_b32_e32 v26, s34
	s_xor_b32 exec_lo, exec_lo, s35
	s_cbranch_execnz .LBB6_5659
.LBB6_4716:                             ;   in Loop: Header=BB6_3265 Depth=4
	s_or_b32 exec_lo, exec_lo, s35
	s_and_saveexec_b32 s34, s13
	s_cbranch_execz .LBB6_4718
.LBB6_4717:                             ;   in Loop: Header=BB6_3265 Depth=4
	v_bfe_u32 v37, v57, 2, 5
	v_lshlrev_b32_e32 v38, 24, v57
	s_delay_alu instid0(VALU_DEP_2) | instskip(SKIP_1) | instid1(VALU_DEP_1)
	v_cmp_eq_u32_e32 vcc_lo, 0, v37
	v_and_b32_e32 v26, 3, v57
	v_clz_i32_u32_e32 v27, v26
	s_delay_alu instid0(VALU_DEP_1) | instskip(NEXT) | instid1(VALU_DEP_1)
	v_min_u32_e32 v27, 32, v27
	v_subrev_nc_u32_e32 v36, 29, v27
	v_sub_nc_u32_e32 v27, 30, v27
	s_delay_alu instid0(VALU_DEP_1) | instskip(NEXT) | instid1(VALU_DEP_1)
	v_dual_cndmask_b32 v27, v37, v27 :: v_dual_lshlrev_b32 v36, v36, v57
	v_and_b32_e32 v36, 3, v36
	s_delay_alu instid0(VALU_DEP_2) | instskip(NEXT) | instid1(VALU_DEP_2)
	v_lshl_add_u32 v27, v27, 23, 0x37800000
	v_cndmask_b32_e32 v26, v26, v36, vcc_lo
	v_and_b32_e32 v36, 0x80000000, v38
	s_delay_alu instid0(VALU_DEP_2) | instskip(NEXT) | instid1(VALU_DEP_1)
	v_lshlrev_b32_e32 v26, 21, v26
	v_or3_b32 v26, v36, v27, v26
.LBB6_4718:                             ;   in Loop: Header=BB6_3265 Depth=4
	s_or_b32 exec_lo, exec_lo, s34
	v_lshrrev_b32_e32 v27, 16, v14
	s_mov_b32 s13, 0
	s_mov_b32 s35, exec_lo
                                        ; implicit-def: $sgpr34
	s_delay_alu instid0(VALU_DEP_1) | instskip(NEXT) | instid1(VALU_DEP_1)
	v_and_b32_e32 v37, 0xff, v27
	v_cmpx_lt_i16_e32 0x7f, v37
	s_xor_b32 s35, exec_lo, s35
	s_cbranch_execnz .LBB6_5660
; %bb.4719:                             ;   in Loop: Header=BB6_3265 Depth=4
	s_or_saveexec_b32 s35, s35
	v_mov_b32_e32 v36, s34
	s_xor_b32 exec_lo, exec_lo, s35
	s_cbranch_execnz .LBB6_5663
.LBB6_4720:                             ;   in Loop: Header=BB6_3265 Depth=4
	s_or_b32 exec_lo, exec_lo, s35
	s_and_saveexec_b32 s34, s13
	s_cbranch_execz .LBB6_4722
.LBB6_4721:                             ;   in Loop: Header=BB6_3265 Depth=4
	v_bfe_u32 v36, v14, 16, 2
	v_lshlrev_b32_e32 v39, 8, v14
	s_delay_alu instid0(VALU_DEP_2) | instskip(NEXT) | instid1(VALU_DEP_1)
	v_clz_i32_u32_e32 v37, v36
	v_min_u32_e32 v37, 32, v37
	s_delay_alu instid0(VALU_DEP_1) | instskip(SKIP_1) | instid1(VALU_DEP_2)
	v_subrev_nc_u32_e32 v38, 29, v37
	v_sub_nc_u32_e32 v37, 30, v37
	v_lshlrev_b32_e32 v27, v38, v27
	v_bfe_u32 v38, v14, 18, 5
	s_delay_alu instid0(VALU_DEP_2) | instskip(NEXT) | instid1(VALU_DEP_2)
	v_and_b32_e32 v27, 3, v27
	v_cmp_eq_u32_e32 vcc_lo, 0, v38
	v_cndmask_b32_e32 v37, v38, v37, vcc_lo
	s_delay_alu instid0(VALU_DEP_3) | instskip(SKIP_1) | instid1(VALU_DEP_3)
	v_cndmask_b32_e32 v27, v36, v27, vcc_lo
	v_and_b32_e32 v36, 0x80000000, v39
	v_lshl_add_u32 v37, v37, 23, 0x37800000
	s_delay_alu instid0(VALU_DEP_3) | instskip(NEXT) | instid1(VALU_DEP_1)
	v_lshlrev_b32_e32 v27, 21, v27
	v_or3_b32 v36, v36, v37, v27
.LBB6_4722:                             ;   in Loop: Header=BB6_3265 Depth=4
	s_or_b32 exec_lo, exec_lo, s34
	s_delay_alu instid0(VALU_DEP_1) | instskip(SKIP_1) | instid1(VALU_DEP_1)
	v_dual_add_f32 v26, v26, v36 :: v_dual_mov_b32 v57, 0x80
	s_mov_b32 s34, exec_lo
	v_and_b32_e32 v27, 0x7f800000, v26
	s_delay_alu instid0(VALU_DEP_1)
	v_cmpx_ne_u32_e32 0x7f800000, v27
	s_cbranch_execz .LBB6_4730
; %bb.4723:                             ;   in Loop: Header=BB6_3265 Depth=4
	v_mov_b32_e32 v57, 0
	s_mov_b32 s35, exec_lo
	v_cmpx_ne_u32_e32 0, v26
	s_cbranch_execz .LBB6_4729
; %bb.4724:                             ;   in Loop: Header=BB6_3265 Depth=4
	v_bfe_u32 v27, v26, 23, 8
	s_delay_alu instid0(VALU_DEP_1) | instskip(SKIP_1) | instid1(VALU_DEP_2)
	v_sub_nc_u32_e32 v37, 0x70, v27
	v_cmp_gt_u32_e32 vcc_lo, 0x71, v27
	v_dual_cndmask_b32 v37, 0, v37 :: v_dual_and_b32 v36, 0x7fffff, v26
	s_delay_alu instid0(VALU_DEP_1) | instskip(SKIP_2) | instid1(VALU_DEP_4)
	v_or_b32_e32 v38, 0x800000, v36
	v_cmp_eq_u32_e32 vcc_lo, 0, v27
	v_add_nc_u32_e32 v27, 0xffffff91, v27
	v_cndmask_b32_e64 v37, v37, 0x6f, vcc_lo
	s_delay_alu instid0(VALU_DEP_4) | instskip(NEXT) | instid1(VALU_DEP_3)
	v_cndmask_b32_e32 v36, v38, v36, vcc_lo
	v_cndmask_b32_e64 v27, v27, 0xffffff92, vcc_lo
	s_delay_alu instid0(VALU_DEP_3) | instskip(NEXT) | instid1(VALU_DEP_3)
	v_lshl_add_u32 v38, 0x200000, v37, -1
	v_lshrrev_b32_e32 v39, v37, v36
	v_lshlrev_b32_e64 v49, v37, 0x100000
	s_delay_alu instid0(VALU_DEP_4) | instskip(NEXT) | instid1(VALU_DEP_4)
	v_add_nc_u32_e32 v37, v37, v27
	v_and_b32_e32 v36, v38, v36
	s_delay_alu instid0(VALU_DEP_4) | instskip(NEXT) | instid1(VALU_DEP_2)
	v_bfe_u32 v48, v39, 21, 1
	v_cmp_eq_u32_e64 s13, v36, v49
	s_delay_alu instid0(VALU_DEP_2) | instskip(NEXT) | instid1(VALU_DEP_1)
	v_add_nc_u32_e32 v38, -1, v48
	v_cndmask_b32_e64 v36, 0, v38, s13
	v_lshrrev_b32_e32 v38, 23, v39
	s_mov_b32 s13, exec_lo
	s_delay_alu instid0(VALU_DEP_2) | instskip(NEXT) | instid1(VALU_DEP_2)
	v_add_nc_u32_e32 v36, v36, v39
	v_xor_b32_e32 v38, 1, v38
	s_delay_alu instid0(VALU_DEP_2) | instskip(NEXT) | instid1(VALU_DEP_1)
	v_and_b32_e32 v27, 0x1fffff, v36
	v_add_nc_u32_e32 v36, v27, v39
                                        ; implicit-def: $vgpr27
	s_delay_alu instid0(VALU_DEP_3)
	v_cmpx_ne_u32_e64 v37, v38
	s_xor_b32 s13, exec_lo, s13
; %bb.4725:                             ;   in Loop: Header=BB6_3265 Depth=4
	s_delay_alu instid0(VALU_DEP_2) | instskip(SKIP_2) | instid1(VALU_DEP_2)
	v_cmp_lt_u32_e32 vcc_lo, 0xffffff, v36
	v_sub_nc_u32_e32 v27, v37, v38
	v_cndmask_b32_e64 v37, 0, 1, vcc_lo
	v_add_co_ci_u32_e32 v27, vcc_lo, 0, v27, vcc_lo
	s_delay_alu instid0(VALU_DEP_2)
	v_lshrrev_b32_e32 v36, v37, v36
; %bb.4726:                             ;   in Loop: Header=BB6_3265 Depth=4
	s_and_not1_saveexec_b32 s13, s13
; %bb.4727:                             ;   in Loop: Header=BB6_3265 Depth=4
	s_delay_alu instid0(VALU_DEP_1)
	v_bfe_u32 v27, v36, 23, 1
; %bb.4728:                             ;   in Loop: Header=BB6_3265 Depth=4
	s_or_b32 exec_lo, exec_lo, s13
	v_lshrrev_b32_e32 v36, 21, v36
	s_delay_alu instid0(VALU_DEP_2) | instskip(SKIP_2) | instid1(VALU_DEP_2)
	v_cmp_gt_i32_e32 vcc_lo, 32, v27
	v_min_i32_e32 v37, 31, v27
	v_lshrrev_b32_e32 v26, 24, v26
	v_dual_cndmask_b32 v36, 3, v36 :: v_dual_lshlrev_b32 v37, 2, v37
	s_delay_alu instid0(VALU_DEP_2) | instskip(NEXT) | instid1(VALU_DEP_2)
	v_and_b32_e32 v26, 0x80, v26
	v_or_b32_e32 v27, v27, v36
	s_delay_alu instid0(VALU_DEP_1) | instskip(SKIP_1) | instid1(VALU_DEP_1)
	v_cmp_ne_u32_e32 vcc_lo, 0, v27
	v_and_b32_e32 v38, 3, v36
	v_or3_b32 v26, v37, v26, v38
	s_delay_alu instid0(VALU_DEP_1)
	v_cndmask_b32_e32 v57, 0, v26, vcc_lo
.LBB6_4729:                             ;   in Loop: Header=BB6_3265 Depth=4
	s_or_b32 exec_lo, exec_lo, s35
.LBB6_4730:                             ;   in Loop: Header=BB6_3265 Depth=4
	s_delay_alu instid0(SALU_CYCLE_1) | instskip(SKIP_3) | instid1(VALU_DEP_1)
	s_or_b32 exec_lo, exec_lo, s34
	v_and_b32_e32 v27, 0xff, v46
	s_mov_b32 s13, 0
	s_mov_b32 s35, exec_lo
                                        ; implicit-def: $sgpr34
	v_cmpx_lt_i16_e32 0x7f, v27
	s_xor_b32 s35, exec_lo, s35
	s_cbranch_execnz .LBB6_5664
; %bb.4731:                             ;   in Loop: Header=BB6_3265 Depth=4
	s_or_saveexec_b32 s35, s35
	v_mov_b32_e32 v26, s34
	s_xor_b32 exec_lo, exec_lo, s35
	s_cbranch_execnz .LBB6_5667
.LBB6_4732:                             ;   in Loop: Header=BB6_3265 Depth=4
	s_or_b32 exec_lo, exec_lo, s35
	s_and_saveexec_b32 s34, s13
	s_cbranch_execz .LBB6_4734
.LBB6_4733:                             ;   in Loop: Header=BB6_3265 Depth=4
	v_lshlrev_b32_e32 v26, 8, v46
	s_delay_alu instid0(VALU_DEP_1) | instskip(SKIP_1) | instid1(VALU_DEP_2)
	v_and_b32_e32 v36, 0xff00, v26
	v_bfe_u32 v26, v26, 10, 5
	v_bfe_u32 v37, v36, 8, 2
	s_delay_alu instid0(VALU_DEP_2) | instskip(SKIP_1) | instid1(VALU_DEP_3)
	v_cmp_eq_u32_e32 vcc_lo, 0, v26
	v_lshlrev_b32_e32 v36, 16, v36
	v_clz_i32_u32_e32 v38, v37
	s_delay_alu instid0(VALU_DEP_2) | instskip(NEXT) | instid1(VALU_DEP_2)
	v_and_b32_e32 v36, 0x80000000, v36
	v_min_u32_e32 v38, 32, v38
	s_delay_alu instid0(VALU_DEP_1) | instskip(SKIP_1) | instid1(VALU_DEP_1)
	v_subrev_nc_u32_e32 v39, 29, v38
	v_sub_nc_u32_e32 v38, 30, v38
	v_dual_cndmask_b32 v26, v26, v38 :: v_dual_lshlrev_b32 v27, v39, v27
	s_delay_alu instid0(VALU_DEP_1) | instskip(NEXT) | instid1(VALU_DEP_2)
	v_and_b32_e32 v27, 3, v27
	v_lshl_add_u32 v26, v26, 23, 0x37800000
	s_delay_alu instid0(VALU_DEP_2) | instskip(NEXT) | instid1(VALU_DEP_1)
	v_cndmask_b32_e32 v27, v37, v27, vcc_lo
	v_lshlrev_b32_e32 v27, 21, v27
	s_delay_alu instid0(VALU_DEP_1)
	v_or3_b32 v26, v36, v26, v27
.LBB6_4734:                             ;   in Loop: Header=BB6_3265 Depth=4
	s_or_b32 exec_lo, exec_lo, s34
	v_lshrrev_b32_e32 v27, 24, v14
	s_mov_b32 s13, 0
	s_mov_b32 s35, exec_lo
                                        ; implicit-def: $sgpr34
	s_delay_alu instid0(VALU_DEP_1)
	v_cmpx_lt_i16_e32 0x7f, v27
	s_xor_b32 s35, exec_lo, s35
	s_cbranch_execnz .LBB6_5668
; %bb.4735:                             ;   in Loop: Header=BB6_3265 Depth=4
	s_or_saveexec_b32 s35, s35
	v_mov_b32_e32 v36, s34
	s_xor_b32 exec_lo, exec_lo, s35
	s_cbranch_execnz .LBB6_5671
.LBB6_4736:                             ;   in Loop: Header=BB6_3265 Depth=4
	s_or_b32 exec_lo, exec_lo, s35
	s_and_saveexec_b32 s34, s13
	s_cbranch_execz .LBB6_4738
.LBB6_4737:                             ;   in Loop: Header=BB6_3265 Depth=4
	v_bfe_u32 v36, v14, 24, 2
	s_delay_alu instid0(VALU_DEP_1) | instskip(NEXT) | instid1(VALU_DEP_1)
	v_clz_i32_u32_e32 v37, v36
	v_min_u32_e32 v37, 32, v37
	s_delay_alu instid0(VALU_DEP_1) | instskip(SKIP_1) | instid1(VALU_DEP_2)
	v_subrev_nc_u32_e32 v38, 29, v37
	v_sub_nc_u32_e32 v37, 30, v37
	v_lshlrev_b32_e32 v27, v38, v27
	v_bfe_u32 v38, v14, 26, 5
	v_and_b32_e32 v14, 0x80000000, v14
	s_delay_alu instid0(VALU_DEP_3) | instskip(NEXT) | instid1(VALU_DEP_3)
	v_and_b32_e32 v27, 3, v27
	v_cmp_eq_u32_e32 vcc_lo, 0, v38
	v_cndmask_b32_e32 v37, v38, v37, vcc_lo
	s_delay_alu instid0(VALU_DEP_3) | instskip(NEXT) | instid1(VALU_DEP_2)
	v_cndmask_b32_e32 v27, v36, v27, vcc_lo
	v_lshl_add_u32 v36, v37, 23, 0x37800000
	s_delay_alu instid0(VALU_DEP_2) | instskip(NEXT) | instid1(VALU_DEP_1)
	v_lshlrev_b32_e32 v27, 21, v27
	v_or3_b32 v36, v14, v36, v27
.LBB6_4738:                             ;   in Loop: Header=BB6_3265 Depth=4
	s_or_b32 exec_lo, exec_lo, s34
	s_delay_alu instid0(VALU_DEP_1) | instskip(NEXT) | instid1(VALU_DEP_1)
	v_add_f32_e32 v26, v26, v36
	v_and_b32_e32 v14, 0x7f800000, v26
	s_delay_alu instid0(VALU_DEP_1)
	v_cmp_ne_u32_e32 vcc_lo, 0x7f800000, v14
	v_mov_b32_e32 v14, 0x80
	s_and_saveexec_b32 s34, vcc_lo
	s_cbranch_execz .LBB6_4746
; %bb.4739:                             ;   in Loop: Header=BB6_3265 Depth=4
	v_mov_b32_e32 v14, 0
	s_mov_b32 s35, exec_lo
	v_cmpx_ne_u32_e32 0, v26
	s_cbranch_execz .LBB6_4745
; %bb.4740:                             ;   in Loop: Header=BB6_3265 Depth=4
	v_bfe_u32 v14, v26, 23, 8
	s_delay_alu instid0(VALU_DEP_1) | instskip(SKIP_1) | instid1(VALU_DEP_2)
	v_sub_nc_u32_e32 v36, 0x70, v14
	v_cmp_gt_u32_e32 vcc_lo, 0x71, v14
	v_dual_cndmask_b32 v36, 0, v36 :: v_dual_and_b32 v27, 0x7fffff, v26
	s_delay_alu instid0(VALU_DEP_1) | instskip(SKIP_2) | instid1(VALU_DEP_4)
	v_or_b32_e32 v37, 0x800000, v27
	v_cmp_eq_u32_e32 vcc_lo, 0, v14
	v_add_nc_u32_e32 v14, 0xffffff91, v14
	v_cndmask_b32_e64 v36, v36, 0x6f, vcc_lo
	s_delay_alu instid0(VALU_DEP_4) | instskip(NEXT) | instid1(VALU_DEP_3)
	v_cndmask_b32_e32 v27, v37, v27, vcc_lo
	v_cndmask_b32_e64 v14, v14, 0xffffff92, vcc_lo
	s_delay_alu instid0(VALU_DEP_3) | instskip(NEXT) | instid1(VALU_DEP_3)
	v_lshl_add_u32 v37, 0x200000, v36, -1
	v_lshrrev_b32_e32 v38, v36, v27
	v_lshlrev_b32_e64 v48, v36, 0x100000
	s_delay_alu instid0(VALU_DEP_4) | instskip(NEXT) | instid1(VALU_DEP_4)
	v_add_nc_u32_e32 v36, v36, v14
	v_and_b32_e32 v27, v37, v27
	s_delay_alu instid0(VALU_DEP_4) | instskip(NEXT) | instid1(VALU_DEP_2)
	v_bfe_u32 v39, v38, 21, 1
	v_cmp_eq_u32_e64 s13, v27, v48
	s_delay_alu instid0(VALU_DEP_2) | instskip(NEXT) | instid1(VALU_DEP_1)
	v_add_nc_u32_e32 v37, -1, v39
	v_cndmask_b32_e64 v27, 0, v37, s13
	v_lshrrev_b32_e32 v37, 23, v38
	s_mov_b32 s13, exec_lo
	s_delay_alu instid0(VALU_DEP_2) | instskip(NEXT) | instid1(VALU_DEP_2)
	v_add_nc_u32_e32 v27, v27, v38
	v_xor_b32_e32 v37, 1, v37
	s_delay_alu instid0(VALU_DEP_2) | instskip(NEXT) | instid1(VALU_DEP_1)
	v_and_b32_e32 v14, 0x1fffff, v27
	v_add_nc_u32_e32 v27, v14, v38
                                        ; implicit-def: $vgpr14
	s_delay_alu instid0(VALU_DEP_3)
	v_cmpx_ne_u32_e64 v36, v37
	s_xor_b32 s13, exec_lo, s13
; %bb.4741:                             ;   in Loop: Header=BB6_3265 Depth=4
	s_delay_alu instid0(VALU_DEP_2) | instskip(SKIP_2) | instid1(VALU_DEP_2)
	v_cmp_lt_u32_e32 vcc_lo, 0xffffff, v27
	v_sub_nc_u32_e32 v14, v36, v37
	v_cndmask_b32_e64 v36, 0, 1, vcc_lo
	v_add_co_ci_u32_e32 v14, vcc_lo, 0, v14, vcc_lo
	s_delay_alu instid0(VALU_DEP_2)
	v_lshrrev_b32_e32 v27, v36, v27
; %bb.4742:                             ;   in Loop: Header=BB6_3265 Depth=4
	s_and_not1_saveexec_b32 s13, s13
; %bb.4743:                             ;   in Loop: Header=BB6_3265 Depth=4
	s_delay_alu instid0(VALU_DEP_1)
	v_bfe_u32 v14, v27, 23, 1
; %bb.4744:                             ;   in Loop: Header=BB6_3265 Depth=4
	s_or_b32 exec_lo, exec_lo, s13
	v_lshrrev_b32_e32 v27, 21, v27
	s_delay_alu instid0(VALU_DEP_2) | instskip(SKIP_2) | instid1(VALU_DEP_2)
	v_cmp_gt_i32_e32 vcc_lo, 32, v14
	v_lshrrev_b32_e32 v26, 24, v26
	v_min_i32_e32 v36, 31, v14
	v_dual_cndmask_b32 v27, 3, v27 :: v_dual_and_b32 v26, 0x80, v26
	s_delay_alu instid0(VALU_DEP_2) | instskip(NEXT) | instid1(VALU_DEP_2)
	v_lshlrev_b32_e32 v36, 2, v36
	v_or_b32_e32 v14, v14, v27
	s_delay_alu instid0(VALU_DEP_1) | instskip(SKIP_1) | instid1(VALU_DEP_1)
	v_cmp_ne_u32_e32 vcc_lo, 0, v14
	v_and_b32_e32 v37, 3, v27
	v_or3_b32 v26, v36, v26, v37
	s_delay_alu instid0(VALU_DEP_1)
	v_cndmask_b32_e32 v14, 0, v26, vcc_lo
.LBB6_4745:                             ;   in Loop: Header=BB6_3265 Depth=4
	s_or_b32 exec_lo, exec_lo, s35
.LBB6_4746:                             ;   in Loop: Header=BB6_3265 Depth=4
	s_delay_alu instid0(SALU_CYCLE_1) | instskip(SKIP_3) | instid1(VALU_DEP_1)
	s_or_b32 exec_lo, exec_lo, s34
	v_or_b32_e32 v26, v59, v45
	s_mov_b32 s13, 0
	s_mov_b32 s35, exec_lo
                                        ; implicit-def: $sgpr34
	v_and_b32_e32 v36, 0xff, v26
	s_delay_alu instid0(VALU_DEP_1)
	v_cmpx_lt_i16_e32 0x7f, v36
	s_xor_b32 s35, exec_lo, s35
	s_cbranch_execnz .LBB6_5672
; %bb.4747:                             ;   in Loop: Header=BB6_3265 Depth=4
	s_or_saveexec_b32 s35, s35
	v_mov_b32_e32 v27, s34
	s_xor_b32 exec_lo, exec_lo, s35
	s_cbranch_execnz .LBB6_5675
.LBB6_4748:                             ;   in Loop: Header=BB6_3265 Depth=4
	s_or_b32 exec_lo, exec_lo, s35
	s_and_saveexec_b32 s34, s13
	s_cbranch_execz .LBB6_4750
.LBB6_4749:                             ;   in Loop: Header=BB6_3265 Depth=4
	v_bfe_u32 v38, v26, 2, 5
	v_lshlrev_b32_e32 v39, 24, v26
	s_delay_alu instid0(VALU_DEP_2) | instskip(SKIP_1) | instid1(VALU_DEP_1)
	v_cmp_eq_u32_e32 vcc_lo, 0, v38
	v_and_b32_e32 v27, 3, v26
	v_clz_i32_u32_e32 v36, v27
	s_delay_alu instid0(VALU_DEP_1) | instskip(NEXT) | instid1(VALU_DEP_1)
	v_min_u32_e32 v36, 32, v36
	v_subrev_nc_u32_e32 v37, 29, v36
	v_sub_nc_u32_e32 v36, 30, v36
	s_delay_alu instid0(VALU_DEP_1) | instskip(NEXT) | instid1(VALU_DEP_1)
	v_dual_cndmask_b32 v36, v38, v36 :: v_dual_lshlrev_b32 v37, v37, v26
	v_and_b32_e32 v37, 3, v37
	s_delay_alu instid0(VALU_DEP_2) | instskip(NEXT) | instid1(VALU_DEP_2)
	v_lshl_add_u32 v36, v36, 23, 0x37800000
	v_cndmask_b32_e32 v27, v27, v37, vcc_lo
	v_and_b32_e32 v37, 0x80000000, v39
	s_delay_alu instid0(VALU_DEP_2) | instskip(NEXT) | instid1(VALU_DEP_1)
	v_lshlrev_b32_e32 v27, 21, v27
	v_or3_b32 v27, v37, v36, v27
.LBB6_4750:                             ;   in Loop: Header=BB6_3265 Depth=4
	s_or_b32 exec_lo, exec_lo, s34
	v_and_b32_e32 v37, 0xff, v15
	s_mov_b32 s13, 0
	s_mov_b32 s35, exec_lo
                                        ; implicit-def: $sgpr34
	s_delay_alu instid0(VALU_DEP_1)
	v_cmpx_lt_i16_e32 0x7f, v37
	s_xor_b32 s35, exec_lo, s35
	s_cbranch_execnz .LBB6_5676
; %bb.4751:                             ;   in Loop: Header=BB6_3265 Depth=4
	s_or_saveexec_b32 s35, s35
	v_mov_b32_e32 v36, s34
	s_xor_b32 exec_lo, exec_lo, s35
	s_cbranch_execnz .LBB6_5679
.LBB6_4752:                             ;   in Loop: Header=BB6_3265 Depth=4
	s_or_b32 exec_lo, exec_lo, s35
	s_and_saveexec_b32 s34, s13
	s_cbranch_execz .LBB6_4754
.LBB6_4753:                             ;   in Loop: Header=BB6_3265 Depth=4
	v_bfe_u32 v39, v15, 2, 5
	v_lshlrev_b32_e32 v48, 24, v15
	s_delay_alu instid0(VALU_DEP_2) | instskip(SKIP_1) | instid1(VALU_DEP_1)
	v_cmp_eq_u32_e32 vcc_lo, 0, v39
	v_and_b32_e32 v36, 3, v15
	v_clz_i32_u32_e32 v37, v36
	s_delay_alu instid0(VALU_DEP_1) | instskip(NEXT) | instid1(VALU_DEP_1)
	v_min_u32_e32 v37, 32, v37
	v_subrev_nc_u32_e32 v38, 29, v37
	v_sub_nc_u32_e32 v37, 30, v37
	s_delay_alu instid0(VALU_DEP_1) | instskip(NEXT) | instid1(VALU_DEP_1)
	v_dual_cndmask_b32 v37, v39, v37 :: v_dual_lshlrev_b32 v38, v38, v15
	v_and_b32_e32 v38, 3, v38
	s_delay_alu instid0(VALU_DEP_2) | instskip(NEXT) | instid1(VALU_DEP_2)
	v_lshl_add_u32 v37, v37, 23, 0x37800000
	v_cndmask_b32_e32 v36, v36, v38, vcc_lo
	v_and_b32_e32 v38, 0x80000000, v48
	s_delay_alu instid0(VALU_DEP_2) | instskip(NEXT) | instid1(VALU_DEP_1)
	v_lshlrev_b32_e32 v36, 21, v36
	v_or3_b32 v36, v38, v37, v36
.LBB6_4754:                             ;   in Loop: Header=BB6_3265 Depth=4
	s_or_b32 exec_lo, exec_lo, s34
	s_delay_alu instid0(VALU_DEP_1) | instskip(SKIP_1) | instid1(VALU_DEP_1)
	v_dual_add_f32 v27, v27, v36 :: v_dual_mov_b32 v96, 0x80
	s_mov_b32 s34, exec_lo
	v_and_b32_e32 v36, 0x7f800000, v27
	s_delay_alu instid0(VALU_DEP_1)
	v_cmpx_ne_u32_e32 0x7f800000, v36
	s_cbranch_execz .LBB6_4762
; %bb.4755:                             ;   in Loop: Header=BB6_3265 Depth=4
	v_mov_b32_e32 v96, 0
	s_mov_b32 s35, exec_lo
	v_cmpx_ne_u32_e32 0, v27
	s_cbranch_execz .LBB6_4761
; %bb.4756:                             ;   in Loop: Header=BB6_3265 Depth=4
	v_bfe_u32 v36, v27, 23, 8
	s_delay_alu instid0(VALU_DEP_1) | instskip(SKIP_1) | instid1(VALU_DEP_2)
	v_sub_nc_u32_e32 v38, 0x70, v36
	v_cmp_gt_u32_e32 vcc_lo, 0x71, v36
	v_dual_cndmask_b32 v38, 0, v38 :: v_dual_and_b32 v37, 0x7fffff, v27
	s_delay_alu instid0(VALU_DEP_1) | instskip(SKIP_2) | instid1(VALU_DEP_4)
	v_or_b32_e32 v39, 0x800000, v37
	v_cmp_eq_u32_e32 vcc_lo, 0, v36
	v_add_nc_u32_e32 v36, 0xffffff91, v36
	v_cndmask_b32_e64 v38, v38, 0x6f, vcc_lo
	s_delay_alu instid0(VALU_DEP_4) | instskip(NEXT) | instid1(VALU_DEP_3)
	v_cndmask_b32_e32 v37, v39, v37, vcc_lo
	v_cndmask_b32_e64 v36, v36, 0xffffff92, vcc_lo
	s_delay_alu instid0(VALU_DEP_3) | instskip(NEXT) | instid1(VALU_DEP_3)
	v_lshl_add_u32 v39, 0x200000, v38, -1
	v_lshrrev_b32_e32 v48, v38, v37
	v_lshlrev_b32_e64 v50, v38, 0x100000
	s_delay_alu instid0(VALU_DEP_4) | instskip(NEXT) | instid1(VALU_DEP_4)
	v_add_nc_u32_e32 v38, v38, v36
	v_and_b32_e32 v37, v39, v37
	s_delay_alu instid0(VALU_DEP_4) | instskip(NEXT) | instid1(VALU_DEP_2)
	v_bfe_u32 v49, v48, 21, 1
	v_cmp_eq_u32_e64 s13, v37, v50
	s_delay_alu instid0(VALU_DEP_2) | instskip(NEXT) | instid1(VALU_DEP_1)
	v_add_nc_u32_e32 v39, -1, v49
	v_cndmask_b32_e64 v37, 0, v39, s13
	v_lshrrev_b32_e32 v39, 23, v48
	s_mov_b32 s13, exec_lo
	s_delay_alu instid0(VALU_DEP_2) | instskip(NEXT) | instid1(VALU_DEP_2)
	v_add_nc_u32_e32 v37, v37, v48
	v_xor_b32_e32 v39, 1, v39
	s_delay_alu instid0(VALU_DEP_2) | instskip(NEXT) | instid1(VALU_DEP_1)
	v_and_b32_e32 v36, 0x1fffff, v37
	v_add_nc_u32_e32 v37, v36, v48
                                        ; implicit-def: $vgpr36
	s_delay_alu instid0(VALU_DEP_3)
	v_cmpx_ne_u32_e64 v38, v39
	s_xor_b32 s13, exec_lo, s13
; %bb.4757:                             ;   in Loop: Header=BB6_3265 Depth=4
	s_delay_alu instid0(VALU_DEP_2) | instskip(SKIP_2) | instid1(VALU_DEP_2)
	v_cmp_lt_u32_e32 vcc_lo, 0xffffff, v37
	v_sub_nc_u32_e32 v36, v38, v39
	v_cndmask_b32_e64 v38, 0, 1, vcc_lo
	v_add_co_ci_u32_e32 v36, vcc_lo, 0, v36, vcc_lo
	s_delay_alu instid0(VALU_DEP_2)
	v_lshrrev_b32_e32 v37, v38, v37
; %bb.4758:                             ;   in Loop: Header=BB6_3265 Depth=4
	s_and_not1_saveexec_b32 s13, s13
; %bb.4759:                             ;   in Loop: Header=BB6_3265 Depth=4
	s_delay_alu instid0(VALU_DEP_1)
	v_bfe_u32 v36, v37, 23, 1
; %bb.4760:                             ;   in Loop: Header=BB6_3265 Depth=4
	s_or_b32 exec_lo, exec_lo, s13
	v_lshrrev_b32_e32 v37, 21, v37
	s_delay_alu instid0(VALU_DEP_2) | instskip(SKIP_2) | instid1(VALU_DEP_2)
	v_cmp_gt_i32_e32 vcc_lo, 32, v36
	v_min_i32_e32 v38, 31, v36
	v_lshrrev_b32_e32 v27, 24, v27
	v_dual_cndmask_b32 v37, 3, v37 :: v_dual_lshlrev_b32 v38, 2, v38
	s_delay_alu instid0(VALU_DEP_2) | instskip(NEXT) | instid1(VALU_DEP_2)
	v_and_b32_e32 v27, 0x80, v27
	v_or_b32_e32 v36, v36, v37
	s_delay_alu instid0(VALU_DEP_1) | instskip(SKIP_1) | instid1(VALU_DEP_1)
	v_cmp_ne_u32_e32 vcc_lo, 0, v36
	v_and_b32_e32 v39, 3, v37
	v_or3_b32 v27, v38, v27, v39
	s_delay_alu instid0(VALU_DEP_1)
	v_cndmask_b32_e32 v96, 0, v27, vcc_lo
.LBB6_4761:                             ;   in Loop: Header=BB6_3265 Depth=4
	s_or_b32 exec_lo, exec_lo, s35
.LBB6_4762:                             ;   in Loop: Header=BB6_3265 Depth=4
	s_delay_alu instid0(SALU_CYCLE_1) | instskip(SKIP_3) | instid1(VALU_DEP_1)
	s_or_b32 exec_lo, exec_lo, s34
	v_lshrrev_b16 v36, 8, v26
	s_mov_b32 s13, 0
	s_mov_b32 s35, exec_lo
                                        ; implicit-def: $sgpr34
	v_cmpx_lt_i16_e32 0x7f, v36
	s_xor_b32 s35, exec_lo, s35
	s_cbranch_execnz .LBB6_5680
; %bb.4763:                             ;   in Loop: Header=BB6_3265 Depth=4
	s_or_saveexec_b32 s35, s35
	v_mov_b32_e32 v27, s34
	s_xor_b32 exec_lo, exec_lo, s35
	s_cbranch_execnz .LBB6_5683
.LBB6_4764:                             ;   in Loop: Header=BB6_3265 Depth=4
	s_or_b32 exec_lo, exec_lo, s35
	s_and_saveexec_b32 s34, s13
	s_cbranch_execz .LBB6_4766
.LBB6_4765:                             ;   in Loop: Header=BB6_3265 Depth=4
	v_and_b32_e32 v27, 0xffff, v36
	s_delay_alu instid0(VALU_DEP_1) | instskip(NEXT) | instid1(VALU_DEP_1)
	v_and_b32_e32 v37, 3, v27
	v_clz_i32_u32_e32 v38, v37
	s_delay_alu instid0(VALU_DEP_1) | instskip(NEXT) | instid1(VALU_DEP_1)
	v_min_u32_e32 v38, 32, v38
	v_subrev_nc_u32_e32 v39, 29, v38
	v_sub_nc_u32_e32 v38, 30, v38
	s_delay_alu instid0(VALU_DEP_2) | instskip(SKIP_1) | instid1(VALU_DEP_2)
	v_lshlrev_b32_e32 v39, v39, v27
	v_bfe_u32 v27, v27, 2, 5
	v_and_b32_e32 v39, 3, v39
	s_delay_alu instid0(VALU_DEP_2) | instskip(SKIP_1) | instid1(VALU_DEP_1)
	v_cmp_eq_u32_e32 vcc_lo, 0, v27
	v_dual_cndmask_b32 v27, v27, v38 :: v_dual_lshlrev_b32 v36, 24, v36
	v_dual_cndmask_b32 v37, v37, v39 :: v_dual_and_b32 v36, 0x80000000, v36
	s_delay_alu instid0(VALU_DEP_2) | instskip(NEXT) | instid1(VALU_DEP_2)
	v_lshl_add_u32 v27, v27, 23, 0x37800000
	v_lshlrev_b32_e32 v37, 21, v37
	s_delay_alu instid0(VALU_DEP_1)
	v_or3_b32 v27, v36, v27, v37
.LBB6_4766:                             ;   in Loop: Header=BB6_3265 Depth=4
	s_or_b32 exec_lo, exec_lo, s34
	v_lshrrev_b16 v36, 8, v15
	s_mov_b32 s13, 0
	s_mov_b32 s35, exec_lo
                                        ; implicit-def: $sgpr34
	s_delay_alu instid0(VALU_DEP_1)
	v_cmpx_lt_i16_e32 0x7f, v36
	s_xor_b32 s35, exec_lo, s35
	s_cbranch_execnz .LBB6_5684
; %bb.4767:                             ;   in Loop: Header=BB6_3265 Depth=4
	s_or_saveexec_b32 s35, s35
	v_mov_b32_e32 v37, s34
	s_xor_b32 exec_lo, exec_lo, s35
	s_cbranch_execnz .LBB6_5687
.LBB6_4768:                             ;   in Loop: Header=BB6_3265 Depth=4
	s_or_b32 exec_lo, exec_lo, s35
	s_and_saveexec_b32 s34, s13
	s_cbranch_execz .LBB6_4770
.LBB6_4769:                             ;   in Loop: Header=BB6_3265 Depth=4
	v_and_b32_e32 v37, 0xffff, v36
	v_lshlrev_b32_e32 v36, 24, v36
	s_delay_alu instid0(VALU_DEP_2) | instskip(NEXT) | instid1(VALU_DEP_2)
	v_and_b32_e32 v38, 3, v37
	v_and_b32_e32 v36, 0x80000000, v36
	s_delay_alu instid0(VALU_DEP_2) | instskip(NEXT) | instid1(VALU_DEP_1)
	v_clz_i32_u32_e32 v39, v38
	v_min_u32_e32 v39, 32, v39
	s_delay_alu instid0(VALU_DEP_1) | instskip(SKIP_1) | instid1(VALU_DEP_2)
	v_subrev_nc_u32_e32 v48, 29, v39
	v_sub_nc_u32_e32 v39, 30, v39
	v_lshlrev_b32_e32 v48, v48, v37
	v_bfe_u32 v37, v37, 2, 5
	s_delay_alu instid0(VALU_DEP_2) | instskip(NEXT) | instid1(VALU_DEP_2)
	v_and_b32_e32 v48, 3, v48
	v_cmp_eq_u32_e32 vcc_lo, 0, v37
	s_delay_alu instid0(VALU_DEP_2) | instskip(NEXT) | instid1(VALU_DEP_1)
	v_dual_cndmask_b32 v37, v37, v39 :: v_dual_cndmask_b32 v38, v38, v48
	v_lshl_add_u32 v37, v37, 23, 0x37800000
	s_delay_alu instid0(VALU_DEP_2) | instskip(NEXT) | instid1(VALU_DEP_1)
	v_lshlrev_b32_e32 v38, 21, v38
	v_or3_b32 v37, v36, v37, v38
.LBB6_4770:                             ;   in Loop: Header=BB6_3265 Depth=4
	s_or_b32 exec_lo, exec_lo, s34
	s_delay_alu instid0(VALU_DEP_1) | instskip(SKIP_2) | instid1(VALU_DEP_2)
	v_add_f32_e32 v27, v27, v37
	v_mov_b32_e32 v133, 0x8000
	s_mov_b32 s34, exec_lo
	v_and_b32_e32 v36, 0x7f800000, v27
	s_delay_alu instid0(VALU_DEP_1)
	v_cmpx_ne_u32_e32 0x7f800000, v36
	s_cbranch_execz .LBB6_4778
; %bb.4771:                             ;   in Loop: Header=BB6_3265 Depth=4
	v_mov_b32_e32 v133, 0
	s_mov_b32 s35, exec_lo
	v_cmpx_ne_u32_e32 0, v27
	s_cbranch_execz .LBB6_4777
; %bb.4772:                             ;   in Loop: Header=BB6_3265 Depth=4
	v_bfe_u32 v36, v27, 23, 8
	s_delay_alu instid0(VALU_DEP_1) | instskip(SKIP_1) | instid1(VALU_DEP_2)
	v_sub_nc_u32_e32 v38, 0x70, v36
	v_cmp_gt_u32_e32 vcc_lo, 0x71, v36
	v_dual_cndmask_b32 v38, 0, v38 :: v_dual_and_b32 v37, 0x7fffff, v27
	s_delay_alu instid0(VALU_DEP_1) | instskip(SKIP_2) | instid1(VALU_DEP_4)
	v_or_b32_e32 v39, 0x800000, v37
	v_cmp_eq_u32_e32 vcc_lo, 0, v36
	v_add_nc_u32_e32 v36, 0xffffff91, v36
	v_cndmask_b32_e64 v38, v38, 0x6f, vcc_lo
	s_delay_alu instid0(VALU_DEP_4) | instskip(NEXT) | instid1(VALU_DEP_3)
	v_cndmask_b32_e32 v37, v39, v37, vcc_lo
	v_cndmask_b32_e64 v36, v36, 0xffffff92, vcc_lo
	s_delay_alu instid0(VALU_DEP_3) | instskip(NEXT) | instid1(VALU_DEP_3)
	v_lshl_add_u32 v39, 0x200000, v38, -1
	v_lshrrev_b32_e32 v48, v38, v37
	v_lshlrev_b32_e64 v50, v38, 0x100000
	s_delay_alu instid0(VALU_DEP_4) | instskip(NEXT) | instid1(VALU_DEP_4)
	v_add_nc_u32_e32 v38, v38, v36
	v_and_b32_e32 v37, v39, v37
	s_delay_alu instid0(VALU_DEP_4) | instskip(NEXT) | instid1(VALU_DEP_2)
	v_bfe_u32 v49, v48, 21, 1
	v_cmp_eq_u32_e64 s13, v37, v50
	s_delay_alu instid0(VALU_DEP_2) | instskip(NEXT) | instid1(VALU_DEP_1)
	v_add_nc_u32_e32 v39, -1, v49
	v_cndmask_b32_e64 v37, 0, v39, s13
	v_lshrrev_b32_e32 v39, 23, v48
	s_mov_b32 s13, exec_lo
	s_delay_alu instid0(VALU_DEP_2) | instskip(NEXT) | instid1(VALU_DEP_2)
	v_add_nc_u32_e32 v37, v37, v48
	v_xor_b32_e32 v39, 1, v39
	s_delay_alu instid0(VALU_DEP_2) | instskip(NEXT) | instid1(VALU_DEP_1)
	v_and_b32_e32 v36, 0x1fffff, v37
	v_add_nc_u32_e32 v37, v36, v48
                                        ; implicit-def: $vgpr36
	s_delay_alu instid0(VALU_DEP_3)
	v_cmpx_ne_u32_e64 v38, v39
	s_xor_b32 s13, exec_lo, s13
; %bb.4773:                             ;   in Loop: Header=BB6_3265 Depth=4
	s_delay_alu instid0(VALU_DEP_2) | instskip(SKIP_2) | instid1(VALU_DEP_2)
	v_cmp_lt_u32_e32 vcc_lo, 0xffffff, v37
	v_sub_nc_u32_e32 v36, v38, v39
	v_cndmask_b32_e64 v38, 0, 1, vcc_lo
	v_add_co_ci_u32_e32 v36, vcc_lo, 0, v36, vcc_lo
	s_delay_alu instid0(VALU_DEP_2)
	v_lshrrev_b32_e32 v37, v38, v37
; %bb.4774:                             ;   in Loop: Header=BB6_3265 Depth=4
	s_and_not1_saveexec_b32 s13, s13
; %bb.4775:                             ;   in Loop: Header=BB6_3265 Depth=4
	s_delay_alu instid0(VALU_DEP_1)
	v_bfe_u32 v36, v37, 23, 1
; %bb.4776:                             ;   in Loop: Header=BB6_3265 Depth=4
	s_or_b32 exec_lo, exec_lo, s13
	v_lshrrev_b32_e32 v37, 21, v37
	s_delay_alu instid0(VALU_DEP_2) | instskip(SKIP_2) | instid1(VALU_DEP_2)
	v_cmp_gt_i32_e32 vcc_lo, 32, v36
	v_min_i32_e32 v38, 31, v36
	v_lshrrev_b32_e32 v27, 24, v27
	v_dual_cndmask_b32 v37, 3, v37 :: v_dual_lshlrev_b32 v38, 2, v38
	s_delay_alu instid0(VALU_DEP_2) | instskip(NEXT) | instid1(VALU_DEP_2)
	v_and_b32_e32 v27, 0x80, v27
	v_or_b32_e32 v36, v36, v37
	v_and_b32_e32 v39, 3, v37
	s_delay_alu instid0(VALU_DEP_2) | instskip(SKIP_1) | instid1(VALU_DEP_1)
	v_cmp_ne_u32_e32 vcc_lo, 0, v36
	v_and_b32_e32 v38, 0xfc, v38
	v_or3_b32 v27, v27, v38, v39
	s_delay_alu instid0(VALU_DEP_1) | instskip(NEXT) | instid1(VALU_DEP_1)
	v_lshlrev_b32_e32 v27, 8, v27
	v_cndmask_b32_e32 v133, 0, v27, vcc_lo
.LBB6_4777:                             ;   in Loop: Header=BB6_3265 Depth=4
	s_or_b32 exec_lo, exec_lo, s35
.LBB6_4778:                             ;   in Loop: Header=BB6_3265 Depth=4
	s_delay_alu instid0(SALU_CYCLE_1) | instskip(SKIP_3) | instid1(VALU_DEP_1)
	s_or_b32 exec_lo, exec_lo, s34
	v_or_b32_e32 v36, v47, v44
	s_mov_b32 s13, 0
	s_mov_b32 s35, exec_lo
                                        ; implicit-def: $sgpr34
	v_and_b32_e32 v37, 0xff, v36
	s_delay_alu instid0(VALU_DEP_1)
	v_cmpx_lt_i16_e32 0x7f, v37
	s_xor_b32 s35, exec_lo, s35
	s_cbranch_execnz .LBB6_5688
; %bb.4779:                             ;   in Loop: Header=BB6_3265 Depth=4
	s_or_saveexec_b32 s35, s35
	v_mov_b32_e32 v27, s34
	s_xor_b32 exec_lo, exec_lo, s35
	s_cbranch_execnz .LBB6_5691
.LBB6_4780:                             ;   in Loop: Header=BB6_3265 Depth=4
	s_or_b32 exec_lo, exec_lo, s35
	v_lshl_or_b32 v26, v36, 16, v26
	s_and_saveexec_b32 s34, s13
	s_cbranch_execz .LBB6_4782
.LBB6_4781:                             ;   in Loop: Header=BB6_3265 Depth=4
	s_delay_alu instid0(VALU_DEP_1) | instskip(SKIP_2) | instid1(VALU_DEP_3)
	v_bfe_u32 v27, v26, 16, 2
	v_lshrrev_b32_e32 v37, 16, v26
	v_lshlrev_b32_e32 v39, 8, v26
	v_clz_i32_u32_e32 v36, v27
	s_delay_alu instid0(VALU_DEP_1) | instskip(NEXT) | instid1(VALU_DEP_1)
	v_min_u32_e32 v36, 32, v36
	v_subrev_nc_u32_e32 v38, 29, v36
	v_sub_nc_u32_e32 v36, 30, v36
	s_delay_alu instid0(VALU_DEP_2) | instskip(SKIP_1) | instid1(VALU_DEP_1)
	v_lshlrev_b32_e32 v37, v38, v37
	v_bfe_u32 v38, v26, 18, 5
	v_cmp_eq_u32_e32 vcc_lo, 0, v38
	s_delay_alu instid0(VALU_DEP_3) | instskip(NEXT) | instid1(VALU_DEP_1)
	v_dual_cndmask_b32 v36, v38, v36 :: v_dual_and_b32 v37, 3, v37
	v_cndmask_b32_e32 v27, v27, v37, vcc_lo
	v_and_b32_e32 v37, 0x80000000, v39
	s_delay_alu instid0(VALU_DEP_3) | instskip(NEXT) | instid1(VALU_DEP_3)
	v_lshl_add_u32 v36, v36, 23, 0x37800000
	v_lshlrev_b32_e32 v27, 21, v27
	s_delay_alu instid0(VALU_DEP_1)
	v_or3_b32 v27, v37, v36, v27
.LBB6_4782:                             ;   in Loop: Header=BB6_3265 Depth=4
	s_or_b32 exec_lo, exec_lo, s34
	v_lshrrev_b32_e32 v36, 16, v15
	s_mov_b32 s13, 0
	s_mov_b32 s35, exec_lo
                                        ; implicit-def: $sgpr34
	s_delay_alu instid0(VALU_DEP_1) | instskip(NEXT) | instid1(VALU_DEP_1)
	v_and_b32_e32 v38, 0xff, v36
	v_cmpx_lt_i16_e32 0x7f, v38
	s_xor_b32 s35, exec_lo, s35
	s_cbranch_execnz .LBB6_5692
; %bb.4783:                             ;   in Loop: Header=BB6_3265 Depth=4
	s_or_saveexec_b32 s35, s35
	v_mov_b32_e32 v37, s34
	s_xor_b32 exec_lo, exec_lo, s35
	s_cbranch_execnz .LBB6_5695
.LBB6_4784:                             ;   in Loop: Header=BB6_3265 Depth=4
	s_or_b32 exec_lo, exec_lo, s35
	s_and_saveexec_b32 s34, s13
	s_cbranch_execz .LBB6_4786
.LBB6_4785:                             ;   in Loop: Header=BB6_3265 Depth=4
	v_bfe_u32 v37, v15, 16, 2
	v_lshlrev_b32_e32 v48, 8, v15
	s_delay_alu instid0(VALU_DEP_2) | instskip(NEXT) | instid1(VALU_DEP_1)
	v_clz_i32_u32_e32 v38, v37
	v_min_u32_e32 v38, 32, v38
	s_delay_alu instid0(VALU_DEP_1) | instskip(SKIP_1) | instid1(VALU_DEP_2)
	v_subrev_nc_u32_e32 v39, 29, v38
	v_sub_nc_u32_e32 v38, 30, v38
	v_lshlrev_b32_e32 v36, v39, v36
	v_bfe_u32 v39, v15, 18, 5
	s_delay_alu instid0(VALU_DEP_2) | instskip(NEXT) | instid1(VALU_DEP_2)
	v_and_b32_e32 v36, 3, v36
	v_cmp_eq_u32_e32 vcc_lo, 0, v39
	v_cndmask_b32_e32 v38, v39, v38, vcc_lo
	s_delay_alu instid0(VALU_DEP_3) | instskip(SKIP_1) | instid1(VALU_DEP_3)
	v_cndmask_b32_e32 v36, v37, v36, vcc_lo
	v_and_b32_e32 v37, 0x80000000, v48
	v_lshl_add_u32 v38, v38, 23, 0x37800000
	s_delay_alu instid0(VALU_DEP_3) | instskip(NEXT) | instid1(VALU_DEP_1)
	v_lshlrev_b32_e32 v36, 21, v36
	v_or3_b32 v37, v37, v38, v36
.LBB6_4786:                             ;   in Loop: Header=BB6_3265 Depth=4
	s_or_b32 exec_lo, exec_lo, s34
	s_delay_alu instid0(VALU_DEP_1) | instskip(SKIP_2) | instid1(VALU_DEP_2)
	v_add_f32_e32 v27, v27, v37
	v_mov_b32_e32 v103, 0x80
	s_mov_b32 s34, exec_lo
	v_and_b32_e32 v36, 0x7f800000, v27
	s_delay_alu instid0(VALU_DEP_1)
	v_cmpx_ne_u32_e32 0x7f800000, v36
	s_cbranch_execz .LBB6_4794
; %bb.4787:                             ;   in Loop: Header=BB6_3265 Depth=4
	v_mov_b32_e32 v103, 0
	s_mov_b32 s35, exec_lo
	v_cmpx_ne_u32_e32 0, v27
	s_cbranch_execz .LBB6_4793
; %bb.4788:                             ;   in Loop: Header=BB6_3265 Depth=4
	v_bfe_u32 v36, v27, 23, 8
	s_delay_alu instid0(VALU_DEP_1) | instskip(SKIP_1) | instid1(VALU_DEP_2)
	v_sub_nc_u32_e32 v38, 0x70, v36
	v_cmp_gt_u32_e32 vcc_lo, 0x71, v36
	v_dual_cndmask_b32 v38, 0, v38 :: v_dual_and_b32 v37, 0x7fffff, v27
	s_delay_alu instid0(VALU_DEP_1) | instskip(SKIP_2) | instid1(VALU_DEP_4)
	v_or_b32_e32 v39, 0x800000, v37
	v_cmp_eq_u32_e32 vcc_lo, 0, v36
	v_add_nc_u32_e32 v36, 0xffffff91, v36
	v_cndmask_b32_e64 v38, v38, 0x6f, vcc_lo
	s_delay_alu instid0(VALU_DEP_4) | instskip(NEXT) | instid1(VALU_DEP_3)
	v_cndmask_b32_e32 v37, v39, v37, vcc_lo
	v_cndmask_b32_e64 v36, v36, 0xffffff92, vcc_lo
	s_delay_alu instid0(VALU_DEP_3) | instskip(NEXT) | instid1(VALU_DEP_3)
	v_lshl_add_u32 v39, 0x200000, v38, -1
	v_lshrrev_b32_e32 v48, v38, v37
	v_lshlrev_b32_e64 v50, v38, 0x100000
	s_delay_alu instid0(VALU_DEP_4) | instskip(NEXT) | instid1(VALU_DEP_4)
	v_add_nc_u32_e32 v38, v38, v36
	v_and_b32_e32 v37, v39, v37
	s_delay_alu instid0(VALU_DEP_4) | instskip(NEXT) | instid1(VALU_DEP_2)
	v_bfe_u32 v49, v48, 21, 1
	v_cmp_eq_u32_e64 s13, v37, v50
	s_delay_alu instid0(VALU_DEP_2) | instskip(NEXT) | instid1(VALU_DEP_1)
	v_add_nc_u32_e32 v39, -1, v49
	v_cndmask_b32_e64 v37, 0, v39, s13
	v_lshrrev_b32_e32 v39, 23, v48
	s_mov_b32 s13, exec_lo
	s_delay_alu instid0(VALU_DEP_2) | instskip(NEXT) | instid1(VALU_DEP_2)
	v_add_nc_u32_e32 v37, v37, v48
	v_xor_b32_e32 v39, 1, v39
	s_delay_alu instid0(VALU_DEP_2) | instskip(NEXT) | instid1(VALU_DEP_1)
	v_and_b32_e32 v36, 0x1fffff, v37
	v_add_nc_u32_e32 v37, v36, v48
                                        ; implicit-def: $vgpr36
	s_delay_alu instid0(VALU_DEP_3)
	v_cmpx_ne_u32_e64 v38, v39
	s_xor_b32 s13, exec_lo, s13
; %bb.4789:                             ;   in Loop: Header=BB6_3265 Depth=4
	s_delay_alu instid0(VALU_DEP_2) | instskip(SKIP_2) | instid1(VALU_DEP_2)
	v_cmp_lt_u32_e32 vcc_lo, 0xffffff, v37
	v_sub_nc_u32_e32 v36, v38, v39
	v_cndmask_b32_e64 v38, 0, 1, vcc_lo
	v_add_co_ci_u32_e32 v36, vcc_lo, 0, v36, vcc_lo
	s_delay_alu instid0(VALU_DEP_2)
	v_lshrrev_b32_e32 v37, v38, v37
; %bb.4790:                             ;   in Loop: Header=BB6_3265 Depth=4
	s_and_not1_saveexec_b32 s13, s13
; %bb.4791:                             ;   in Loop: Header=BB6_3265 Depth=4
	s_delay_alu instid0(VALU_DEP_1)
	v_bfe_u32 v36, v37, 23, 1
; %bb.4792:                             ;   in Loop: Header=BB6_3265 Depth=4
	s_or_b32 exec_lo, exec_lo, s13
	v_lshrrev_b32_e32 v37, 21, v37
	s_delay_alu instid0(VALU_DEP_2) | instskip(SKIP_2) | instid1(VALU_DEP_2)
	v_cmp_gt_i32_e32 vcc_lo, 32, v36
	v_min_i32_e32 v38, 31, v36
	v_lshrrev_b32_e32 v27, 24, v27
	v_dual_cndmask_b32 v37, 3, v37 :: v_dual_lshlrev_b32 v38, 2, v38
	s_delay_alu instid0(VALU_DEP_2) | instskip(NEXT) | instid1(VALU_DEP_2)
	v_and_b32_e32 v27, 0x80, v27
	v_or_b32_e32 v36, v36, v37
	v_and_b32_e32 v39, 3, v37
	s_delay_alu instid0(VALU_DEP_2) | instskip(SKIP_1) | instid1(VALU_DEP_1)
	v_cmp_ne_u32_e32 vcc_lo, 0, v36
	v_and_b32_e32 v38, 0xfc, v38
	v_or3_b32 v27, v38, v27, v39
	s_delay_alu instid0(VALU_DEP_1)
	v_cndmask_b32_e32 v103, 0, v27, vcc_lo
.LBB6_4793:                             ;   in Loop: Header=BB6_3265 Depth=4
	s_or_b32 exec_lo, exec_lo, s35
.LBB6_4794:                             ;   in Loop: Header=BB6_3265 Depth=4
	s_delay_alu instid0(SALU_CYCLE_1) | instskip(SKIP_3) | instid1(VALU_DEP_1)
	s_or_b32 exec_lo, exec_lo, s34
	v_lshrrev_b32_e32 v36, 24, v26
	s_mov_b32 s13, 0
	s_mov_b32 s35, exec_lo
                                        ; implicit-def: $sgpr34
	v_cmpx_lt_i16_e32 0x7f, v36
	s_xor_b32 s35, exec_lo, s35
	s_cbranch_execnz .LBB6_5696
; %bb.4795:                             ;   in Loop: Header=BB6_3265 Depth=4
	s_or_saveexec_b32 s35, s35
	v_mov_b32_e32 v27, s34
	s_xor_b32 exec_lo, exec_lo, s35
	s_cbranch_execnz .LBB6_5699
.LBB6_4796:                             ;   in Loop: Header=BB6_3265 Depth=4
	s_or_b32 exec_lo, exec_lo, s35
	s_and_saveexec_b32 s34, s13
	s_cbranch_execz .LBB6_4798
.LBB6_4797:                             ;   in Loop: Header=BB6_3265 Depth=4
	v_bfe_u32 v27, v26, 24, 2
	s_delay_alu instid0(VALU_DEP_1) | instskip(NEXT) | instid1(VALU_DEP_1)
	v_clz_i32_u32_e32 v37, v27
	v_min_u32_e32 v37, 32, v37
	s_delay_alu instid0(VALU_DEP_1) | instskip(SKIP_1) | instid1(VALU_DEP_2)
	v_subrev_nc_u32_e32 v38, 29, v37
	v_sub_nc_u32_e32 v37, 30, v37
	v_lshlrev_b32_e32 v36, v38, v36
	v_bfe_u32 v38, v26, 26, 5
	v_and_b32_e32 v26, 0x80000000, v26
	s_delay_alu instid0(VALU_DEP_2) | instskip(NEXT) | instid1(VALU_DEP_4)
	v_cmp_eq_u32_e32 vcc_lo, 0, v38
	v_dual_cndmask_b32 v37, v38, v37 :: v_dual_and_b32 v36, 3, v36
	s_delay_alu instid0(VALU_DEP_1) | instskip(NEXT) | instid1(VALU_DEP_2)
	v_cndmask_b32_e32 v27, v27, v36, vcc_lo
	v_lshl_add_u32 v36, v37, 23, 0x37800000
	s_delay_alu instid0(VALU_DEP_2) | instskip(NEXT) | instid1(VALU_DEP_1)
	v_lshlrev_b32_e32 v27, 21, v27
	v_or3_b32 v27, v26, v36, v27
.LBB6_4798:                             ;   in Loop: Header=BB6_3265 Depth=4
	s_or_b32 exec_lo, exec_lo, s34
	v_lshrrev_b32_e32 v26, 24, v15
	s_mov_b32 s13, 0
	s_mov_b32 s35, exec_lo
                                        ; implicit-def: $sgpr34
	s_delay_alu instid0(VALU_DEP_1)
	v_cmpx_lt_i16_e32 0x7f, v26
	s_xor_b32 s35, exec_lo, s35
	s_cbranch_execnz .LBB6_5700
; %bb.4799:                             ;   in Loop: Header=BB6_3265 Depth=4
	s_or_saveexec_b32 s35, s35
	v_mov_b32_e32 v36, s34
	s_xor_b32 exec_lo, exec_lo, s35
	s_cbranch_execnz .LBB6_5703
.LBB6_4800:                             ;   in Loop: Header=BB6_3265 Depth=4
	s_or_b32 exec_lo, exec_lo, s35
	s_and_saveexec_b32 s34, s13
	s_cbranch_execz .LBB6_4802
.LBB6_4801:                             ;   in Loop: Header=BB6_3265 Depth=4
	v_bfe_u32 v36, v15, 24, 2
	s_delay_alu instid0(VALU_DEP_1) | instskip(NEXT) | instid1(VALU_DEP_1)
	v_clz_i32_u32_e32 v37, v36
	v_min_u32_e32 v37, 32, v37
	s_delay_alu instid0(VALU_DEP_1) | instskip(SKIP_1) | instid1(VALU_DEP_2)
	v_subrev_nc_u32_e32 v38, 29, v37
	v_sub_nc_u32_e32 v37, 30, v37
	v_lshlrev_b32_e32 v26, v38, v26
	v_bfe_u32 v38, v15, 26, 5
	v_and_b32_e32 v15, 0x80000000, v15
	s_delay_alu instid0(VALU_DEP_2) | instskip(NEXT) | instid1(VALU_DEP_4)
	v_cmp_eq_u32_e32 vcc_lo, 0, v38
	v_dual_cndmask_b32 v37, v38, v37 :: v_dual_and_b32 v26, 3, v26
	s_delay_alu instid0(VALU_DEP_1) | instskip(NEXT) | instid1(VALU_DEP_2)
	v_cndmask_b32_e32 v26, v36, v26, vcc_lo
	v_lshl_add_u32 v36, v37, 23, 0x37800000
	s_delay_alu instid0(VALU_DEP_2) | instskip(NEXT) | instid1(VALU_DEP_1)
	v_lshlrev_b32_e32 v26, 21, v26
	v_or3_b32 v36, v15, v36, v26
.LBB6_4802:                             ;   in Loop: Header=BB6_3265 Depth=4
	s_or_b32 exec_lo, exec_lo, s34
	s_delay_alu instid0(VALU_DEP_1) | instskip(NEXT) | instid1(VALU_DEP_1)
	v_add_f32_e32 v26, v27, v36
	v_and_b32_e32 v15, 0x7f800000, v26
	s_delay_alu instid0(VALU_DEP_1)
	v_cmp_ne_u32_e32 vcc_lo, 0x7f800000, v15
	v_mov_b32_e32 v15, 0x8000
	s_and_saveexec_b32 s34, vcc_lo
	s_cbranch_execz .LBB6_4810
; %bb.4803:                             ;   in Loop: Header=BB6_3265 Depth=4
	v_mov_b32_e32 v15, 0
	s_mov_b32 s35, exec_lo
	v_cmpx_ne_u32_e32 0, v26
	s_cbranch_execz .LBB6_4809
; %bb.4804:                             ;   in Loop: Header=BB6_3265 Depth=4
	v_bfe_u32 v15, v26, 23, 8
	s_delay_alu instid0(VALU_DEP_1) | instskip(SKIP_1) | instid1(VALU_DEP_2)
	v_sub_nc_u32_e32 v36, 0x70, v15
	v_cmp_gt_u32_e32 vcc_lo, 0x71, v15
	v_dual_cndmask_b32 v36, 0, v36 :: v_dual_and_b32 v27, 0x7fffff, v26
	s_delay_alu instid0(VALU_DEP_1) | instskip(SKIP_2) | instid1(VALU_DEP_4)
	v_or_b32_e32 v37, 0x800000, v27
	v_cmp_eq_u32_e32 vcc_lo, 0, v15
	v_add_nc_u32_e32 v15, 0xffffff91, v15
	v_cndmask_b32_e64 v36, v36, 0x6f, vcc_lo
	s_delay_alu instid0(VALU_DEP_4) | instskip(NEXT) | instid1(VALU_DEP_3)
	v_cndmask_b32_e32 v27, v37, v27, vcc_lo
	v_cndmask_b32_e64 v15, v15, 0xffffff92, vcc_lo
	s_delay_alu instid0(VALU_DEP_3) | instskip(NEXT) | instid1(VALU_DEP_3)
	v_lshl_add_u32 v37, 0x200000, v36, -1
	v_lshrrev_b32_e32 v38, v36, v27
	v_lshlrev_b32_e64 v48, v36, 0x100000
	s_delay_alu instid0(VALU_DEP_4) | instskip(NEXT) | instid1(VALU_DEP_4)
	v_add_nc_u32_e32 v36, v36, v15
	v_and_b32_e32 v27, v37, v27
	s_delay_alu instid0(VALU_DEP_4) | instskip(NEXT) | instid1(VALU_DEP_2)
	v_bfe_u32 v39, v38, 21, 1
	v_cmp_eq_u32_e64 s13, v27, v48
	s_delay_alu instid0(VALU_DEP_2) | instskip(NEXT) | instid1(VALU_DEP_1)
	v_add_nc_u32_e32 v37, -1, v39
	v_cndmask_b32_e64 v27, 0, v37, s13
	v_lshrrev_b32_e32 v37, 23, v38
	s_mov_b32 s13, exec_lo
	s_delay_alu instid0(VALU_DEP_2) | instskip(NEXT) | instid1(VALU_DEP_2)
	v_add_nc_u32_e32 v27, v27, v38
	v_xor_b32_e32 v37, 1, v37
	s_delay_alu instid0(VALU_DEP_2) | instskip(NEXT) | instid1(VALU_DEP_1)
	v_and_b32_e32 v15, 0x1fffff, v27
	v_add_nc_u32_e32 v27, v15, v38
                                        ; implicit-def: $vgpr15
	s_delay_alu instid0(VALU_DEP_3)
	v_cmpx_ne_u32_e64 v36, v37
	s_xor_b32 s13, exec_lo, s13
; %bb.4805:                             ;   in Loop: Header=BB6_3265 Depth=4
	s_delay_alu instid0(VALU_DEP_2) | instskip(SKIP_2) | instid1(VALU_DEP_2)
	v_cmp_lt_u32_e32 vcc_lo, 0xffffff, v27
	v_sub_nc_u32_e32 v15, v36, v37
	v_cndmask_b32_e64 v36, 0, 1, vcc_lo
	v_add_co_ci_u32_e32 v15, vcc_lo, 0, v15, vcc_lo
	s_delay_alu instid0(VALU_DEP_2)
	v_lshrrev_b32_e32 v27, v36, v27
; %bb.4806:                             ;   in Loop: Header=BB6_3265 Depth=4
	s_and_not1_saveexec_b32 s13, s13
; %bb.4807:                             ;   in Loop: Header=BB6_3265 Depth=4
	s_delay_alu instid0(VALU_DEP_1)
	v_bfe_u32 v15, v27, 23, 1
; %bb.4808:                             ;   in Loop: Header=BB6_3265 Depth=4
	s_or_b32 exec_lo, exec_lo, s13
	v_lshrrev_b32_e32 v27, 21, v27
	s_delay_alu instid0(VALU_DEP_2) | instskip(SKIP_2) | instid1(VALU_DEP_2)
	v_cmp_gt_i32_e32 vcc_lo, 32, v15
	v_min_i32_e32 v36, 31, v15
	v_lshrrev_b32_e32 v26, 24, v26
	v_dual_cndmask_b32 v27, 3, v27 :: v_dual_lshlrev_b32 v36, 2, v36
	s_delay_alu instid0(VALU_DEP_2) | instskip(NEXT) | instid1(VALU_DEP_2)
	v_and_b32_e32 v26, 0x80, v26
	v_or_b32_e32 v15, v15, v27
	v_and_b32_e32 v37, 3, v27
	s_delay_alu instid0(VALU_DEP_2) | instskip(SKIP_1) | instid1(VALU_DEP_1)
	v_cmp_ne_u32_e32 vcc_lo, 0, v15
	v_and_b32_e32 v36, 0xfc, v36
	v_or3_b32 v26, v26, v36, v37
	s_delay_alu instid0(VALU_DEP_1) | instskip(NEXT) | instid1(VALU_DEP_1)
	v_lshlrev_b32_e32 v26, 8, v26
	v_cndmask_b32_e32 v15, 0, v26, vcc_lo
.LBB6_4809:                             ;   in Loop: Header=BB6_3265 Depth=4
	s_or_b32 exec_lo, exec_lo, s35
.LBB6_4810:                             ;   in Loop: Header=BB6_3265 Depth=4
	s_delay_alu instid0(SALU_CYCLE_1) | instskip(SKIP_3) | instid1(VALU_DEP_1)
	s_or_b32 exec_lo, exec_lo, s34
	v_and_b32_e32 v27, 0xff, v42
	s_mov_b32 s13, 0
	s_mov_b32 s35, exec_lo
                                        ; implicit-def: $sgpr34
	v_cmpx_lt_i16_e32 0x7f, v27
	s_xor_b32 s35, exec_lo, s35
	s_cbranch_execnz .LBB6_5704
; %bb.4811:                             ;   in Loop: Header=BB6_3265 Depth=4
	s_or_saveexec_b32 s35, s35
	v_mov_b32_e32 v26, s34
	s_xor_b32 exec_lo, exec_lo, s35
	s_cbranch_execnz .LBB6_5707
.LBB6_4812:                             ;   in Loop: Header=BB6_3265 Depth=4
	s_or_b32 exec_lo, exec_lo, s35
	s_and_saveexec_b32 s34, s13
	s_cbranch_execz .LBB6_4814
.LBB6_4813:                             ;   in Loop: Header=BB6_3265 Depth=4
	v_bfe_u32 v37, v42, 2, 5
	v_lshlrev_b32_e32 v38, 24, v42
	s_delay_alu instid0(VALU_DEP_2) | instskip(SKIP_1) | instid1(VALU_DEP_1)
	v_cmp_eq_u32_e32 vcc_lo, 0, v37
	v_and_b32_e32 v26, 3, v42
	v_clz_i32_u32_e32 v27, v26
	s_delay_alu instid0(VALU_DEP_1) | instskip(NEXT) | instid1(VALU_DEP_1)
	v_min_u32_e32 v27, 32, v27
	v_subrev_nc_u32_e32 v36, 29, v27
	v_sub_nc_u32_e32 v27, 30, v27
	s_delay_alu instid0(VALU_DEP_1) | instskip(NEXT) | instid1(VALU_DEP_1)
	v_dual_cndmask_b32 v27, v37, v27 :: v_dual_lshlrev_b32 v36, v36, v42
	v_and_b32_e32 v36, 3, v36
	s_delay_alu instid0(VALU_DEP_2) | instskip(NEXT) | instid1(VALU_DEP_2)
	v_lshl_add_u32 v27, v27, 23, 0x37800000
	v_cndmask_b32_e32 v26, v26, v36, vcc_lo
	v_and_b32_e32 v36, 0x80000000, v38
	s_delay_alu instid0(VALU_DEP_2) | instskip(NEXT) | instid1(VALU_DEP_1)
	v_lshlrev_b32_e32 v26, 21, v26
	v_or3_b32 v26, v36, v27, v26
.LBB6_4814:                             ;   in Loop: Header=BB6_3265 Depth=4
	s_or_b32 exec_lo, exec_lo, s34
	s_waitcnt vmcnt(0)
	v_and_b32_e32 v36, 0xff, v8
	s_mov_b32 s13, 0
	s_mov_b32 s35, exec_lo
                                        ; implicit-def: $sgpr34
	s_delay_alu instid0(VALU_DEP_1)
	v_cmpx_lt_i16_e32 0x7f, v36
	s_xor_b32 s35, exec_lo, s35
	s_cbranch_execnz .LBB6_5708
; %bb.4815:                             ;   in Loop: Header=BB6_3265 Depth=4
	s_or_saveexec_b32 s35, s35
	v_mov_b32_e32 v27, s34
	s_xor_b32 exec_lo, exec_lo, s35
	s_cbranch_execnz .LBB6_5711
.LBB6_4816:                             ;   in Loop: Header=BB6_3265 Depth=4
	s_or_b32 exec_lo, exec_lo, s35
	s_and_saveexec_b32 s34, s13
	s_cbranch_execz .LBB6_4818
.LBB6_4817:                             ;   in Loop: Header=BB6_3265 Depth=4
	v_and_b32_e32 v27, 3, v8
	v_bfe_u32 v38, v8, 2, 5
	v_lshlrev_b32_e32 v39, 24, v8
	s_delay_alu instid0(VALU_DEP_3) | instskip(NEXT) | instid1(VALU_DEP_3)
	v_clz_i32_u32_e32 v36, v27
	v_cmp_eq_u32_e32 vcc_lo, 0, v38
	s_delay_alu instid0(VALU_DEP_2) | instskip(NEXT) | instid1(VALU_DEP_1)
	v_min_u32_e32 v36, 32, v36
	v_subrev_nc_u32_e32 v37, 29, v36
	v_sub_nc_u32_e32 v36, 30, v36
	s_delay_alu instid0(VALU_DEP_2) | instskip(NEXT) | instid1(VALU_DEP_1)
	v_lshlrev_b32_e32 v37, v37, v8
	v_dual_cndmask_b32 v36, v38, v36 :: v_dual_and_b32 v37, 3, v37
	s_delay_alu instid0(VALU_DEP_1) | instskip(NEXT) | instid1(VALU_DEP_2)
	v_lshl_add_u32 v36, v36, 23, 0x37800000
	v_cndmask_b32_e32 v27, v27, v37, vcc_lo
	v_and_b32_e32 v37, 0x80000000, v39
	s_delay_alu instid0(VALU_DEP_2) | instskip(NEXT) | instid1(VALU_DEP_1)
	v_lshlrev_b32_e32 v27, 21, v27
	v_or3_b32 v27, v37, v36, v27
.LBB6_4818:                             ;   in Loop: Header=BB6_3265 Depth=4
	s_or_b32 exec_lo, exec_lo, s34
	s_delay_alu instid0(VALU_DEP_1) | instskip(SKIP_2) | instid1(VALU_DEP_2)
	v_add_f32_e32 v26, v26, v27
	v_mov_b32_e32 v144, 0x80
	s_mov_b32 s34, exec_lo
	v_and_b32_e32 v27, 0x7f800000, v26
	s_delay_alu instid0(VALU_DEP_1)
	v_cmpx_ne_u32_e32 0x7f800000, v27
	s_cbranch_execz .LBB6_4826
; %bb.4819:                             ;   in Loop: Header=BB6_3265 Depth=4
	v_mov_b32_e32 v144, 0
	s_mov_b32 s35, exec_lo
	v_cmpx_ne_u32_e32 0, v26
	s_cbranch_execz .LBB6_4825
; %bb.4820:                             ;   in Loop: Header=BB6_3265 Depth=4
	v_bfe_u32 v27, v26, 23, 8
	s_delay_alu instid0(VALU_DEP_1) | instskip(SKIP_1) | instid1(VALU_DEP_2)
	v_sub_nc_u32_e32 v37, 0x70, v27
	v_cmp_gt_u32_e32 vcc_lo, 0x71, v27
	v_dual_cndmask_b32 v37, 0, v37 :: v_dual_and_b32 v36, 0x7fffff, v26
	s_delay_alu instid0(VALU_DEP_1) | instskip(SKIP_2) | instid1(VALU_DEP_4)
	v_or_b32_e32 v38, 0x800000, v36
	v_cmp_eq_u32_e32 vcc_lo, 0, v27
	v_add_nc_u32_e32 v27, 0xffffff91, v27
	v_cndmask_b32_e64 v37, v37, 0x6f, vcc_lo
	s_delay_alu instid0(VALU_DEP_4) | instskip(NEXT) | instid1(VALU_DEP_3)
	v_cndmask_b32_e32 v36, v38, v36, vcc_lo
	v_cndmask_b32_e64 v27, v27, 0xffffff92, vcc_lo
	s_delay_alu instid0(VALU_DEP_3) | instskip(NEXT) | instid1(VALU_DEP_3)
	v_lshl_add_u32 v38, 0x200000, v37, -1
	v_lshrrev_b32_e32 v39, v37, v36
	v_lshlrev_b32_e64 v49, v37, 0x100000
	s_delay_alu instid0(VALU_DEP_4) | instskip(NEXT) | instid1(VALU_DEP_4)
	v_add_nc_u32_e32 v37, v37, v27
	v_and_b32_e32 v36, v38, v36
	s_delay_alu instid0(VALU_DEP_4) | instskip(NEXT) | instid1(VALU_DEP_2)
	v_bfe_u32 v48, v39, 21, 1
	v_cmp_eq_u32_e64 s13, v36, v49
	s_delay_alu instid0(VALU_DEP_2) | instskip(NEXT) | instid1(VALU_DEP_1)
	v_add_nc_u32_e32 v38, -1, v48
	v_cndmask_b32_e64 v36, 0, v38, s13
	v_lshrrev_b32_e32 v38, 23, v39
	s_mov_b32 s13, exec_lo
	s_delay_alu instid0(VALU_DEP_2) | instskip(NEXT) | instid1(VALU_DEP_2)
	v_add_nc_u32_e32 v36, v36, v39
	v_xor_b32_e32 v38, 1, v38
	s_delay_alu instid0(VALU_DEP_2) | instskip(NEXT) | instid1(VALU_DEP_1)
	v_and_b32_e32 v27, 0x1fffff, v36
	v_add_nc_u32_e32 v36, v27, v39
                                        ; implicit-def: $vgpr27
	s_delay_alu instid0(VALU_DEP_3)
	v_cmpx_ne_u32_e64 v37, v38
	s_xor_b32 s13, exec_lo, s13
; %bb.4821:                             ;   in Loop: Header=BB6_3265 Depth=4
	s_delay_alu instid0(VALU_DEP_2) | instskip(SKIP_2) | instid1(VALU_DEP_2)
	v_cmp_lt_u32_e32 vcc_lo, 0xffffff, v36
	v_sub_nc_u32_e32 v27, v37, v38
	v_cndmask_b32_e64 v37, 0, 1, vcc_lo
	v_add_co_ci_u32_e32 v27, vcc_lo, 0, v27, vcc_lo
	s_delay_alu instid0(VALU_DEP_2)
	v_lshrrev_b32_e32 v36, v37, v36
; %bb.4822:                             ;   in Loop: Header=BB6_3265 Depth=4
	s_and_not1_saveexec_b32 s13, s13
; %bb.4823:                             ;   in Loop: Header=BB6_3265 Depth=4
	s_delay_alu instid0(VALU_DEP_1)
	v_bfe_u32 v27, v36, 23, 1
; %bb.4824:                             ;   in Loop: Header=BB6_3265 Depth=4
	s_or_b32 exec_lo, exec_lo, s13
	v_lshrrev_b32_e32 v36, 21, v36
	s_delay_alu instid0(VALU_DEP_2) | instskip(SKIP_2) | instid1(VALU_DEP_4)
	v_cmp_gt_i32_e32 vcc_lo, 32, v27
	v_lshrrev_b32_e32 v26, 24, v26
	v_min_i32_e32 v37, 31, v27
	v_cndmask_b32_e32 v36, 3, v36, vcc_lo
	s_delay_alu instid0(VALU_DEP_3) | instskip(NEXT) | instid1(VALU_DEP_3)
	v_and_b32_e32 v26, 0x80, v26
	v_lshlrev_b32_e32 v37, 2, v37
	s_delay_alu instid0(VALU_DEP_3) | instskip(SKIP_1) | instid1(VALU_DEP_2)
	v_and_b32_e32 v38, 3, v36
	v_or_b32_e32 v27, v27, v36
	v_or3_b32 v26, v37, v26, v38
	s_delay_alu instid0(VALU_DEP_2) | instskip(NEXT) | instid1(VALU_DEP_2)
	v_cmp_ne_u32_e32 vcc_lo, 0, v27
	v_cndmask_b32_e32 v144, 0, v26, vcc_lo
.LBB6_4825:                             ;   in Loop: Header=BB6_3265 Depth=4
	s_or_b32 exec_lo, exec_lo, s35
.LBB6_4826:                             ;   in Loop: Header=BB6_3265 Depth=4
	s_delay_alu instid0(SALU_CYCLE_1) | instskip(SKIP_3) | instid1(VALU_DEP_1)
	s_or_b32 exec_lo, exec_lo, s34
	v_and_b32_e32 v27, 0xff, v40
	s_mov_b32 s13, 0
	s_mov_b32 s35, exec_lo
                                        ; implicit-def: $sgpr34
	v_cmpx_lt_i16_e32 0x7f, v27
	s_xor_b32 s35, exec_lo, s35
	s_cbranch_execnz .LBB6_5712
; %bb.4827:                             ;   in Loop: Header=BB6_3265 Depth=4
	s_or_saveexec_b32 s35, s35
	v_mov_b32_e32 v26, s34
	s_xor_b32 exec_lo, exec_lo, s35
	s_cbranch_execnz .LBB6_5715
.LBB6_4828:                             ;   in Loop: Header=BB6_3265 Depth=4
	s_or_b32 exec_lo, exec_lo, s35
	s_and_saveexec_b32 s34, s13
	s_cbranch_execz .LBB6_4830
.LBB6_4829:                             ;   in Loop: Header=BB6_3265 Depth=4
	v_bfe_u32 v37, v40, 2, 5
	v_lshlrev_b32_e32 v38, 24, v40
	s_delay_alu instid0(VALU_DEP_2) | instskip(SKIP_1) | instid1(VALU_DEP_1)
	v_cmp_eq_u32_e32 vcc_lo, 0, v37
	v_and_b32_e32 v26, 3, v40
	v_clz_i32_u32_e32 v27, v26
	s_delay_alu instid0(VALU_DEP_1) | instskip(NEXT) | instid1(VALU_DEP_1)
	v_min_u32_e32 v27, 32, v27
	v_subrev_nc_u32_e32 v36, 29, v27
	v_sub_nc_u32_e32 v27, 30, v27
	s_delay_alu instid0(VALU_DEP_1) | instskip(NEXT) | instid1(VALU_DEP_1)
	v_dual_cndmask_b32 v27, v37, v27 :: v_dual_lshlrev_b32 v36, v36, v40
	v_and_b32_e32 v36, 3, v36
	s_delay_alu instid0(VALU_DEP_2) | instskip(NEXT) | instid1(VALU_DEP_2)
	v_lshl_add_u32 v27, v27, 23, 0x37800000
	v_cndmask_b32_e32 v26, v26, v36, vcc_lo
	v_and_b32_e32 v36, 0x80000000, v38
	s_delay_alu instid0(VALU_DEP_2) | instskip(NEXT) | instid1(VALU_DEP_1)
	v_lshlrev_b32_e32 v26, 21, v26
	v_or3_b32 v26, v36, v27, v26
.LBB6_4830:                             ;   in Loop: Header=BB6_3265 Depth=4
	s_or_b32 exec_lo, exec_lo, s34
	v_lshrrev_b16 v27, 8, v8
	s_mov_b32 s13, 0
	s_mov_b32 s35, exec_lo
                                        ; implicit-def: $sgpr34
	s_delay_alu instid0(VALU_DEP_1)
	v_cmpx_lt_i16_e32 0x7f, v27
	s_xor_b32 s35, exec_lo, s35
	s_cbranch_execnz .LBB6_5716
; %bb.4831:                             ;   in Loop: Header=BB6_3265 Depth=4
	s_or_saveexec_b32 s35, s35
	v_mov_b32_e32 v36, s34
	s_xor_b32 exec_lo, exec_lo, s35
	s_cbranch_execnz .LBB6_5719
.LBB6_4832:                             ;   in Loop: Header=BB6_3265 Depth=4
	s_or_b32 exec_lo, exec_lo, s35
	s_and_saveexec_b32 s34, s13
	s_cbranch_execz .LBB6_4834
.LBB6_4833:                             ;   in Loop: Header=BB6_3265 Depth=4
	v_and_b32_e32 v36, 0xffff, v27
	v_lshlrev_b32_e32 v27, 24, v27
	s_delay_alu instid0(VALU_DEP_2) | instskip(NEXT) | instid1(VALU_DEP_2)
	v_and_b32_e32 v37, 3, v36
	v_and_b32_e32 v27, 0x80000000, v27
	s_delay_alu instid0(VALU_DEP_2) | instskip(NEXT) | instid1(VALU_DEP_1)
	v_clz_i32_u32_e32 v38, v37
	v_min_u32_e32 v38, 32, v38
	s_delay_alu instid0(VALU_DEP_1) | instskip(SKIP_1) | instid1(VALU_DEP_2)
	v_subrev_nc_u32_e32 v39, 29, v38
	v_sub_nc_u32_e32 v38, 30, v38
	v_lshlrev_b32_e32 v39, v39, v36
	v_bfe_u32 v36, v36, 2, 5
	s_delay_alu instid0(VALU_DEP_2) | instskip(NEXT) | instid1(VALU_DEP_2)
	v_and_b32_e32 v39, 3, v39
	v_cmp_eq_u32_e32 vcc_lo, 0, v36
	s_delay_alu instid0(VALU_DEP_2) | instskip(NEXT) | instid1(VALU_DEP_1)
	v_dual_cndmask_b32 v36, v36, v38 :: v_dual_cndmask_b32 v37, v37, v39
	v_lshl_add_u32 v36, v36, 23, 0x37800000
	s_delay_alu instid0(VALU_DEP_2) | instskip(NEXT) | instid1(VALU_DEP_1)
	v_lshlrev_b32_e32 v37, 21, v37
	v_or3_b32 v36, v27, v36, v37
.LBB6_4834:                             ;   in Loop: Header=BB6_3265 Depth=4
	s_or_b32 exec_lo, exec_lo, s34
	s_delay_alu instid0(VALU_DEP_1) | instskip(SKIP_2) | instid1(VALU_DEP_2)
	v_add_f32_e32 v26, v26, v36
	v_mov_b32_e32 v40, 0x80
	s_mov_b32 s34, exec_lo
	v_and_b32_e32 v27, 0x7f800000, v26
	s_delay_alu instid0(VALU_DEP_1)
	v_cmpx_ne_u32_e32 0x7f800000, v27
	s_cbranch_execz .LBB6_4842
; %bb.4835:                             ;   in Loop: Header=BB6_3265 Depth=4
	v_mov_b32_e32 v40, 0
	s_mov_b32 s35, exec_lo
	v_cmpx_ne_u32_e32 0, v26
	s_cbranch_execz .LBB6_4841
; %bb.4836:                             ;   in Loop: Header=BB6_3265 Depth=4
	v_bfe_u32 v27, v26, 23, 8
	s_delay_alu instid0(VALU_DEP_1) | instskip(SKIP_1) | instid1(VALU_DEP_2)
	v_sub_nc_u32_e32 v37, 0x70, v27
	v_cmp_gt_u32_e32 vcc_lo, 0x71, v27
	v_dual_cndmask_b32 v37, 0, v37 :: v_dual_and_b32 v36, 0x7fffff, v26
	s_delay_alu instid0(VALU_DEP_1) | instskip(SKIP_2) | instid1(VALU_DEP_4)
	v_or_b32_e32 v38, 0x800000, v36
	v_cmp_eq_u32_e32 vcc_lo, 0, v27
	v_add_nc_u32_e32 v27, 0xffffff91, v27
	v_cndmask_b32_e64 v37, v37, 0x6f, vcc_lo
	s_delay_alu instid0(VALU_DEP_4) | instskip(NEXT) | instid1(VALU_DEP_3)
	v_cndmask_b32_e32 v36, v38, v36, vcc_lo
	v_cndmask_b32_e64 v27, v27, 0xffffff92, vcc_lo
	s_delay_alu instid0(VALU_DEP_3) | instskip(NEXT) | instid1(VALU_DEP_3)
	v_lshl_add_u32 v38, 0x200000, v37, -1
	v_lshrrev_b32_e32 v39, v37, v36
	v_lshlrev_b32_e64 v49, v37, 0x100000
	s_delay_alu instid0(VALU_DEP_4) | instskip(NEXT) | instid1(VALU_DEP_4)
	v_add_nc_u32_e32 v37, v37, v27
	v_and_b32_e32 v36, v38, v36
	s_delay_alu instid0(VALU_DEP_4) | instskip(NEXT) | instid1(VALU_DEP_2)
	v_bfe_u32 v48, v39, 21, 1
	v_cmp_eq_u32_e64 s13, v36, v49
	s_delay_alu instid0(VALU_DEP_2) | instskip(NEXT) | instid1(VALU_DEP_1)
	v_add_nc_u32_e32 v38, -1, v48
	v_cndmask_b32_e64 v36, 0, v38, s13
	v_lshrrev_b32_e32 v38, 23, v39
	s_mov_b32 s13, exec_lo
	s_delay_alu instid0(VALU_DEP_2) | instskip(NEXT) | instid1(VALU_DEP_2)
	v_add_nc_u32_e32 v36, v36, v39
	v_xor_b32_e32 v38, 1, v38
	s_delay_alu instid0(VALU_DEP_2) | instskip(NEXT) | instid1(VALU_DEP_1)
	v_and_b32_e32 v27, 0x1fffff, v36
	v_add_nc_u32_e32 v36, v27, v39
                                        ; implicit-def: $vgpr27
	s_delay_alu instid0(VALU_DEP_3)
	v_cmpx_ne_u32_e64 v37, v38
	s_xor_b32 s13, exec_lo, s13
; %bb.4837:                             ;   in Loop: Header=BB6_3265 Depth=4
	s_delay_alu instid0(VALU_DEP_2) | instskip(SKIP_2) | instid1(VALU_DEP_2)
	v_cmp_lt_u32_e32 vcc_lo, 0xffffff, v36
	v_sub_nc_u32_e32 v27, v37, v38
	v_cndmask_b32_e64 v37, 0, 1, vcc_lo
	v_add_co_ci_u32_e32 v27, vcc_lo, 0, v27, vcc_lo
	s_delay_alu instid0(VALU_DEP_2)
	v_lshrrev_b32_e32 v36, v37, v36
; %bb.4838:                             ;   in Loop: Header=BB6_3265 Depth=4
	s_and_not1_saveexec_b32 s13, s13
; %bb.4839:                             ;   in Loop: Header=BB6_3265 Depth=4
	s_delay_alu instid0(VALU_DEP_1)
	v_bfe_u32 v27, v36, 23, 1
; %bb.4840:                             ;   in Loop: Header=BB6_3265 Depth=4
	s_or_b32 exec_lo, exec_lo, s13
	v_lshrrev_b32_e32 v36, 21, v36
	s_delay_alu instid0(VALU_DEP_2) | instskip(SKIP_2) | instid1(VALU_DEP_4)
	v_cmp_gt_i32_e32 vcc_lo, 32, v27
	v_lshrrev_b32_e32 v26, 24, v26
	v_min_i32_e32 v37, 31, v27
	v_cndmask_b32_e32 v36, 3, v36, vcc_lo
	s_delay_alu instid0(VALU_DEP_3) | instskip(NEXT) | instid1(VALU_DEP_3)
	v_and_b32_e32 v26, 0x80, v26
	v_lshlrev_b32_e32 v37, 2, v37
	s_delay_alu instid0(VALU_DEP_3) | instskip(SKIP_1) | instid1(VALU_DEP_2)
	v_and_b32_e32 v38, 3, v36
	v_or_b32_e32 v27, v27, v36
	v_or3_b32 v26, v37, v26, v38
	s_delay_alu instid0(VALU_DEP_2) | instskip(NEXT) | instid1(VALU_DEP_2)
	v_cmp_ne_u32_e32 vcc_lo, 0, v27
	v_cndmask_b32_e32 v40, 0, v26, vcc_lo
.LBB6_4841:                             ;   in Loop: Header=BB6_3265 Depth=4
	s_or_b32 exec_lo, exec_lo, s35
.LBB6_4842:                             ;   in Loop: Header=BB6_3265 Depth=4
	s_delay_alu instid0(SALU_CYCLE_1) | instskip(SKIP_3) | instid1(VALU_DEP_1)
	s_or_b32 exec_lo, exec_lo, s34
	v_and_b32_e32 v27, 0xff, v182
	s_mov_b32 s13, 0
	s_mov_b32 s35, exec_lo
                                        ; implicit-def: $sgpr34
	v_cmpx_lt_i16_e32 0x7f, v27
	s_xor_b32 s35, exec_lo, s35
	s_cbranch_execnz .LBB6_5720
; %bb.4843:                             ;   in Loop: Header=BB6_3265 Depth=4
	s_or_saveexec_b32 s35, s35
	v_mov_b32_e32 v26, s34
	s_xor_b32 exec_lo, exec_lo, s35
	s_cbranch_execnz .LBB6_5723
.LBB6_4844:                             ;   in Loop: Header=BB6_3265 Depth=4
	s_or_b32 exec_lo, exec_lo, s35
	s_and_saveexec_b32 s34, s13
	s_cbranch_execz .LBB6_4846
.LBB6_4845:                             ;   in Loop: Header=BB6_3265 Depth=4
	v_bfe_u32 v37, v182, 2, 5
	v_lshlrev_b32_e32 v38, 24, v182
	s_delay_alu instid0(VALU_DEP_2) | instskip(SKIP_1) | instid1(VALU_DEP_1)
	v_cmp_eq_u32_e32 vcc_lo, 0, v37
	v_and_b32_e32 v26, 3, v182
	v_clz_i32_u32_e32 v27, v26
	s_delay_alu instid0(VALU_DEP_1) | instskip(NEXT) | instid1(VALU_DEP_1)
	v_min_u32_e32 v27, 32, v27
	v_subrev_nc_u32_e32 v36, 29, v27
	v_sub_nc_u32_e32 v27, 30, v27
	s_delay_alu instid0(VALU_DEP_1) | instskip(NEXT) | instid1(VALU_DEP_1)
	v_dual_cndmask_b32 v27, v37, v27 :: v_dual_lshlrev_b32 v36, v36, v182
	v_and_b32_e32 v36, 3, v36
	s_delay_alu instid0(VALU_DEP_2) | instskip(NEXT) | instid1(VALU_DEP_2)
	v_lshl_add_u32 v27, v27, 23, 0x37800000
	v_cndmask_b32_e32 v26, v26, v36, vcc_lo
	v_and_b32_e32 v36, 0x80000000, v38
	s_delay_alu instid0(VALU_DEP_2) | instskip(NEXT) | instid1(VALU_DEP_1)
	v_lshlrev_b32_e32 v26, 21, v26
	v_or3_b32 v26, v36, v27, v26
.LBB6_4846:                             ;   in Loop: Header=BB6_3265 Depth=4
	s_or_b32 exec_lo, exec_lo, s34
	v_lshrrev_b32_e32 v27, 16, v8
	s_mov_b32 s13, 0
	s_mov_b32 s35, exec_lo
                                        ; implicit-def: $sgpr34
	s_delay_alu instid0(VALU_DEP_1) | instskip(NEXT) | instid1(VALU_DEP_1)
	v_and_b32_e32 v37, 0xff, v27
	v_cmpx_lt_i16_e32 0x7f, v37
	s_xor_b32 s35, exec_lo, s35
	s_cbranch_execnz .LBB6_5724
; %bb.4847:                             ;   in Loop: Header=BB6_3265 Depth=4
	s_or_saveexec_b32 s35, s35
	v_mov_b32_e32 v36, s34
	s_xor_b32 exec_lo, exec_lo, s35
	s_cbranch_execnz .LBB6_5727
.LBB6_4848:                             ;   in Loop: Header=BB6_3265 Depth=4
	s_or_b32 exec_lo, exec_lo, s35
	s_and_saveexec_b32 s34, s13
	s_cbranch_execz .LBB6_4850
.LBB6_4849:                             ;   in Loop: Header=BB6_3265 Depth=4
	v_bfe_u32 v36, v8, 16, 2
	v_lshlrev_b32_e32 v39, 8, v8
	s_delay_alu instid0(VALU_DEP_2) | instskip(NEXT) | instid1(VALU_DEP_1)
	v_clz_i32_u32_e32 v37, v36
	v_min_u32_e32 v37, 32, v37
	s_delay_alu instid0(VALU_DEP_1) | instskip(SKIP_1) | instid1(VALU_DEP_2)
	v_subrev_nc_u32_e32 v38, 29, v37
	v_sub_nc_u32_e32 v37, 30, v37
	v_lshlrev_b32_e32 v27, v38, v27
	v_bfe_u32 v38, v8, 18, 5
	s_delay_alu instid0(VALU_DEP_2) | instskip(NEXT) | instid1(VALU_DEP_2)
	v_and_b32_e32 v27, 3, v27
	v_cmp_eq_u32_e32 vcc_lo, 0, v38
	v_cndmask_b32_e32 v37, v38, v37, vcc_lo
	s_delay_alu instid0(VALU_DEP_3) | instskip(SKIP_1) | instid1(VALU_DEP_3)
	v_cndmask_b32_e32 v27, v36, v27, vcc_lo
	v_and_b32_e32 v36, 0x80000000, v39
	v_lshl_add_u32 v37, v37, 23, 0x37800000
	s_delay_alu instid0(VALU_DEP_3) | instskip(NEXT) | instid1(VALU_DEP_1)
	v_lshlrev_b32_e32 v27, 21, v27
	v_or3_b32 v36, v36, v37, v27
.LBB6_4850:                             ;   in Loop: Header=BB6_3265 Depth=4
	s_or_b32 exec_lo, exec_lo, s34
	s_delay_alu instid0(VALU_DEP_1) | instskip(SKIP_2) | instid1(VALU_DEP_2)
	v_add_f32_e32 v26, v26, v36
	v_mov_b32_e32 v182, 0x80
	s_mov_b32 s34, exec_lo
	v_and_b32_e32 v27, 0x7f800000, v26
	s_delay_alu instid0(VALU_DEP_1)
	v_cmpx_ne_u32_e32 0x7f800000, v27
	s_cbranch_execz .LBB6_4858
; %bb.4851:                             ;   in Loop: Header=BB6_3265 Depth=4
	v_mov_b32_e32 v182, 0
	s_mov_b32 s35, exec_lo
	v_cmpx_ne_u32_e32 0, v26
	s_cbranch_execz .LBB6_4857
; %bb.4852:                             ;   in Loop: Header=BB6_3265 Depth=4
	v_bfe_u32 v27, v26, 23, 8
	s_delay_alu instid0(VALU_DEP_1) | instskip(SKIP_1) | instid1(VALU_DEP_2)
	v_sub_nc_u32_e32 v37, 0x70, v27
	v_cmp_gt_u32_e32 vcc_lo, 0x71, v27
	v_dual_cndmask_b32 v37, 0, v37 :: v_dual_and_b32 v36, 0x7fffff, v26
	s_delay_alu instid0(VALU_DEP_1) | instskip(SKIP_2) | instid1(VALU_DEP_4)
	v_or_b32_e32 v38, 0x800000, v36
	v_cmp_eq_u32_e32 vcc_lo, 0, v27
	v_add_nc_u32_e32 v27, 0xffffff91, v27
	v_cndmask_b32_e64 v37, v37, 0x6f, vcc_lo
	s_delay_alu instid0(VALU_DEP_4) | instskip(NEXT) | instid1(VALU_DEP_3)
	v_cndmask_b32_e32 v36, v38, v36, vcc_lo
	v_cndmask_b32_e64 v27, v27, 0xffffff92, vcc_lo
	s_delay_alu instid0(VALU_DEP_3) | instskip(NEXT) | instid1(VALU_DEP_3)
	v_lshl_add_u32 v38, 0x200000, v37, -1
	v_lshrrev_b32_e32 v39, v37, v36
	v_lshlrev_b32_e64 v49, v37, 0x100000
	s_delay_alu instid0(VALU_DEP_4) | instskip(NEXT) | instid1(VALU_DEP_4)
	v_add_nc_u32_e32 v37, v37, v27
	v_and_b32_e32 v36, v38, v36
	s_delay_alu instid0(VALU_DEP_4) | instskip(NEXT) | instid1(VALU_DEP_2)
	v_bfe_u32 v48, v39, 21, 1
	v_cmp_eq_u32_e64 s13, v36, v49
	s_delay_alu instid0(VALU_DEP_2) | instskip(NEXT) | instid1(VALU_DEP_1)
	v_add_nc_u32_e32 v38, -1, v48
	v_cndmask_b32_e64 v36, 0, v38, s13
	v_lshrrev_b32_e32 v38, 23, v39
	s_mov_b32 s13, exec_lo
	s_delay_alu instid0(VALU_DEP_2) | instskip(NEXT) | instid1(VALU_DEP_2)
	v_add_nc_u32_e32 v36, v36, v39
	v_xor_b32_e32 v38, 1, v38
	s_delay_alu instid0(VALU_DEP_2) | instskip(NEXT) | instid1(VALU_DEP_1)
	v_and_b32_e32 v27, 0x1fffff, v36
	v_add_nc_u32_e32 v36, v27, v39
                                        ; implicit-def: $vgpr27
	s_delay_alu instid0(VALU_DEP_3)
	v_cmpx_ne_u32_e64 v37, v38
	s_xor_b32 s13, exec_lo, s13
; %bb.4853:                             ;   in Loop: Header=BB6_3265 Depth=4
	s_delay_alu instid0(VALU_DEP_2) | instskip(SKIP_2) | instid1(VALU_DEP_2)
	v_cmp_lt_u32_e32 vcc_lo, 0xffffff, v36
	v_sub_nc_u32_e32 v27, v37, v38
	v_cndmask_b32_e64 v37, 0, 1, vcc_lo
	v_add_co_ci_u32_e32 v27, vcc_lo, 0, v27, vcc_lo
	s_delay_alu instid0(VALU_DEP_2)
	v_lshrrev_b32_e32 v36, v37, v36
; %bb.4854:                             ;   in Loop: Header=BB6_3265 Depth=4
	s_and_not1_saveexec_b32 s13, s13
; %bb.4855:                             ;   in Loop: Header=BB6_3265 Depth=4
	s_delay_alu instid0(VALU_DEP_1)
	v_bfe_u32 v27, v36, 23, 1
; %bb.4856:                             ;   in Loop: Header=BB6_3265 Depth=4
	s_or_b32 exec_lo, exec_lo, s13
	v_lshrrev_b32_e32 v36, 21, v36
	s_delay_alu instid0(VALU_DEP_2) | instskip(SKIP_2) | instid1(VALU_DEP_4)
	v_cmp_gt_i32_e32 vcc_lo, 32, v27
	v_lshrrev_b32_e32 v26, 24, v26
	v_min_i32_e32 v37, 31, v27
	v_cndmask_b32_e32 v36, 3, v36, vcc_lo
	s_delay_alu instid0(VALU_DEP_3) | instskip(NEXT) | instid1(VALU_DEP_3)
	v_and_b32_e32 v26, 0x80, v26
	v_lshlrev_b32_e32 v37, 2, v37
	s_delay_alu instid0(VALU_DEP_3) | instskip(SKIP_1) | instid1(VALU_DEP_2)
	v_and_b32_e32 v38, 3, v36
	v_or_b32_e32 v27, v27, v36
	v_or3_b32 v26, v37, v26, v38
	s_delay_alu instid0(VALU_DEP_2) | instskip(NEXT) | instid1(VALU_DEP_2)
	v_cmp_ne_u32_e32 vcc_lo, 0, v27
	v_cndmask_b32_e32 v182, 0, v26, vcc_lo
.LBB6_4857:                             ;   in Loop: Header=BB6_3265 Depth=4
	s_or_b32 exec_lo, exec_lo, s35
.LBB6_4858:                             ;   in Loop: Header=BB6_3265 Depth=4
	s_delay_alu instid0(SALU_CYCLE_1) | instskip(SKIP_3) | instid1(VALU_DEP_1)
	s_or_b32 exec_lo, exec_lo, s34
	v_and_b32_e32 v27, 0xff, v180
	s_mov_b32 s13, 0
	s_mov_b32 s35, exec_lo
                                        ; implicit-def: $sgpr34
	v_cmpx_lt_i16_e32 0x7f, v27
	s_xor_b32 s35, exec_lo, s35
	s_cbranch_execnz .LBB6_5728
; %bb.4859:                             ;   in Loop: Header=BB6_3265 Depth=4
	s_or_saveexec_b32 s35, s35
	v_mov_b32_e32 v26, s34
	s_xor_b32 exec_lo, exec_lo, s35
	s_cbranch_execnz .LBB6_5731
.LBB6_4860:                             ;   in Loop: Header=BB6_3265 Depth=4
	s_or_b32 exec_lo, exec_lo, s35
	s_and_saveexec_b32 s34, s13
	s_cbranch_execz .LBB6_4862
.LBB6_4861:                             ;   in Loop: Header=BB6_3265 Depth=4
	v_lshlrev_b32_e32 v26, 8, v180
	s_delay_alu instid0(VALU_DEP_1) | instskip(SKIP_1) | instid1(VALU_DEP_2)
	v_and_b32_e32 v36, 0xff00, v26
	v_bfe_u32 v26, v26, 10, 5
	v_bfe_u32 v37, v36, 8, 2
	s_delay_alu instid0(VALU_DEP_2) | instskip(SKIP_1) | instid1(VALU_DEP_3)
	v_cmp_eq_u32_e32 vcc_lo, 0, v26
	v_lshlrev_b32_e32 v36, 16, v36
	v_clz_i32_u32_e32 v38, v37
	s_delay_alu instid0(VALU_DEP_2) | instskip(NEXT) | instid1(VALU_DEP_2)
	v_and_b32_e32 v36, 0x80000000, v36
	v_min_u32_e32 v38, 32, v38
	s_delay_alu instid0(VALU_DEP_1) | instskip(SKIP_1) | instid1(VALU_DEP_1)
	v_subrev_nc_u32_e32 v39, 29, v38
	v_sub_nc_u32_e32 v38, 30, v38
	v_dual_cndmask_b32 v26, v26, v38 :: v_dual_lshlrev_b32 v27, v39, v27
	s_delay_alu instid0(VALU_DEP_1) | instskip(NEXT) | instid1(VALU_DEP_2)
	v_and_b32_e32 v27, 3, v27
	v_lshl_add_u32 v26, v26, 23, 0x37800000
	s_delay_alu instid0(VALU_DEP_2) | instskip(NEXT) | instid1(VALU_DEP_1)
	v_cndmask_b32_e32 v27, v37, v27, vcc_lo
	v_lshlrev_b32_e32 v27, 21, v27
	s_delay_alu instid0(VALU_DEP_1)
	v_or3_b32 v26, v36, v26, v27
.LBB6_4862:                             ;   in Loop: Header=BB6_3265 Depth=4
	s_or_b32 exec_lo, exec_lo, s34
	v_lshrrev_b32_e32 v27, 24, v8
	s_mov_b32 s13, 0
	s_mov_b32 s35, exec_lo
                                        ; implicit-def: $sgpr34
	s_delay_alu instid0(VALU_DEP_1)
	v_cmpx_lt_i16_e32 0x7f, v27
	s_xor_b32 s35, exec_lo, s35
	s_cbranch_execnz .LBB6_5732
; %bb.4863:                             ;   in Loop: Header=BB6_3265 Depth=4
	s_or_saveexec_b32 s35, s35
	v_mov_b32_e32 v36, s34
	s_xor_b32 exec_lo, exec_lo, s35
	s_cbranch_execnz .LBB6_5735
.LBB6_4864:                             ;   in Loop: Header=BB6_3265 Depth=4
	s_or_b32 exec_lo, exec_lo, s35
	s_and_saveexec_b32 s34, s13
	s_cbranch_execz .LBB6_4866
.LBB6_4865:                             ;   in Loop: Header=BB6_3265 Depth=4
	v_bfe_u32 v36, v8, 24, 2
	s_delay_alu instid0(VALU_DEP_1) | instskip(NEXT) | instid1(VALU_DEP_1)
	v_clz_i32_u32_e32 v37, v36
	v_min_u32_e32 v37, 32, v37
	s_delay_alu instid0(VALU_DEP_1) | instskip(SKIP_1) | instid1(VALU_DEP_2)
	v_subrev_nc_u32_e32 v38, 29, v37
	v_sub_nc_u32_e32 v37, 30, v37
	v_lshlrev_b32_e32 v27, v38, v27
	v_bfe_u32 v38, v8, 26, 5
	v_and_b32_e32 v8, 0x80000000, v8
	s_delay_alu instid0(VALU_DEP_3) | instskip(NEXT) | instid1(VALU_DEP_3)
	v_and_b32_e32 v27, 3, v27
	v_cmp_eq_u32_e32 vcc_lo, 0, v38
	v_cndmask_b32_e32 v37, v38, v37, vcc_lo
	s_delay_alu instid0(VALU_DEP_3) | instskip(NEXT) | instid1(VALU_DEP_2)
	v_cndmask_b32_e32 v27, v36, v27, vcc_lo
	v_lshl_add_u32 v36, v37, 23, 0x37800000
	s_delay_alu instid0(VALU_DEP_2) | instskip(NEXT) | instid1(VALU_DEP_1)
	v_lshlrev_b32_e32 v27, 21, v27
	v_or3_b32 v36, v8, v36, v27
.LBB6_4866:                             ;   in Loop: Header=BB6_3265 Depth=4
	s_or_b32 exec_lo, exec_lo, s34
	s_delay_alu instid0(VALU_DEP_1) | instskip(NEXT) | instid1(VALU_DEP_1)
	v_add_f32_e32 v26, v26, v36
	v_and_b32_e32 v8, 0x7f800000, v26
	s_delay_alu instid0(VALU_DEP_1)
	v_cmp_ne_u32_e32 vcc_lo, 0x7f800000, v8
	v_mov_b32_e32 v8, 0x80
	s_and_saveexec_b32 s34, vcc_lo
	s_cbranch_execz .LBB6_4874
; %bb.4867:                             ;   in Loop: Header=BB6_3265 Depth=4
	v_mov_b32_e32 v8, 0
	s_mov_b32 s35, exec_lo
	v_cmpx_ne_u32_e32 0, v26
	s_cbranch_execz .LBB6_4873
; %bb.4868:                             ;   in Loop: Header=BB6_3265 Depth=4
	v_bfe_u32 v8, v26, 23, 8
	s_delay_alu instid0(VALU_DEP_1) | instskip(SKIP_1) | instid1(VALU_DEP_2)
	v_sub_nc_u32_e32 v36, 0x70, v8
	v_cmp_gt_u32_e32 vcc_lo, 0x71, v8
	v_dual_cndmask_b32 v36, 0, v36 :: v_dual_and_b32 v27, 0x7fffff, v26
	s_delay_alu instid0(VALU_DEP_1) | instskip(SKIP_2) | instid1(VALU_DEP_4)
	v_or_b32_e32 v37, 0x800000, v27
	v_cmp_eq_u32_e32 vcc_lo, 0, v8
	v_add_nc_u32_e32 v8, 0xffffff91, v8
	v_cndmask_b32_e64 v36, v36, 0x6f, vcc_lo
	s_delay_alu instid0(VALU_DEP_4) | instskip(NEXT) | instid1(VALU_DEP_3)
	v_cndmask_b32_e32 v27, v37, v27, vcc_lo
	v_cndmask_b32_e64 v8, v8, 0xffffff92, vcc_lo
	s_delay_alu instid0(VALU_DEP_3) | instskip(NEXT) | instid1(VALU_DEP_3)
	v_lshl_add_u32 v37, 0x200000, v36, -1
	v_lshrrev_b32_e32 v38, v36, v27
	v_lshlrev_b32_e64 v48, v36, 0x100000
	s_delay_alu instid0(VALU_DEP_4) | instskip(NEXT) | instid1(VALU_DEP_4)
	v_add_nc_u32_e32 v36, v36, v8
	v_and_b32_e32 v27, v37, v27
	s_delay_alu instid0(VALU_DEP_4) | instskip(NEXT) | instid1(VALU_DEP_2)
	v_bfe_u32 v39, v38, 21, 1
	v_cmp_eq_u32_e64 s13, v27, v48
	s_delay_alu instid0(VALU_DEP_2) | instskip(NEXT) | instid1(VALU_DEP_1)
	v_add_nc_u32_e32 v37, -1, v39
	v_cndmask_b32_e64 v27, 0, v37, s13
	v_lshrrev_b32_e32 v37, 23, v38
	s_mov_b32 s13, exec_lo
	s_delay_alu instid0(VALU_DEP_2) | instskip(NEXT) | instid1(VALU_DEP_2)
	v_add_nc_u32_e32 v27, v27, v38
	v_xor_b32_e32 v37, 1, v37
	s_delay_alu instid0(VALU_DEP_2) | instskip(NEXT) | instid1(VALU_DEP_1)
	v_and_b32_e32 v8, 0x1fffff, v27
	v_add_nc_u32_e32 v27, v8, v38
                                        ; implicit-def: $vgpr8
	s_delay_alu instid0(VALU_DEP_3)
	v_cmpx_ne_u32_e64 v36, v37
	s_xor_b32 s13, exec_lo, s13
; %bb.4869:                             ;   in Loop: Header=BB6_3265 Depth=4
	s_delay_alu instid0(VALU_DEP_2) | instskip(SKIP_2) | instid1(VALU_DEP_2)
	v_cmp_lt_u32_e32 vcc_lo, 0xffffff, v27
	v_sub_nc_u32_e32 v8, v36, v37
	v_cndmask_b32_e64 v36, 0, 1, vcc_lo
	v_add_co_ci_u32_e32 v8, vcc_lo, 0, v8, vcc_lo
	s_delay_alu instid0(VALU_DEP_2)
	v_lshrrev_b32_e32 v27, v36, v27
; %bb.4870:                             ;   in Loop: Header=BB6_3265 Depth=4
	s_and_not1_saveexec_b32 s13, s13
; %bb.4871:                             ;   in Loop: Header=BB6_3265 Depth=4
	s_delay_alu instid0(VALU_DEP_1)
	v_bfe_u32 v8, v27, 23, 1
; %bb.4872:                             ;   in Loop: Header=BB6_3265 Depth=4
	s_or_b32 exec_lo, exec_lo, s13
	v_lshrrev_b32_e32 v27, 21, v27
	s_delay_alu instid0(VALU_DEP_2) | instskip(SKIP_2) | instid1(VALU_DEP_2)
	v_cmp_gt_i32_e32 vcc_lo, 32, v8
	v_lshrrev_b32_e32 v26, 24, v26
	v_min_i32_e32 v36, 31, v8
	v_dual_cndmask_b32 v27, 3, v27 :: v_dual_and_b32 v26, 0x80, v26
	s_delay_alu instid0(VALU_DEP_2) | instskip(NEXT) | instid1(VALU_DEP_2)
	v_lshlrev_b32_e32 v36, 2, v36
	v_or_b32_e32 v8, v8, v27
	s_delay_alu instid0(VALU_DEP_1) | instskip(SKIP_1) | instid1(VALU_DEP_1)
	v_cmp_ne_u32_e32 vcc_lo, 0, v8
	v_and_b32_e32 v37, 3, v27
	v_or3_b32 v26, v36, v26, v37
	s_delay_alu instid0(VALU_DEP_1)
	v_cndmask_b32_e32 v8, 0, v26, vcc_lo
.LBB6_4873:                             ;   in Loop: Header=BB6_3265 Depth=4
	s_or_b32 exec_lo, exec_lo, s35
.LBB6_4874:                             ;   in Loop: Header=BB6_3265 Depth=4
	s_delay_alu instid0(SALU_CYCLE_1) | instskip(SKIP_3) | instid1(VALU_DEP_1)
	s_or_b32 exec_lo, exec_lo, s34
	v_or_b32_e32 v26, v41, v52
	s_mov_b32 s13, 0
	s_mov_b32 s35, exec_lo
                                        ; implicit-def: $sgpr34
	v_and_b32_e32 v36, 0xff, v26
	s_delay_alu instid0(VALU_DEP_1)
	v_cmpx_lt_i16_e32 0x7f, v36
	s_xor_b32 s35, exec_lo, s35
	s_cbranch_execnz .LBB6_5736
; %bb.4875:                             ;   in Loop: Header=BB6_3265 Depth=4
	s_or_saveexec_b32 s35, s35
	v_mov_b32_e32 v27, s34
	s_xor_b32 exec_lo, exec_lo, s35
	s_cbranch_execnz .LBB6_5739
.LBB6_4876:                             ;   in Loop: Header=BB6_3265 Depth=4
	s_or_b32 exec_lo, exec_lo, s35
	s_and_saveexec_b32 s34, s13
	s_cbranch_execz .LBB6_4878
.LBB6_4877:                             ;   in Loop: Header=BB6_3265 Depth=4
	v_bfe_u32 v38, v26, 2, 5
	v_lshlrev_b32_e32 v39, 24, v26
	s_delay_alu instid0(VALU_DEP_2) | instskip(SKIP_1) | instid1(VALU_DEP_1)
	v_cmp_eq_u32_e32 vcc_lo, 0, v38
	v_and_b32_e32 v27, 3, v26
	v_clz_i32_u32_e32 v36, v27
	s_delay_alu instid0(VALU_DEP_1) | instskip(NEXT) | instid1(VALU_DEP_1)
	v_min_u32_e32 v36, 32, v36
	v_subrev_nc_u32_e32 v37, 29, v36
	v_sub_nc_u32_e32 v36, 30, v36
	s_delay_alu instid0(VALU_DEP_1) | instskip(NEXT) | instid1(VALU_DEP_1)
	v_dual_cndmask_b32 v36, v38, v36 :: v_dual_lshlrev_b32 v37, v37, v26
	v_and_b32_e32 v37, 3, v37
	s_delay_alu instid0(VALU_DEP_2) | instskip(NEXT) | instid1(VALU_DEP_2)
	v_lshl_add_u32 v36, v36, 23, 0x37800000
	v_cndmask_b32_e32 v27, v27, v37, vcc_lo
	v_and_b32_e32 v37, 0x80000000, v39
	s_delay_alu instid0(VALU_DEP_2) | instskip(NEXT) | instid1(VALU_DEP_1)
	v_lshlrev_b32_e32 v27, 21, v27
	v_or3_b32 v27, v37, v36, v27
.LBB6_4878:                             ;   in Loop: Header=BB6_3265 Depth=4
	s_or_b32 exec_lo, exec_lo, s34
	v_and_b32_e32 v37, 0xff, v9
	s_mov_b32 s13, 0
	s_mov_b32 s35, exec_lo
                                        ; implicit-def: $sgpr34
	s_delay_alu instid0(VALU_DEP_1)
	v_cmpx_lt_i16_e32 0x7f, v37
	s_xor_b32 s35, exec_lo, s35
	s_cbranch_execnz .LBB6_5740
; %bb.4879:                             ;   in Loop: Header=BB6_3265 Depth=4
	s_or_saveexec_b32 s35, s35
	v_mov_b32_e32 v36, s34
	s_xor_b32 exec_lo, exec_lo, s35
	s_cbranch_execnz .LBB6_5743
.LBB6_4880:                             ;   in Loop: Header=BB6_3265 Depth=4
	s_or_b32 exec_lo, exec_lo, s35
	s_and_saveexec_b32 s34, s13
	s_cbranch_execz .LBB6_4882
.LBB6_4881:                             ;   in Loop: Header=BB6_3265 Depth=4
	v_and_b32_e32 v36, 3, v9
	v_bfe_u32 v39, v9, 2, 5
	v_lshlrev_b32_e32 v48, 24, v9
	s_delay_alu instid0(VALU_DEP_3) | instskip(NEXT) | instid1(VALU_DEP_3)
	v_clz_i32_u32_e32 v37, v36
	v_cmp_eq_u32_e32 vcc_lo, 0, v39
	s_delay_alu instid0(VALU_DEP_2) | instskip(NEXT) | instid1(VALU_DEP_1)
	v_min_u32_e32 v37, 32, v37
	v_subrev_nc_u32_e32 v38, 29, v37
	v_sub_nc_u32_e32 v37, 30, v37
	s_delay_alu instid0(VALU_DEP_2) | instskip(NEXT) | instid1(VALU_DEP_1)
	v_lshlrev_b32_e32 v38, v38, v9
	v_dual_cndmask_b32 v37, v39, v37 :: v_dual_and_b32 v38, 3, v38
	s_delay_alu instid0(VALU_DEP_1) | instskip(NEXT) | instid1(VALU_DEP_2)
	v_lshl_add_u32 v37, v37, 23, 0x37800000
	v_cndmask_b32_e32 v36, v36, v38, vcc_lo
	v_and_b32_e32 v38, 0x80000000, v48
	s_delay_alu instid0(VALU_DEP_2) | instskip(NEXT) | instid1(VALU_DEP_1)
	v_lshlrev_b32_e32 v36, 21, v36
	v_or3_b32 v36, v38, v37, v36
.LBB6_4882:                             ;   in Loop: Header=BB6_3265 Depth=4
	s_or_b32 exec_lo, exec_lo, s34
	s_delay_alu instid0(VALU_DEP_1) | instskip(SKIP_2) | instid1(VALU_DEP_2)
	v_add_f32_e32 v27, v27, v36
	v_mov_b32_e32 v129, 0x80
	s_mov_b32 s34, exec_lo
	v_and_b32_e32 v36, 0x7f800000, v27
	s_delay_alu instid0(VALU_DEP_1)
	v_cmpx_ne_u32_e32 0x7f800000, v36
	s_cbranch_execz .LBB6_4890
; %bb.4883:                             ;   in Loop: Header=BB6_3265 Depth=4
	v_mov_b32_e32 v129, 0
	s_mov_b32 s35, exec_lo
	v_cmpx_ne_u32_e32 0, v27
	s_cbranch_execz .LBB6_4889
; %bb.4884:                             ;   in Loop: Header=BB6_3265 Depth=4
	v_bfe_u32 v36, v27, 23, 8
	s_delay_alu instid0(VALU_DEP_1) | instskip(SKIP_1) | instid1(VALU_DEP_2)
	v_sub_nc_u32_e32 v38, 0x70, v36
	v_cmp_gt_u32_e32 vcc_lo, 0x71, v36
	v_dual_cndmask_b32 v38, 0, v38 :: v_dual_and_b32 v37, 0x7fffff, v27
	s_delay_alu instid0(VALU_DEP_1) | instskip(SKIP_2) | instid1(VALU_DEP_4)
	v_or_b32_e32 v39, 0x800000, v37
	v_cmp_eq_u32_e32 vcc_lo, 0, v36
	v_add_nc_u32_e32 v36, 0xffffff91, v36
	v_cndmask_b32_e64 v38, v38, 0x6f, vcc_lo
	s_delay_alu instid0(VALU_DEP_4) | instskip(NEXT) | instid1(VALU_DEP_3)
	v_cndmask_b32_e32 v37, v39, v37, vcc_lo
	v_cndmask_b32_e64 v36, v36, 0xffffff92, vcc_lo
	s_delay_alu instid0(VALU_DEP_3) | instskip(NEXT) | instid1(VALU_DEP_3)
	v_lshl_add_u32 v39, 0x200000, v38, -1
	v_lshrrev_b32_e32 v48, v38, v37
	v_lshlrev_b32_e64 v50, v38, 0x100000
	s_delay_alu instid0(VALU_DEP_4) | instskip(NEXT) | instid1(VALU_DEP_4)
	v_add_nc_u32_e32 v38, v38, v36
	v_and_b32_e32 v37, v39, v37
	s_delay_alu instid0(VALU_DEP_4) | instskip(NEXT) | instid1(VALU_DEP_2)
	v_bfe_u32 v49, v48, 21, 1
	v_cmp_eq_u32_e64 s13, v37, v50
	s_delay_alu instid0(VALU_DEP_2) | instskip(NEXT) | instid1(VALU_DEP_1)
	v_add_nc_u32_e32 v39, -1, v49
	v_cndmask_b32_e64 v37, 0, v39, s13
	v_lshrrev_b32_e32 v39, 23, v48
	s_mov_b32 s13, exec_lo
	s_delay_alu instid0(VALU_DEP_2) | instskip(NEXT) | instid1(VALU_DEP_2)
	v_add_nc_u32_e32 v37, v37, v48
	v_xor_b32_e32 v39, 1, v39
	s_delay_alu instid0(VALU_DEP_2) | instskip(NEXT) | instid1(VALU_DEP_1)
	v_and_b32_e32 v36, 0x1fffff, v37
	v_add_nc_u32_e32 v37, v36, v48
                                        ; implicit-def: $vgpr36
	s_delay_alu instid0(VALU_DEP_3)
	v_cmpx_ne_u32_e64 v38, v39
	s_xor_b32 s13, exec_lo, s13
; %bb.4885:                             ;   in Loop: Header=BB6_3265 Depth=4
	s_delay_alu instid0(VALU_DEP_2) | instskip(SKIP_2) | instid1(VALU_DEP_2)
	v_cmp_lt_u32_e32 vcc_lo, 0xffffff, v37
	v_sub_nc_u32_e32 v36, v38, v39
	v_cndmask_b32_e64 v38, 0, 1, vcc_lo
	v_add_co_ci_u32_e32 v36, vcc_lo, 0, v36, vcc_lo
	s_delay_alu instid0(VALU_DEP_2)
	v_lshrrev_b32_e32 v37, v38, v37
; %bb.4886:                             ;   in Loop: Header=BB6_3265 Depth=4
	s_and_not1_saveexec_b32 s13, s13
; %bb.4887:                             ;   in Loop: Header=BB6_3265 Depth=4
	s_delay_alu instid0(VALU_DEP_1)
	v_bfe_u32 v36, v37, 23, 1
; %bb.4888:                             ;   in Loop: Header=BB6_3265 Depth=4
	s_or_b32 exec_lo, exec_lo, s13
	v_lshrrev_b32_e32 v37, 21, v37
	s_delay_alu instid0(VALU_DEP_2) | instskip(SKIP_2) | instid1(VALU_DEP_4)
	v_cmp_gt_i32_e32 vcc_lo, 32, v36
	v_lshrrev_b32_e32 v27, 24, v27
	v_min_i32_e32 v38, 31, v36
	v_cndmask_b32_e32 v37, 3, v37, vcc_lo
	s_delay_alu instid0(VALU_DEP_3) | instskip(NEXT) | instid1(VALU_DEP_3)
	v_and_b32_e32 v27, 0x80, v27
	v_lshlrev_b32_e32 v38, 2, v38
	s_delay_alu instid0(VALU_DEP_3) | instskip(SKIP_1) | instid1(VALU_DEP_2)
	v_and_b32_e32 v39, 3, v37
	v_or_b32_e32 v36, v36, v37
	v_or3_b32 v27, v38, v27, v39
	s_delay_alu instid0(VALU_DEP_2) | instskip(NEXT) | instid1(VALU_DEP_2)
	v_cmp_ne_u32_e32 vcc_lo, 0, v36
	v_cndmask_b32_e32 v129, 0, v27, vcc_lo
.LBB6_4889:                             ;   in Loop: Header=BB6_3265 Depth=4
	s_or_b32 exec_lo, exec_lo, s35
.LBB6_4890:                             ;   in Loop: Header=BB6_3265 Depth=4
	s_delay_alu instid0(SALU_CYCLE_1) | instskip(SKIP_3) | instid1(VALU_DEP_1)
	s_or_b32 exec_lo, exec_lo, s34
	v_lshrrev_b16 v36, 8, v26
	s_mov_b32 s13, 0
	s_mov_b32 s35, exec_lo
                                        ; implicit-def: $sgpr34
	v_cmpx_lt_i16_e32 0x7f, v36
	s_xor_b32 s35, exec_lo, s35
	s_cbranch_execnz .LBB6_5744
; %bb.4891:                             ;   in Loop: Header=BB6_3265 Depth=4
	s_or_saveexec_b32 s35, s35
	v_mov_b32_e32 v27, s34
	s_xor_b32 exec_lo, exec_lo, s35
	s_cbranch_execnz .LBB6_5747
.LBB6_4892:                             ;   in Loop: Header=BB6_3265 Depth=4
	s_or_b32 exec_lo, exec_lo, s35
	s_and_saveexec_b32 s34, s13
	s_cbranch_execz .LBB6_4894
.LBB6_4893:                             ;   in Loop: Header=BB6_3265 Depth=4
	v_and_b32_e32 v27, 0xffff, v36
	s_delay_alu instid0(VALU_DEP_1) | instskip(NEXT) | instid1(VALU_DEP_1)
	v_and_b32_e32 v37, 3, v27
	v_clz_i32_u32_e32 v38, v37
	s_delay_alu instid0(VALU_DEP_1) | instskip(NEXT) | instid1(VALU_DEP_1)
	v_min_u32_e32 v38, 32, v38
	v_subrev_nc_u32_e32 v39, 29, v38
	v_sub_nc_u32_e32 v38, 30, v38
	s_delay_alu instid0(VALU_DEP_2) | instskip(SKIP_1) | instid1(VALU_DEP_2)
	v_lshlrev_b32_e32 v39, v39, v27
	v_bfe_u32 v27, v27, 2, 5
	v_and_b32_e32 v39, 3, v39
	s_delay_alu instid0(VALU_DEP_2) | instskip(SKIP_1) | instid1(VALU_DEP_1)
	v_cmp_eq_u32_e32 vcc_lo, 0, v27
	v_dual_cndmask_b32 v27, v27, v38 :: v_dual_lshlrev_b32 v36, 24, v36
	v_dual_cndmask_b32 v37, v37, v39 :: v_dual_and_b32 v36, 0x80000000, v36
	s_delay_alu instid0(VALU_DEP_2) | instskip(NEXT) | instid1(VALU_DEP_2)
	v_lshl_add_u32 v27, v27, 23, 0x37800000
	v_lshlrev_b32_e32 v37, 21, v37
	s_delay_alu instid0(VALU_DEP_1)
	v_or3_b32 v27, v36, v27, v37
.LBB6_4894:                             ;   in Loop: Header=BB6_3265 Depth=4
	s_or_b32 exec_lo, exec_lo, s34
	v_lshrrev_b16 v36, 8, v9
	s_mov_b32 s13, 0
	s_mov_b32 s35, exec_lo
                                        ; implicit-def: $sgpr34
	s_delay_alu instid0(VALU_DEP_1)
	v_cmpx_lt_i16_e32 0x7f, v36
	s_xor_b32 s35, exec_lo, s35
	s_cbranch_execnz .LBB6_5748
; %bb.4895:                             ;   in Loop: Header=BB6_3265 Depth=4
	s_or_saveexec_b32 s35, s35
	v_mov_b32_e32 v37, s34
	s_xor_b32 exec_lo, exec_lo, s35
	s_cbranch_execnz .LBB6_5751
.LBB6_4896:                             ;   in Loop: Header=BB6_3265 Depth=4
	s_or_b32 exec_lo, exec_lo, s35
	s_and_saveexec_b32 s34, s13
	s_cbranch_execz .LBB6_4898
.LBB6_4897:                             ;   in Loop: Header=BB6_3265 Depth=4
	v_and_b32_e32 v37, 0xffff, v36
	v_lshlrev_b32_e32 v36, 24, v36
	s_delay_alu instid0(VALU_DEP_2) | instskip(NEXT) | instid1(VALU_DEP_2)
	v_and_b32_e32 v38, 3, v37
	v_and_b32_e32 v36, 0x80000000, v36
	s_delay_alu instid0(VALU_DEP_2) | instskip(NEXT) | instid1(VALU_DEP_1)
	v_clz_i32_u32_e32 v39, v38
	v_min_u32_e32 v39, 32, v39
	s_delay_alu instid0(VALU_DEP_1) | instskip(SKIP_1) | instid1(VALU_DEP_2)
	v_subrev_nc_u32_e32 v48, 29, v39
	v_sub_nc_u32_e32 v39, 30, v39
	v_lshlrev_b32_e32 v48, v48, v37
	v_bfe_u32 v37, v37, 2, 5
	s_delay_alu instid0(VALU_DEP_2) | instskip(NEXT) | instid1(VALU_DEP_2)
	v_and_b32_e32 v48, 3, v48
	v_cmp_eq_u32_e32 vcc_lo, 0, v37
	s_delay_alu instid0(VALU_DEP_2) | instskip(NEXT) | instid1(VALU_DEP_1)
	v_dual_cndmask_b32 v37, v37, v39 :: v_dual_cndmask_b32 v38, v38, v48
	v_lshl_add_u32 v37, v37, 23, 0x37800000
	s_delay_alu instid0(VALU_DEP_2) | instskip(NEXT) | instid1(VALU_DEP_1)
	v_lshlrev_b32_e32 v38, 21, v38
	v_or3_b32 v37, v36, v37, v38
.LBB6_4898:                             ;   in Loop: Header=BB6_3265 Depth=4
	s_or_b32 exec_lo, exec_lo, s34
	s_delay_alu instid0(VALU_DEP_1) | instskip(SKIP_2) | instid1(VALU_DEP_2)
	v_add_f32_e32 v27, v27, v37
	v_mov_b32_e32 v115, 0x8000
	s_mov_b32 s34, exec_lo
	v_and_b32_e32 v36, 0x7f800000, v27
	s_delay_alu instid0(VALU_DEP_1)
	v_cmpx_ne_u32_e32 0x7f800000, v36
	s_cbranch_execz .LBB6_4906
; %bb.4899:                             ;   in Loop: Header=BB6_3265 Depth=4
	v_mov_b32_e32 v115, 0
	s_mov_b32 s35, exec_lo
	v_cmpx_ne_u32_e32 0, v27
	s_cbranch_execz .LBB6_4905
; %bb.4900:                             ;   in Loop: Header=BB6_3265 Depth=4
	v_bfe_u32 v36, v27, 23, 8
	s_delay_alu instid0(VALU_DEP_1) | instskip(SKIP_1) | instid1(VALU_DEP_2)
	v_sub_nc_u32_e32 v38, 0x70, v36
	v_cmp_gt_u32_e32 vcc_lo, 0x71, v36
	v_dual_cndmask_b32 v38, 0, v38 :: v_dual_and_b32 v37, 0x7fffff, v27
	s_delay_alu instid0(VALU_DEP_1) | instskip(SKIP_2) | instid1(VALU_DEP_4)
	v_or_b32_e32 v39, 0x800000, v37
	v_cmp_eq_u32_e32 vcc_lo, 0, v36
	v_add_nc_u32_e32 v36, 0xffffff91, v36
	v_cndmask_b32_e64 v38, v38, 0x6f, vcc_lo
	s_delay_alu instid0(VALU_DEP_4) | instskip(NEXT) | instid1(VALU_DEP_3)
	v_cndmask_b32_e32 v37, v39, v37, vcc_lo
	v_cndmask_b32_e64 v36, v36, 0xffffff92, vcc_lo
	s_delay_alu instid0(VALU_DEP_3) | instskip(NEXT) | instid1(VALU_DEP_3)
	v_lshl_add_u32 v39, 0x200000, v38, -1
	v_lshrrev_b32_e32 v48, v38, v37
	v_lshlrev_b32_e64 v50, v38, 0x100000
	s_delay_alu instid0(VALU_DEP_4) | instskip(NEXT) | instid1(VALU_DEP_4)
	v_add_nc_u32_e32 v38, v38, v36
	v_and_b32_e32 v37, v39, v37
	s_delay_alu instid0(VALU_DEP_4) | instskip(NEXT) | instid1(VALU_DEP_2)
	v_bfe_u32 v49, v48, 21, 1
	v_cmp_eq_u32_e64 s13, v37, v50
	s_delay_alu instid0(VALU_DEP_2) | instskip(NEXT) | instid1(VALU_DEP_1)
	v_add_nc_u32_e32 v39, -1, v49
	v_cndmask_b32_e64 v37, 0, v39, s13
	v_lshrrev_b32_e32 v39, 23, v48
	s_mov_b32 s13, exec_lo
	s_delay_alu instid0(VALU_DEP_2) | instskip(NEXT) | instid1(VALU_DEP_2)
	v_add_nc_u32_e32 v37, v37, v48
	v_xor_b32_e32 v39, 1, v39
	s_delay_alu instid0(VALU_DEP_2) | instskip(NEXT) | instid1(VALU_DEP_1)
	v_and_b32_e32 v36, 0x1fffff, v37
	v_add_nc_u32_e32 v37, v36, v48
                                        ; implicit-def: $vgpr36
	s_delay_alu instid0(VALU_DEP_3)
	v_cmpx_ne_u32_e64 v38, v39
	s_xor_b32 s13, exec_lo, s13
; %bb.4901:                             ;   in Loop: Header=BB6_3265 Depth=4
	s_delay_alu instid0(VALU_DEP_2) | instskip(SKIP_2) | instid1(VALU_DEP_2)
	v_cmp_lt_u32_e32 vcc_lo, 0xffffff, v37
	v_sub_nc_u32_e32 v36, v38, v39
	v_cndmask_b32_e64 v38, 0, 1, vcc_lo
	v_add_co_ci_u32_e32 v36, vcc_lo, 0, v36, vcc_lo
	s_delay_alu instid0(VALU_DEP_2)
	v_lshrrev_b32_e32 v37, v38, v37
; %bb.4902:                             ;   in Loop: Header=BB6_3265 Depth=4
	s_and_not1_saveexec_b32 s13, s13
; %bb.4903:                             ;   in Loop: Header=BB6_3265 Depth=4
	s_delay_alu instid0(VALU_DEP_1)
	v_bfe_u32 v36, v37, 23, 1
; %bb.4904:                             ;   in Loop: Header=BB6_3265 Depth=4
	s_or_b32 exec_lo, exec_lo, s13
	v_lshrrev_b32_e32 v37, 21, v37
	s_delay_alu instid0(VALU_DEP_2) | instskip(SKIP_2) | instid1(VALU_DEP_2)
	v_cmp_gt_i32_e32 vcc_lo, 32, v36
	v_min_i32_e32 v38, 31, v36
	v_lshrrev_b32_e32 v27, 24, v27
	v_dual_cndmask_b32 v37, 3, v37 :: v_dual_lshlrev_b32 v38, 2, v38
	s_delay_alu instid0(VALU_DEP_2) | instskip(NEXT) | instid1(VALU_DEP_2)
	v_and_b32_e32 v27, 0x80, v27
	v_or_b32_e32 v36, v36, v37
	v_and_b32_e32 v39, 3, v37
	s_delay_alu instid0(VALU_DEP_2) | instskip(SKIP_1) | instid1(VALU_DEP_1)
	v_cmp_ne_u32_e32 vcc_lo, 0, v36
	v_and_b32_e32 v38, 0xfc, v38
	v_or3_b32 v27, v27, v38, v39
	s_delay_alu instid0(VALU_DEP_1) | instskip(NEXT) | instid1(VALU_DEP_1)
	v_lshlrev_b32_e32 v27, 8, v27
	v_cndmask_b32_e32 v115, 0, v27, vcc_lo
.LBB6_4905:                             ;   in Loop: Header=BB6_3265 Depth=4
	s_or_b32 exec_lo, exec_lo, s35
.LBB6_4906:                             ;   in Loop: Header=BB6_3265 Depth=4
	s_delay_alu instid0(SALU_CYCLE_1) | instskip(SKIP_3) | instid1(VALU_DEP_1)
	s_or_b32 exec_lo, exec_lo, s34
	v_or_b32_e32 v36, v181, v51
	s_mov_b32 s13, 0
	s_mov_b32 s35, exec_lo
                                        ; implicit-def: $sgpr34
	v_and_b32_e32 v37, 0xff, v36
	s_delay_alu instid0(VALU_DEP_1)
	v_cmpx_lt_i16_e32 0x7f, v37
	s_xor_b32 s35, exec_lo, s35
	s_cbranch_execnz .LBB6_5752
; %bb.4907:                             ;   in Loop: Header=BB6_3265 Depth=4
	s_or_saveexec_b32 s35, s35
	v_mov_b32_e32 v27, s34
	s_xor_b32 exec_lo, exec_lo, s35
	s_cbranch_execnz .LBB6_5755
.LBB6_4908:                             ;   in Loop: Header=BB6_3265 Depth=4
	s_or_b32 exec_lo, exec_lo, s35
	v_lshl_or_b32 v26, v36, 16, v26
	s_and_saveexec_b32 s34, s13
	s_cbranch_execz .LBB6_4910
.LBB6_4909:                             ;   in Loop: Header=BB6_3265 Depth=4
	s_delay_alu instid0(VALU_DEP_1) | instskip(SKIP_2) | instid1(VALU_DEP_3)
	v_bfe_u32 v27, v26, 16, 2
	v_lshrrev_b32_e32 v37, 16, v26
	v_lshlrev_b32_e32 v39, 8, v26
	v_clz_i32_u32_e32 v36, v27
	s_delay_alu instid0(VALU_DEP_1) | instskip(NEXT) | instid1(VALU_DEP_1)
	v_min_u32_e32 v36, 32, v36
	v_subrev_nc_u32_e32 v38, 29, v36
	v_sub_nc_u32_e32 v36, 30, v36
	s_delay_alu instid0(VALU_DEP_2) | instskip(SKIP_1) | instid1(VALU_DEP_1)
	v_lshlrev_b32_e32 v37, v38, v37
	v_bfe_u32 v38, v26, 18, 5
	v_cmp_eq_u32_e32 vcc_lo, 0, v38
	s_delay_alu instid0(VALU_DEP_3) | instskip(NEXT) | instid1(VALU_DEP_1)
	v_dual_cndmask_b32 v36, v38, v36 :: v_dual_and_b32 v37, 3, v37
	v_cndmask_b32_e32 v27, v27, v37, vcc_lo
	v_and_b32_e32 v37, 0x80000000, v39
	s_delay_alu instid0(VALU_DEP_3) | instskip(NEXT) | instid1(VALU_DEP_3)
	v_lshl_add_u32 v36, v36, 23, 0x37800000
	v_lshlrev_b32_e32 v27, 21, v27
	s_delay_alu instid0(VALU_DEP_1)
	v_or3_b32 v27, v37, v36, v27
.LBB6_4910:                             ;   in Loop: Header=BB6_3265 Depth=4
	s_or_b32 exec_lo, exec_lo, s34
	v_lshrrev_b32_e32 v36, 16, v9
	s_mov_b32 s13, 0
	s_mov_b32 s35, exec_lo
                                        ; implicit-def: $sgpr34
	s_delay_alu instid0(VALU_DEP_1) | instskip(NEXT) | instid1(VALU_DEP_1)
	v_and_b32_e32 v38, 0xff, v36
	v_cmpx_lt_i16_e32 0x7f, v38
	s_xor_b32 s35, exec_lo, s35
	s_cbranch_execnz .LBB6_5756
; %bb.4911:                             ;   in Loop: Header=BB6_3265 Depth=4
	s_or_saveexec_b32 s35, s35
	v_mov_b32_e32 v37, s34
	s_xor_b32 exec_lo, exec_lo, s35
	s_cbranch_execnz .LBB6_5759
.LBB6_4912:                             ;   in Loop: Header=BB6_3265 Depth=4
	s_or_b32 exec_lo, exec_lo, s35
	s_and_saveexec_b32 s34, s13
	s_cbranch_execz .LBB6_4914
.LBB6_4913:                             ;   in Loop: Header=BB6_3265 Depth=4
	v_bfe_u32 v37, v9, 16, 2
	v_lshlrev_b32_e32 v48, 8, v9
	s_delay_alu instid0(VALU_DEP_2) | instskip(NEXT) | instid1(VALU_DEP_1)
	v_clz_i32_u32_e32 v38, v37
	v_min_u32_e32 v38, 32, v38
	s_delay_alu instid0(VALU_DEP_1) | instskip(SKIP_1) | instid1(VALU_DEP_2)
	v_subrev_nc_u32_e32 v39, 29, v38
	v_sub_nc_u32_e32 v38, 30, v38
	v_lshlrev_b32_e32 v36, v39, v36
	v_bfe_u32 v39, v9, 18, 5
	s_delay_alu instid0(VALU_DEP_2) | instskip(NEXT) | instid1(VALU_DEP_2)
	v_and_b32_e32 v36, 3, v36
	v_cmp_eq_u32_e32 vcc_lo, 0, v39
	v_cndmask_b32_e32 v38, v39, v38, vcc_lo
	s_delay_alu instid0(VALU_DEP_3) | instskip(SKIP_1) | instid1(VALU_DEP_3)
	v_cndmask_b32_e32 v36, v37, v36, vcc_lo
	v_and_b32_e32 v37, 0x80000000, v48
	v_lshl_add_u32 v38, v38, 23, 0x37800000
	s_delay_alu instid0(VALU_DEP_3) | instskip(NEXT) | instid1(VALU_DEP_1)
	v_lshlrev_b32_e32 v36, 21, v36
	v_or3_b32 v37, v37, v38, v36
.LBB6_4914:                             ;   in Loop: Header=BB6_3265 Depth=4
	s_or_b32 exec_lo, exec_lo, s34
	s_delay_alu instid0(VALU_DEP_1) | instskip(SKIP_1) | instid1(VALU_DEP_1)
	v_dual_add_f32 v27, v27, v37 :: v_dual_mov_b32 v132, 0x80
	s_mov_b32 s34, exec_lo
	v_and_b32_e32 v36, 0x7f800000, v27
	s_delay_alu instid0(VALU_DEP_1)
	v_cmpx_ne_u32_e32 0x7f800000, v36
	s_cbranch_execz .LBB6_4922
; %bb.4915:                             ;   in Loop: Header=BB6_3265 Depth=4
	v_mov_b32_e32 v132, 0
	s_mov_b32 s35, exec_lo
	v_cmpx_ne_u32_e32 0, v27
	s_cbranch_execz .LBB6_4921
; %bb.4916:                             ;   in Loop: Header=BB6_3265 Depth=4
	v_bfe_u32 v36, v27, 23, 8
	s_delay_alu instid0(VALU_DEP_1) | instskip(SKIP_1) | instid1(VALU_DEP_2)
	v_sub_nc_u32_e32 v38, 0x70, v36
	v_cmp_gt_u32_e32 vcc_lo, 0x71, v36
	v_dual_cndmask_b32 v38, 0, v38 :: v_dual_and_b32 v37, 0x7fffff, v27
	s_delay_alu instid0(VALU_DEP_1) | instskip(SKIP_2) | instid1(VALU_DEP_4)
	v_or_b32_e32 v39, 0x800000, v37
	v_cmp_eq_u32_e32 vcc_lo, 0, v36
	v_add_nc_u32_e32 v36, 0xffffff91, v36
	v_cndmask_b32_e64 v38, v38, 0x6f, vcc_lo
	s_delay_alu instid0(VALU_DEP_4) | instskip(NEXT) | instid1(VALU_DEP_3)
	v_cndmask_b32_e32 v37, v39, v37, vcc_lo
	v_cndmask_b32_e64 v36, v36, 0xffffff92, vcc_lo
	s_delay_alu instid0(VALU_DEP_3) | instskip(NEXT) | instid1(VALU_DEP_3)
	v_lshl_add_u32 v39, 0x200000, v38, -1
	v_lshrrev_b32_e32 v48, v38, v37
	v_lshlrev_b32_e64 v50, v38, 0x100000
	s_delay_alu instid0(VALU_DEP_4) | instskip(NEXT) | instid1(VALU_DEP_4)
	v_add_nc_u32_e32 v38, v38, v36
	v_and_b32_e32 v37, v39, v37
	s_delay_alu instid0(VALU_DEP_4) | instskip(NEXT) | instid1(VALU_DEP_2)
	v_bfe_u32 v49, v48, 21, 1
	v_cmp_eq_u32_e64 s13, v37, v50
	s_delay_alu instid0(VALU_DEP_2) | instskip(NEXT) | instid1(VALU_DEP_1)
	v_add_nc_u32_e32 v39, -1, v49
	v_cndmask_b32_e64 v37, 0, v39, s13
	v_lshrrev_b32_e32 v39, 23, v48
	s_mov_b32 s13, exec_lo
	s_delay_alu instid0(VALU_DEP_2) | instskip(NEXT) | instid1(VALU_DEP_2)
	v_add_nc_u32_e32 v37, v37, v48
	v_xor_b32_e32 v39, 1, v39
	s_delay_alu instid0(VALU_DEP_2) | instskip(NEXT) | instid1(VALU_DEP_1)
	v_and_b32_e32 v36, 0x1fffff, v37
	v_add_nc_u32_e32 v37, v36, v48
                                        ; implicit-def: $vgpr36
	s_delay_alu instid0(VALU_DEP_3)
	v_cmpx_ne_u32_e64 v38, v39
	s_xor_b32 s13, exec_lo, s13
; %bb.4917:                             ;   in Loop: Header=BB6_3265 Depth=4
	s_delay_alu instid0(VALU_DEP_2) | instskip(SKIP_2) | instid1(VALU_DEP_2)
	v_cmp_lt_u32_e32 vcc_lo, 0xffffff, v37
	v_sub_nc_u32_e32 v36, v38, v39
	v_cndmask_b32_e64 v38, 0, 1, vcc_lo
	v_add_co_ci_u32_e32 v36, vcc_lo, 0, v36, vcc_lo
	s_delay_alu instid0(VALU_DEP_2)
	v_lshrrev_b32_e32 v37, v38, v37
; %bb.4918:                             ;   in Loop: Header=BB6_3265 Depth=4
	s_and_not1_saveexec_b32 s13, s13
; %bb.4919:                             ;   in Loop: Header=BB6_3265 Depth=4
	s_delay_alu instid0(VALU_DEP_1)
	v_bfe_u32 v36, v37, 23, 1
; %bb.4920:                             ;   in Loop: Header=BB6_3265 Depth=4
	s_or_b32 exec_lo, exec_lo, s13
	v_lshrrev_b32_e32 v37, 21, v37
	s_delay_alu instid0(VALU_DEP_2) | instskip(SKIP_2) | instid1(VALU_DEP_2)
	v_cmp_gt_i32_e32 vcc_lo, 32, v36
	v_min_i32_e32 v38, 31, v36
	v_lshrrev_b32_e32 v27, 24, v27
	v_dual_cndmask_b32 v37, 3, v37 :: v_dual_lshlrev_b32 v38, 2, v38
	s_delay_alu instid0(VALU_DEP_2) | instskip(NEXT) | instid1(VALU_DEP_2)
	v_and_b32_e32 v27, 0x80, v27
	v_or_b32_e32 v36, v36, v37
	s_delay_alu instid0(VALU_DEP_3) | instskip(NEXT) | instid1(VALU_DEP_2)
	v_and_b32_e32 v38, 0xfc, v38
	v_cmp_ne_u32_e32 vcc_lo, 0, v36
	v_and_b32_e32 v39, 3, v37
	s_delay_alu instid0(VALU_DEP_1) | instskip(NEXT) | instid1(VALU_DEP_1)
	v_or3_b32 v27, v38, v27, v39
	v_cndmask_b32_e32 v132, 0, v27, vcc_lo
.LBB6_4921:                             ;   in Loop: Header=BB6_3265 Depth=4
	s_or_b32 exec_lo, exec_lo, s35
.LBB6_4922:                             ;   in Loop: Header=BB6_3265 Depth=4
	s_delay_alu instid0(SALU_CYCLE_1) | instskip(SKIP_3) | instid1(VALU_DEP_1)
	s_or_b32 exec_lo, exec_lo, s34
	v_lshrrev_b32_e32 v36, 24, v26
	s_mov_b32 s13, 0
	s_mov_b32 s35, exec_lo
                                        ; implicit-def: $sgpr34
	v_cmpx_lt_i16_e32 0x7f, v36
	s_xor_b32 s35, exec_lo, s35
	s_cbranch_execnz .LBB6_5760
; %bb.4923:                             ;   in Loop: Header=BB6_3265 Depth=4
	s_or_saveexec_b32 s35, s35
	v_mov_b32_e32 v27, s34
	s_xor_b32 exec_lo, exec_lo, s35
	s_cbranch_execnz .LBB6_5763
.LBB6_4924:                             ;   in Loop: Header=BB6_3265 Depth=4
	s_or_b32 exec_lo, exec_lo, s35
	s_and_saveexec_b32 s34, s13
	s_cbranch_execz .LBB6_4926
.LBB6_4925:                             ;   in Loop: Header=BB6_3265 Depth=4
	v_bfe_u32 v27, v26, 24, 2
	s_delay_alu instid0(VALU_DEP_1) | instskip(NEXT) | instid1(VALU_DEP_1)
	v_clz_i32_u32_e32 v37, v27
	v_min_u32_e32 v37, 32, v37
	s_delay_alu instid0(VALU_DEP_1) | instskip(SKIP_1) | instid1(VALU_DEP_2)
	v_subrev_nc_u32_e32 v38, 29, v37
	v_sub_nc_u32_e32 v37, 30, v37
	v_lshlrev_b32_e32 v36, v38, v36
	v_bfe_u32 v38, v26, 26, 5
	v_and_b32_e32 v26, 0x80000000, v26
	s_delay_alu instid0(VALU_DEP_2) | instskip(NEXT) | instid1(VALU_DEP_4)
	v_cmp_eq_u32_e32 vcc_lo, 0, v38
	v_dual_cndmask_b32 v37, v38, v37 :: v_dual_and_b32 v36, 3, v36
	s_delay_alu instid0(VALU_DEP_1) | instskip(NEXT) | instid1(VALU_DEP_2)
	v_cndmask_b32_e32 v27, v27, v36, vcc_lo
	v_lshl_add_u32 v36, v37, 23, 0x37800000
	s_delay_alu instid0(VALU_DEP_2) | instskip(NEXT) | instid1(VALU_DEP_1)
	v_lshlrev_b32_e32 v27, 21, v27
	v_or3_b32 v27, v26, v36, v27
.LBB6_4926:                             ;   in Loop: Header=BB6_3265 Depth=4
	s_or_b32 exec_lo, exec_lo, s34
	v_lshrrev_b32_e32 v26, 24, v9
	s_mov_b32 s13, 0
	s_mov_b32 s35, exec_lo
                                        ; implicit-def: $sgpr34
	s_delay_alu instid0(VALU_DEP_1)
	v_cmpx_lt_i16_e32 0x7f, v26
	s_xor_b32 s35, exec_lo, s35
	s_cbranch_execnz .LBB6_5764
; %bb.4927:                             ;   in Loop: Header=BB6_3265 Depth=4
	s_or_saveexec_b32 s35, s35
	v_mov_b32_e32 v36, s34
	s_xor_b32 exec_lo, exec_lo, s35
	s_cbranch_execnz .LBB6_5767
.LBB6_4928:                             ;   in Loop: Header=BB6_3265 Depth=4
	s_or_b32 exec_lo, exec_lo, s35
	s_and_saveexec_b32 s34, s13
	s_cbranch_execz .LBB6_4930
.LBB6_4929:                             ;   in Loop: Header=BB6_3265 Depth=4
	v_bfe_u32 v36, v9, 24, 2
	s_delay_alu instid0(VALU_DEP_1) | instskip(NEXT) | instid1(VALU_DEP_1)
	v_clz_i32_u32_e32 v37, v36
	v_min_u32_e32 v37, 32, v37
	s_delay_alu instid0(VALU_DEP_1) | instskip(SKIP_1) | instid1(VALU_DEP_2)
	v_subrev_nc_u32_e32 v38, 29, v37
	v_sub_nc_u32_e32 v37, 30, v37
	v_lshlrev_b32_e32 v26, v38, v26
	v_bfe_u32 v38, v9, 26, 5
	v_and_b32_e32 v9, 0x80000000, v9
	s_delay_alu instid0(VALU_DEP_2) | instskip(NEXT) | instid1(VALU_DEP_4)
	v_cmp_eq_u32_e32 vcc_lo, 0, v38
	v_dual_cndmask_b32 v37, v38, v37 :: v_dual_and_b32 v26, 3, v26
	s_delay_alu instid0(VALU_DEP_1) | instskip(NEXT) | instid1(VALU_DEP_2)
	v_cndmask_b32_e32 v26, v36, v26, vcc_lo
	v_lshl_add_u32 v36, v37, 23, 0x37800000
	s_delay_alu instid0(VALU_DEP_2) | instskip(NEXT) | instid1(VALU_DEP_1)
	v_lshlrev_b32_e32 v26, 21, v26
	v_or3_b32 v36, v9, v36, v26
.LBB6_4930:                             ;   in Loop: Header=BB6_3265 Depth=4
	s_or_b32 exec_lo, exec_lo, s34
	s_delay_alu instid0(VALU_DEP_1) | instskip(NEXT) | instid1(VALU_DEP_1)
	v_add_f32_e32 v26, v27, v36
	v_and_b32_e32 v9, 0x7f800000, v26
	s_delay_alu instid0(VALU_DEP_1)
	v_cmp_ne_u32_e32 vcc_lo, 0x7f800000, v9
	v_mov_b32_e32 v9, 0x8000
	s_and_saveexec_b32 s34, vcc_lo
	s_cbranch_execz .LBB6_4938
; %bb.4931:                             ;   in Loop: Header=BB6_3265 Depth=4
	v_mov_b32_e32 v9, 0
	s_mov_b32 s35, exec_lo
	v_cmpx_ne_u32_e32 0, v26
	s_cbranch_execz .LBB6_4937
; %bb.4932:                             ;   in Loop: Header=BB6_3265 Depth=4
	v_bfe_u32 v9, v26, 23, 8
	s_delay_alu instid0(VALU_DEP_1) | instskip(SKIP_1) | instid1(VALU_DEP_2)
	v_sub_nc_u32_e32 v36, 0x70, v9
	v_cmp_gt_u32_e32 vcc_lo, 0x71, v9
	v_dual_cndmask_b32 v36, 0, v36 :: v_dual_and_b32 v27, 0x7fffff, v26
	s_delay_alu instid0(VALU_DEP_1) | instskip(SKIP_2) | instid1(VALU_DEP_4)
	v_or_b32_e32 v37, 0x800000, v27
	v_cmp_eq_u32_e32 vcc_lo, 0, v9
	v_add_nc_u32_e32 v9, 0xffffff91, v9
	v_cndmask_b32_e64 v36, v36, 0x6f, vcc_lo
	s_delay_alu instid0(VALU_DEP_2) | instskip(SKIP_1) | instid1(VALU_DEP_3)
	v_cndmask_b32_e64 v9, v9, 0xffffff92, vcc_lo
	v_cndmask_b32_e32 v27, v37, v27, vcc_lo
	v_lshl_add_u32 v37, 0x200000, v36, -1
	v_lshlrev_b32_e64 v48, v36, 0x100000
	s_delay_alu instid0(VALU_DEP_3) | instskip(SKIP_1) | instid1(VALU_DEP_4)
	v_lshrrev_b32_e32 v38, v36, v27
	v_add_nc_u32_e32 v36, v36, v9
	v_and_b32_e32 v27, v37, v27
	s_delay_alu instid0(VALU_DEP_3) | instskip(NEXT) | instid1(VALU_DEP_2)
	v_bfe_u32 v39, v38, 21, 1
	v_cmp_eq_u32_e64 s13, v27, v48
	s_delay_alu instid0(VALU_DEP_2) | instskip(NEXT) | instid1(VALU_DEP_1)
	v_add_nc_u32_e32 v37, -1, v39
	v_cndmask_b32_e64 v27, 0, v37, s13
	v_lshrrev_b32_e32 v37, 23, v38
	s_mov_b32 s13, exec_lo
	s_delay_alu instid0(VALU_DEP_2) | instskip(NEXT) | instid1(VALU_DEP_2)
	v_add_nc_u32_e32 v27, v27, v38
	v_xor_b32_e32 v37, 1, v37
	s_delay_alu instid0(VALU_DEP_2) | instskip(NEXT) | instid1(VALU_DEP_1)
	v_and_b32_e32 v9, 0x1fffff, v27
	v_add_nc_u32_e32 v27, v9, v38
                                        ; implicit-def: $vgpr9
	s_delay_alu instid0(VALU_DEP_3)
	v_cmpx_ne_u32_e64 v36, v37
	s_xor_b32 s13, exec_lo, s13
; %bb.4933:                             ;   in Loop: Header=BB6_3265 Depth=4
	s_delay_alu instid0(VALU_DEP_2) | instskip(SKIP_2) | instid1(VALU_DEP_2)
	v_cmp_lt_u32_e32 vcc_lo, 0xffffff, v27
	v_sub_nc_u32_e32 v9, v36, v37
	v_cndmask_b32_e64 v36, 0, 1, vcc_lo
	v_add_co_ci_u32_e32 v9, vcc_lo, 0, v9, vcc_lo
	s_delay_alu instid0(VALU_DEP_2)
	v_lshrrev_b32_e32 v27, v36, v27
; %bb.4934:                             ;   in Loop: Header=BB6_3265 Depth=4
	s_and_not1_saveexec_b32 s13, s13
; %bb.4935:                             ;   in Loop: Header=BB6_3265 Depth=4
	s_delay_alu instid0(VALU_DEP_1)
	v_bfe_u32 v9, v27, 23, 1
; %bb.4936:                             ;   in Loop: Header=BB6_3265 Depth=4
	s_or_b32 exec_lo, exec_lo, s13
	v_lshrrev_b32_e32 v27, 21, v27
	s_delay_alu instid0(VALU_DEP_2) | instskip(SKIP_2) | instid1(VALU_DEP_2)
	v_cmp_gt_i32_e32 vcc_lo, 32, v9
	v_min_i32_e32 v36, 31, v9
	v_lshrrev_b32_e32 v26, 24, v26
	v_dual_cndmask_b32 v27, 3, v27 :: v_dual_lshlrev_b32 v36, 2, v36
	s_delay_alu instid0(VALU_DEP_2) | instskip(NEXT) | instid1(VALU_DEP_2)
	v_and_b32_e32 v26, 0x80, v26
	v_or_b32_e32 v9, v9, v27
	v_and_b32_e32 v37, 3, v27
	s_delay_alu instid0(VALU_DEP_2) | instskip(SKIP_1) | instid1(VALU_DEP_1)
	v_cmp_ne_u32_e32 vcc_lo, 0, v9
	v_and_b32_e32 v36, 0xfc, v36
	v_or3_b32 v26, v26, v36, v37
	s_delay_alu instid0(VALU_DEP_1) | instskip(NEXT) | instid1(VALU_DEP_1)
	v_lshlrev_b32_e32 v26, 8, v26
	v_cndmask_b32_e32 v9, 0, v26, vcc_lo
.LBB6_4937:                             ;   in Loop: Header=BB6_3265 Depth=4
	s_or_b32 exec_lo, exec_lo, s35
.LBB6_4938:                             ;   in Loop: Header=BB6_3265 Depth=4
	s_delay_alu instid0(SALU_CYCLE_1) | instskip(SKIP_3) | instid1(VALU_DEP_1)
	s_or_b32 exec_lo, exec_lo, s34
	v_and_b32_e32 v27, 0xff, v177
	s_mov_b32 s13, 0
	s_mov_b32 s35, exec_lo
                                        ; implicit-def: $sgpr34
	v_cmpx_lt_i16_e32 0x7f, v27
	s_xor_b32 s35, exec_lo, s35
	s_cbranch_execnz .LBB6_5768
; %bb.4939:                             ;   in Loop: Header=BB6_3265 Depth=4
	s_or_saveexec_b32 s35, s35
	v_mov_b32_e32 v26, s34
	s_xor_b32 exec_lo, exec_lo, s35
	s_cbranch_execnz .LBB6_5771
.LBB6_4940:                             ;   in Loop: Header=BB6_3265 Depth=4
	s_or_b32 exec_lo, exec_lo, s35
	s_and_saveexec_b32 s34, s13
	s_cbranch_execz .LBB6_4942
.LBB6_4941:                             ;   in Loop: Header=BB6_3265 Depth=4
	v_bfe_u32 v37, v177, 2, 5
	v_lshlrev_b32_e32 v38, 24, v177
	s_delay_alu instid0(VALU_DEP_2) | instskip(SKIP_1) | instid1(VALU_DEP_1)
	v_cmp_eq_u32_e32 vcc_lo, 0, v37
	v_and_b32_e32 v26, 3, v177
	v_clz_i32_u32_e32 v27, v26
	s_delay_alu instid0(VALU_DEP_1) | instskip(NEXT) | instid1(VALU_DEP_1)
	v_min_u32_e32 v27, 32, v27
	v_subrev_nc_u32_e32 v36, 29, v27
	v_sub_nc_u32_e32 v27, 30, v27
	s_delay_alu instid0(VALU_DEP_1) | instskip(NEXT) | instid1(VALU_DEP_1)
	v_dual_cndmask_b32 v27, v37, v27 :: v_dual_lshlrev_b32 v36, v36, v177
	v_and_b32_e32 v36, 3, v36
	s_delay_alu instid0(VALU_DEP_2) | instskip(NEXT) | instid1(VALU_DEP_2)
	v_lshl_add_u32 v27, v27, 23, 0x37800000
	v_cndmask_b32_e32 v26, v26, v36, vcc_lo
	v_and_b32_e32 v36, 0x80000000, v38
	s_delay_alu instid0(VALU_DEP_2) | instskip(NEXT) | instid1(VALU_DEP_1)
	v_lshlrev_b32_e32 v26, 21, v26
	v_or3_b32 v26, v36, v27, v26
.LBB6_4942:                             ;   in Loop: Header=BB6_3265 Depth=4
	s_or_b32 exec_lo, exec_lo, s34
	v_and_b32_e32 v36, 0xff, v10
	s_mov_b32 s13, 0
	s_mov_b32 s35, exec_lo
                                        ; implicit-def: $sgpr34
	s_delay_alu instid0(VALU_DEP_1)
	v_cmpx_lt_i16_e32 0x7f, v36
	s_xor_b32 s35, exec_lo, s35
	s_cbranch_execnz .LBB6_5772
; %bb.4943:                             ;   in Loop: Header=BB6_3265 Depth=4
	s_or_saveexec_b32 s35, s35
	v_mov_b32_e32 v27, s34
	s_xor_b32 exec_lo, exec_lo, s35
	s_cbranch_execnz .LBB6_5775
.LBB6_4944:                             ;   in Loop: Header=BB6_3265 Depth=4
	s_or_b32 exec_lo, exec_lo, s35
	s_and_saveexec_b32 s34, s13
	s_cbranch_execz .LBB6_4946
.LBB6_4945:                             ;   in Loop: Header=BB6_3265 Depth=4
	v_bfe_u32 v38, v10, 2, 5
	v_lshlrev_b32_e32 v39, 24, v10
	s_delay_alu instid0(VALU_DEP_2) | instskip(SKIP_1) | instid1(VALU_DEP_1)
	v_cmp_eq_u32_e32 vcc_lo, 0, v38
	v_and_b32_e32 v27, 3, v10
	v_clz_i32_u32_e32 v36, v27
	s_delay_alu instid0(VALU_DEP_1) | instskip(NEXT) | instid1(VALU_DEP_1)
	v_min_u32_e32 v36, 32, v36
	v_subrev_nc_u32_e32 v37, 29, v36
	v_sub_nc_u32_e32 v36, 30, v36
	s_delay_alu instid0(VALU_DEP_1) | instskip(NEXT) | instid1(VALU_DEP_1)
	v_dual_cndmask_b32 v36, v38, v36 :: v_dual_lshlrev_b32 v37, v37, v10
	v_and_b32_e32 v37, 3, v37
	s_delay_alu instid0(VALU_DEP_2) | instskip(NEXT) | instid1(VALU_DEP_2)
	v_lshl_add_u32 v36, v36, 23, 0x37800000
	v_cndmask_b32_e32 v27, v27, v37, vcc_lo
	v_and_b32_e32 v37, 0x80000000, v39
	s_delay_alu instid0(VALU_DEP_2) | instskip(NEXT) | instid1(VALU_DEP_1)
	v_lshlrev_b32_e32 v27, 21, v27
	v_or3_b32 v27, v37, v36, v27
.LBB6_4946:                             ;   in Loop: Header=BB6_3265 Depth=4
	s_or_b32 exec_lo, exec_lo, s34
	s_delay_alu instid0(VALU_DEP_1) | instskip(SKIP_2) | instid1(VALU_DEP_2)
	v_add_f32_e32 v26, v26, v27
	v_mov_b32_e32 v52, 0x80
	s_mov_b32 s34, exec_lo
	v_and_b32_e32 v27, 0x7f800000, v26
	s_delay_alu instid0(VALU_DEP_1)
	v_cmpx_ne_u32_e32 0x7f800000, v27
	s_cbranch_execz .LBB6_4954
; %bb.4947:                             ;   in Loop: Header=BB6_3265 Depth=4
	v_mov_b32_e32 v52, 0
	s_mov_b32 s35, exec_lo
	v_cmpx_ne_u32_e32 0, v26
	s_cbranch_execz .LBB6_4953
; %bb.4948:                             ;   in Loop: Header=BB6_3265 Depth=4
	v_bfe_u32 v27, v26, 23, 8
	s_delay_alu instid0(VALU_DEP_1) | instskip(SKIP_1) | instid1(VALU_DEP_2)
	v_sub_nc_u32_e32 v37, 0x70, v27
	v_cmp_gt_u32_e32 vcc_lo, 0x71, v27
	v_dual_cndmask_b32 v37, 0, v37 :: v_dual_and_b32 v36, 0x7fffff, v26
	s_delay_alu instid0(VALU_DEP_1) | instskip(SKIP_2) | instid1(VALU_DEP_4)
	v_or_b32_e32 v38, 0x800000, v36
	v_cmp_eq_u32_e32 vcc_lo, 0, v27
	v_add_nc_u32_e32 v27, 0xffffff91, v27
	v_cndmask_b32_e64 v37, v37, 0x6f, vcc_lo
	s_delay_alu instid0(VALU_DEP_4) | instskip(NEXT) | instid1(VALU_DEP_3)
	v_cndmask_b32_e32 v36, v38, v36, vcc_lo
	v_cndmask_b32_e64 v27, v27, 0xffffff92, vcc_lo
	s_delay_alu instid0(VALU_DEP_3) | instskip(NEXT) | instid1(VALU_DEP_3)
	v_lshl_add_u32 v38, 0x200000, v37, -1
	v_lshrrev_b32_e32 v39, v37, v36
	v_lshlrev_b32_e64 v49, v37, 0x100000
	s_delay_alu instid0(VALU_DEP_4) | instskip(NEXT) | instid1(VALU_DEP_4)
	v_add_nc_u32_e32 v37, v37, v27
	v_and_b32_e32 v36, v38, v36
	s_delay_alu instid0(VALU_DEP_4) | instskip(NEXT) | instid1(VALU_DEP_2)
	v_bfe_u32 v48, v39, 21, 1
	v_cmp_eq_u32_e64 s13, v36, v49
	s_delay_alu instid0(VALU_DEP_2) | instskip(NEXT) | instid1(VALU_DEP_1)
	v_add_nc_u32_e32 v38, -1, v48
	v_cndmask_b32_e64 v36, 0, v38, s13
	v_lshrrev_b32_e32 v38, 23, v39
	s_mov_b32 s13, exec_lo
	s_delay_alu instid0(VALU_DEP_2) | instskip(NEXT) | instid1(VALU_DEP_2)
	v_add_nc_u32_e32 v36, v36, v39
	v_xor_b32_e32 v38, 1, v38
	s_delay_alu instid0(VALU_DEP_2) | instskip(NEXT) | instid1(VALU_DEP_1)
	v_and_b32_e32 v27, 0x1fffff, v36
	v_add_nc_u32_e32 v36, v27, v39
                                        ; implicit-def: $vgpr27
	s_delay_alu instid0(VALU_DEP_3)
	v_cmpx_ne_u32_e64 v37, v38
	s_xor_b32 s13, exec_lo, s13
; %bb.4949:                             ;   in Loop: Header=BB6_3265 Depth=4
	s_delay_alu instid0(VALU_DEP_2) | instskip(SKIP_2) | instid1(VALU_DEP_2)
	v_cmp_lt_u32_e32 vcc_lo, 0xffffff, v36
	v_sub_nc_u32_e32 v27, v37, v38
	v_cndmask_b32_e64 v37, 0, 1, vcc_lo
	v_add_co_ci_u32_e32 v27, vcc_lo, 0, v27, vcc_lo
	s_delay_alu instid0(VALU_DEP_2)
	v_lshrrev_b32_e32 v36, v37, v36
; %bb.4950:                             ;   in Loop: Header=BB6_3265 Depth=4
	s_and_not1_saveexec_b32 s13, s13
; %bb.4951:                             ;   in Loop: Header=BB6_3265 Depth=4
	s_delay_alu instid0(VALU_DEP_1)
	v_bfe_u32 v27, v36, 23, 1
; %bb.4952:                             ;   in Loop: Header=BB6_3265 Depth=4
	s_or_b32 exec_lo, exec_lo, s13
	v_lshrrev_b32_e32 v36, 21, v36
	s_delay_alu instid0(VALU_DEP_2) | instskip(SKIP_2) | instid1(VALU_DEP_4)
	v_cmp_gt_i32_e32 vcc_lo, 32, v27
	v_lshrrev_b32_e32 v26, 24, v26
	v_min_i32_e32 v37, 31, v27
	v_cndmask_b32_e32 v36, 3, v36, vcc_lo
	s_delay_alu instid0(VALU_DEP_3) | instskip(NEXT) | instid1(VALU_DEP_3)
	v_and_b32_e32 v26, 0x80, v26
	v_lshlrev_b32_e32 v37, 2, v37
	s_delay_alu instid0(VALU_DEP_3) | instskip(SKIP_1) | instid1(VALU_DEP_2)
	v_and_b32_e32 v38, 3, v36
	v_or_b32_e32 v27, v27, v36
	v_or3_b32 v26, v37, v26, v38
	s_delay_alu instid0(VALU_DEP_2) | instskip(NEXT) | instid1(VALU_DEP_2)
	v_cmp_ne_u32_e32 vcc_lo, 0, v27
	v_cndmask_b32_e32 v52, 0, v26, vcc_lo
.LBB6_4953:                             ;   in Loop: Header=BB6_3265 Depth=4
	s_or_b32 exec_lo, exec_lo, s35
.LBB6_4954:                             ;   in Loop: Header=BB6_3265 Depth=4
	s_delay_alu instid0(SALU_CYCLE_1) | instskip(SKIP_3) | instid1(VALU_DEP_1)
	s_or_b32 exec_lo, exec_lo, s34
	v_and_b32_e32 v27, 0xff, v166
	s_mov_b32 s13, 0
	s_mov_b32 s35, exec_lo
                                        ; implicit-def: $sgpr34
	v_cmpx_lt_i16_e32 0x7f, v27
	s_xor_b32 s35, exec_lo, s35
	s_cbranch_execnz .LBB6_5776
; %bb.4955:                             ;   in Loop: Header=BB6_3265 Depth=4
	s_or_saveexec_b32 s35, s35
	v_mov_b32_e32 v26, s34
	s_xor_b32 exec_lo, exec_lo, s35
	s_cbranch_execnz .LBB6_5779
.LBB6_4956:                             ;   in Loop: Header=BB6_3265 Depth=4
	s_or_b32 exec_lo, exec_lo, s35
	s_and_saveexec_b32 s34, s13
	s_cbranch_execz .LBB6_4958
.LBB6_4957:                             ;   in Loop: Header=BB6_3265 Depth=4
	v_bfe_u32 v37, v166, 2, 5
	v_lshlrev_b32_e32 v38, 24, v166
	s_delay_alu instid0(VALU_DEP_2) | instskip(SKIP_1) | instid1(VALU_DEP_1)
	v_cmp_eq_u32_e32 vcc_lo, 0, v37
	v_and_b32_e32 v26, 3, v166
	v_clz_i32_u32_e32 v27, v26
	s_delay_alu instid0(VALU_DEP_1) | instskip(NEXT) | instid1(VALU_DEP_1)
	v_min_u32_e32 v27, 32, v27
	v_subrev_nc_u32_e32 v36, 29, v27
	v_sub_nc_u32_e32 v27, 30, v27
	s_delay_alu instid0(VALU_DEP_1) | instskip(NEXT) | instid1(VALU_DEP_1)
	v_dual_cndmask_b32 v27, v37, v27 :: v_dual_lshlrev_b32 v36, v36, v166
	v_and_b32_e32 v36, 3, v36
	s_delay_alu instid0(VALU_DEP_2) | instskip(NEXT) | instid1(VALU_DEP_2)
	v_lshl_add_u32 v27, v27, 23, 0x37800000
	v_cndmask_b32_e32 v26, v26, v36, vcc_lo
	v_and_b32_e32 v36, 0x80000000, v38
	s_delay_alu instid0(VALU_DEP_2) | instskip(NEXT) | instid1(VALU_DEP_1)
	v_lshlrev_b32_e32 v26, 21, v26
	v_or3_b32 v26, v36, v27, v26
.LBB6_4958:                             ;   in Loop: Header=BB6_3265 Depth=4
	s_or_b32 exec_lo, exec_lo, s34
	v_lshrrev_b16 v27, 8, v10
	s_mov_b32 s13, 0
	s_mov_b32 s35, exec_lo
                                        ; implicit-def: $sgpr34
	s_delay_alu instid0(VALU_DEP_1)
	v_cmpx_lt_i16_e32 0x7f, v27
	s_xor_b32 s35, exec_lo, s35
	s_cbranch_execnz .LBB6_5780
; %bb.4959:                             ;   in Loop: Header=BB6_3265 Depth=4
	s_or_saveexec_b32 s35, s35
	v_mov_b32_e32 v36, s34
	s_xor_b32 exec_lo, exec_lo, s35
	s_cbranch_execnz .LBB6_5783
.LBB6_4960:                             ;   in Loop: Header=BB6_3265 Depth=4
	s_or_b32 exec_lo, exec_lo, s35
	s_and_saveexec_b32 s34, s13
	s_cbranch_execz .LBB6_4962
.LBB6_4961:                             ;   in Loop: Header=BB6_3265 Depth=4
	v_and_b32_e32 v36, 0xffff, v27
	v_lshlrev_b32_e32 v27, 24, v27
	s_delay_alu instid0(VALU_DEP_2) | instskip(NEXT) | instid1(VALU_DEP_2)
	v_and_b32_e32 v37, 3, v36
	v_and_b32_e32 v27, 0x80000000, v27
	s_delay_alu instid0(VALU_DEP_2) | instskip(NEXT) | instid1(VALU_DEP_1)
	v_clz_i32_u32_e32 v38, v37
	v_min_u32_e32 v38, 32, v38
	s_delay_alu instid0(VALU_DEP_1) | instskip(SKIP_1) | instid1(VALU_DEP_2)
	v_subrev_nc_u32_e32 v39, 29, v38
	v_sub_nc_u32_e32 v38, 30, v38
	v_lshlrev_b32_e32 v39, v39, v36
	v_bfe_u32 v36, v36, 2, 5
	s_delay_alu instid0(VALU_DEP_2) | instskip(NEXT) | instid1(VALU_DEP_2)
	v_and_b32_e32 v39, 3, v39
	v_cmp_eq_u32_e32 vcc_lo, 0, v36
	s_delay_alu instid0(VALU_DEP_2) | instskip(NEXT) | instid1(VALU_DEP_1)
	v_dual_cndmask_b32 v36, v36, v38 :: v_dual_cndmask_b32 v37, v37, v39
	v_lshl_add_u32 v36, v36, 23, 0x37800000
	s_delay_alu instid0(VALU_DEP_2) | instskip(NEXT) | instid1(VALU_DEP_1)
	v_lshlrev_b32_e32 v37, 21, v37
	v_or3_b32 v36, v27, v36, v37
.LBB6_4962:                             ;   in Loop: Header=BB6_3265 Depth=4
	s_or_b32 exec_lo, exec_lo, s34
	s_delay_alu instid0(VALU_DEP_1) | instskip(NEXT) | instid1(VALU_DEP_1)
	v_add_f32_e32 v27, v26, v36
	v_and_b32_e32 v26, 0x7f800000, v27
	s_delay_alu instid0(VALU_DEP_1)
	v_cmp_ne_u32_e32 vcc_lo, 0x7f800000, v26
	v_mov_b32_e32 v26, 0x80
	s_and_saveexec_b32 s34, vcc_lo
	s_cbranch_execz .LBB6_4970
; %bb.4963:                             ;   in Loop: Header=BB6_3265 Depth=4
	v_mov_b32_e32 v26, 0
	s_mov_b32 s35, exec_lo
	v_cmpx_ne_u32_e32 0, v27
	s_cbranch_execz .LBB6_4969
; %bb.4964:                             ;   in Loop: Header=BB6_3265 Depth=4
	v_bfe_u32 v26, v27, 23, 8
	s_delay_alu instid0(VALU_DEP_1) | instskip(SKIP_1) | instid1(VALU_DEP_2)
	v_sub_nc_u32_e32 v37, 0x70, v26
	v_cmp_gt_u32_e32 vcc_lo, 0x71, v26
	v_dual_cndmask_b32 v37, 0, v37 :: v_dual_and_b32 v36, 0x7fffff, v27
	s_delay_alu instid0(VALU_DEP_1) | instskip(SKIP_2) | instid1(VALU_DEP_4)
	v_or_b32_e32 v38, 0x800000, v36
	v_cmp_eq_u32_e32 vcc_lo, 0, v26
	v_add_nc_u32_e32 v26, 0xffffff91, v26
	v_cndmask_b32_e64 v37, v37, 0x6f, vcc_lo
	s_delay_alu instid0(VALU_DEP_2) | instskip(SKIP_1) | instid1(VALU_DEP_3)
	v_cndmask_b32_e64 v26, v26, 0xffffff92, vcc_lo
	v_cndmask_b32_e32 v36, v38, v36, vcc_lo
	v_lshl_add_u32 v38, 0x200000, v37, -1
	v_lshlrev_b32_e64 v49, v37, 0x100000
	s_delay_alu instid0(VALU_DEP_3) | instskip(SKIP_1) | instid1(VALU_DEP_4)
	v_lshrrev_b32_e32 v39, v37, v36
	v_add_nc_u32_e32 v37, v37, v26
	v_and_b32_e32 v36, v38, v36
	s_delay_alu instid0(VALU_DEP_3) | instskip(NEXT) | instid1(VALU_DEP_2)
	v_bfe_u32 v48, v39, 21, 1
	v_cmp_eq_u32_e64 s13, v36, v49
	s_delay_alu instid0(VALU_DEP_2) | instskip(NEXT) | instid1(VALU_DEP_1)
	v_add_nc_u32_e32 v38, -1, v48
	v_cndmask_b32_e64 v36, 0, v38, s13
	v_lshrrev_b32_e32 v38, 23, v39
	s_mov_b32 s13, exec_lo
	s_delay_alu instid0(VALU_DEP_2) | instskip(NEXT) | instid1(VALU_DEP_2)
	v_add_nc_u32_e32 v36, v36, v39
	v_xor_b32_e32 v38, 1, v38
	s_delay_alu instid0(VALU_DEP_2) | instskip(NEXT) | instid1(VALU_DEP_1)
	v_and_b32_e32 v26, 0x1fffff, v36
	v_add_nc_u32_e32 v36, v26, v39
                                        ; implicit-def: $vgpr26
	s_delay_alu instid0(VALU_DEP_3)
	v_cmpx_ne_u32_e64 v37, v38
	s_xor_b32 s13, exec_lo, s13
; %bb.4965:                             ;   in Loop: Header=BB6_3265 Depth=4
	s_delay_alu instid0(VALU_DEP_2) | instskip(SKIP_2) | instid1(VALU_DEP_2)
	v_cmp_lt_u32_e32 vcc_lo, 0xffffff, v36
	v_sub_nc_u32_e32 v26, v37, v38
	v_cndmask_b32_e64 v37, 0, 1, vcc_lo
	v_add_co_ci_u32_e32 v26, vcc_lo, 0, v26, vcc_lo
	s_delay_alu instid0(VALU_DEP_2)
	v_lshrrev_b32_e32 v36, v37, v36
; %bb.4966:                             ;   in Loop: Header=BB6_3265 Depth=4
	s_and_not1_saveexec_b32 s13, s13
; %bb.4967:                             ;   in Loop: Header=BB6_3265 Depth=4
	s_delay_alu instid0(VALU_DEP_1)
	v_bfe_u32 v26, v36, 23, 1
; %bb.4968:                             ;   in Loop: Header=BB6_3265 Depth=4
	s_or_b32 exec_lo, exec_lo, s13
	v_lshrrev_b32_e32 v36, 21, v36
	s_delay_alu instid0(VALU_DEP_2) | instskip(SKIP_2) | instid1(VALU_DEP_2)
	v_cmp_gt_i32_e32 vcc_lo, 32, v26
	v_lshrrev_b32_e32 v27, 24, v27
	v_min_i32_e32 v37, 31, v26
	v_dual_cndmask_b32 v36, 3, v36 :: v_dual_and_b32 v27, 0x80, v27
	s_delay_alu instid0(VALU_DEP_1) | instskip(SKIP_1) | instid1(VALU_DEP_2)
	v_or_b32_e32 v26, v26, v36
	v_and_b32_e32 v38, 3, v36
	v_cmp_ne_u32_e32 vcc_lo, 0, v26
	v_lshlrev_b32_e32 v37, 2, v37
	s_delay_alu instid0(VALU_DEP_1) | instskip(NEXT) | instid1(VALU_DEP_1)
	v_or3_b32 v27, v37, v27, v38
	v_cndmask_b32_e32 v26, 0, v27, vcc_lo
.LBB6_4969:                             ;   in Loop: Header=BB6_3265 Depth=4
	s_or_b32 exec_lo, exec_lo, s35
.LBB6_4970:                             ;   in Loop: Header=BB6_3265 Depth=4
	s_delay_alu instid0(SALU_CYCLE_1) | instskip(SKIP_3) | instid1(VALU_DEP_1)
	s_or_b32 exec_lo, exec_lo, s34
	v_and_b32_e32 v36, 0xff, v165
	s_mov_b32 s13, 0
	s_mov_b32 s35, exec_lo
                                        ; implicit-def: $sgpr34
	v_cmpx_lt_i16_e32 0x7f, v36
	s_xor_b32 s35, exec_lo, s35
	s_cbranch_execnz .LBB6_5784
; %bb.4971:                             ;   in Loop: Header=BB6_3265 Depth=4
	s_or_saveexec_b32 s35, s35
	v_mov_b32_e32 v27, s34
	s_xor_b32 exec_lo, exec_lo, s35
	s_cbranch_execnz .LBB6_5787
.LBB6_4972:                             ;   in Loop: Header=BB6_3265 Depth=4
	s_or_b32 exec_lo, exec_lo, s35
	s_and_saveexec_b32 s34, s13
	s_cbranch_execz .LBB6_4974
.LBB6_4973:                             ;   in Loop: Header=BB6_3265 Depth=4
	v_bfe_u32 v38, v165, 2, 5
	v_lshlrev_b32_e32 v39, 24, v165
	s_delay_alu instid0(VALU_DEP_2) | instskip(SKIP_1) | instid1(VALU_DEP_1)
	v_cmp_eq_u32_e32 vcc_lo, 0, v38
	v_and_b32_e32 v27, 3, v165
	v_clz_i32_u32_e32 v36, v27
	s_delay_alu instid0(VALU_DEP_1) | instskip(NEXT) | instid1(VALU_DEP_1)
	v_min_u32_e32 v36, 32, v36
	v_subrev_nc_u32_e32 v37, 29, v36
	v_sub_nc_u32_e32 v36, 30, v36
	s_delay_alu instid0(VALU_DEP_1) | instskip(NEXT) | instid1(VALU_DEP_1)
	v_dual_cndmask_b32 v36, v38, v36 :: v_dual_lshlrev_b32 v37, v37, v165
	v_and_b32_e32 v37, 3, v37
	s_delay_alu instid0(VALU_DEP_2) | instskip(NEXT) | instid1(VALU_DEP_2)
	v_lshl_add_u32 v36, v36, 23, 0x37800000
	v_cndmask_b32_e32 v27, v27, v37, vcc_lo
	v_and_b32_e32 v37, 0x80000000, v39
	s_delay_alu instid0(VALU_DEP_2) | instskip(NEXT) | instid1(VALU_DEP_1)
	v_lshlrev_b32_e32 v27, 21, v27
	v_or3_b32 v27, v37, v36, v27
.LBB6_4974:                             ;   in Loop: Header=BB6_3265 Depth=4
	s_or_b32 exec_lo, exec_lo, s34
	v_lshrrev_b32_e32 v36, 16, v10
	s_mov_b32 s13, 0
	s_mov_b32 s35, exec_lo
                                        ; implicit-def: $sgpr34
	s_delay_alu instid0(VALU_DEP_1) | instskip(NEXT) | instid1(VALU_DEP_1)
	v_and_b32_e32 v38, 0xff, v36
	v_cmpx_lt_i16_e32 0x7f, v38
	s_xor_b32 s35, exec_lo, s35
	s_cbranch_execnz .LBB6_5788
; %bb.4975:                             ;   in Loop: Header=BB6_3265 Depth=4
	s_or_saveexec_b32 s35, s35
	v_mov_b32_e32 v37, s34
	s_xor_b32 exec_lo, exec_lo, s35
	s_cbranch_execnz .LBB6_5791
.LBB6_4976:                             ;   in Loop: Header=BB6_3265 Depth=4
	s_or_b32 exec_lo, exec_lo, s35
	s_and_saveexec_b32 s34, s13
	s_cbranch_execz .LBB6_4978
.LBB6_4977:                             ;   in Loop: Header=BB6_3265 Depth=4
	v_bfe_u32 v37, v10, 16, 2
	v_lshlrev_b32_e32 v48, 8, v10
	s_delay_alu instid0(VALU_DEP_2) | instskip(NEXT) | instid1(VALU_DEP_1)
	v_clz_i32_u32_e32 v38, v37
	v_min_u32_e32 v38, 32, v38
	s_delay_alu instid0(VALU_DEP_1) | instskip(SKIP_1) | instid1(VALU_DEP_2)
	v_subrev_nc_u32_e32 v39, 29, v38
	v_sub_nc_u32_e32 v38, 30, v38
	v_lshlrev_b32_e32 v36, v39, v36
	v_bfe_u32 v39, v10, 18, 5
	s_delay_alu instid0(VALU_DEP_2) | instskip(NEXT) | instid1(VALU_DEP_2)
	v_and_b32_e32 v36, 3, v36
	v_cmp_eq_u32_e32 vcc_lo, 0, v39
	v_cndmask_b32_e32 v38, v39, v38, vcc_lo
	s_delay_alu instid0(VALU_DEP_3) | instskip(SKIP_1) | instid1(VALU_DEP_3)
	v_cndmask_b32_e32 v36, v37, v36, vcc_lo
	v_and_b32_e32 v37, 0x80000000, v48
	v_lshl_add_u32 v38, v38, 23, 0x37800000
	s_delay_alu instid0(VALU_DEP_3) | instskip(NEXT) | instid1(VALU_DEP_1)
	v_lshlrev_b32_e32 v36, 21, v36
	v_or3_b32 v37, v37, v38, v36
.LBB6_4978:                             ;   in Loop: Header=BB6_3265 Depth=4
	s_or_b32 exec_lo, exec_lo, s34
	s_delay_alu instid0(VALU_DEP_1) | instskip(NEXT) | instid1(VALU_DEP_1)
	v_add_f32_e32 v36, v27, v37
	v_and_b32_e32 v27, 0x7f800000, v36
	s_delay_alu instid0(VALU_DEP_1)
	v_cmp_ne_u32_e32 vcc_lo, 0x7f800000, v27
	v_mov_b32_e32 v27, 0x80
	s_and_saveexec_b32 s34, vcc_lo
	s_cbranch_execz .LBB6_4986
; %bb.4979:                             ;   in Loop: Header=BB6_3265 Depth=4
	v_mov_b32_e32 v27, 0
	s_mov_b32 s35, exec_lo
	v_cmpx_ne_u32_e32 0, v36
	s_cbranch_execz .LBB6_4985
; %bb.4980:                             ;   in Loop: Header=BB6_3265 Depth=4
	v_bfe_u32 v27, v36, 23, 8
	s_delay_alu instid0(VALU_DEP_1) | instskip(SKIP_1) | instid1(VALU_DEP_2)
	v_sub_nc_u32_e32 v38, 0x70, v27
	v_cmp_gt_u32_e32 vcc_lo, 0x71, v27
	v_dual_cndmask_b32 v38, 0, v38 :: v_dual_and_b32 v37, 0x7fffff, v36
	s_delay_alu instid0(VALU_DEP_1) | instskip(SKIP_2) | instid1(VALU_DEP_4)
	v_or_b32_e32 v39, 0x800000, v37
	v_cmp_eq_u32_e32 vcc_lo, 0, v27
	v_add_nc_u32_e32 v27, 0xffffff91, v27
	v_cndmask_b32_e64 v38, v38, 0x6f, vcc_lo
	s_delay_alu instid0(VALU_DEP_2) | instskip(SKIP_1) | instid1(VALU_DEP_3)
	v_cndmask_b32_e64 v27, v27, 0xffffff92, vcc_lo
	v_cndmask_b32_e32 v37, v39, v37, vcc_lo
	v_lshl_add_u32 v39, 0x200000, v38, -1
	v_lshlrev_b32_e64 v50, v38, 0x100000
	s_delay_alu instid0(VALU_DEP_3) | instskip(SKIP_1) | instid1(VALU_DEP_4)
	v_lshrrev_b32_e32 v48, v38, v37
	v_add_nc_u32_e32 v38, v38, v27
	v_and_b32_e32 v37, v39, v37
	s_delay_alu instid0(VALU_DEP_3) | instskip(NEXT) | instid1(VALU_DEP_2)
	v_bfe_u32 v49, v48, 21, 1
	v_cmp_eq_u32_e64 s13, v37, v50
	s_delay_alu instid0(VALU_DEP_2) | instskip(NEXT) | instid1(VALU_DEP_1)
	v_add_nc_u32_e32 v39, -1, v49
	v_cndmask_b32_e64 v37, 0, v39, s13
	v_lshrrev_b32_e32 v39, 23, v48
	s_mov_b32 s13, exec_lo
	s_delay_alu instid0(VALU_DEP_2) | instskip(NEXT) | instid1(VALU_DEP_2)
	v_add_nc_u32_e32 v37, v37, v48
	v_xor_b32_e32 v39, 1, v39
	s_delay_alu instid0(VALU_DEP_2) | instskip(NEXT) | instid1(VALU_DEP_1)
	v_and_b32_e32 v27, 0x1fffff, v37
	v_add_nc_u32_e32 v37, v27, v48
                                        ; implicit-def: $vgpr27
	s_delay_alu instid0(VALU_DEP_3)
	v_cmpx_ne_u32_e64 v38, v39
	s_xor_b32 s13, exec_lo, s13
; %bb.4981:                             ;   in Loop: Header=BB6_3265 Depth=4
	s_delay_alu instid0(VALU_DEP_2) | instskip(SKIP_2) | instid1(VALU_DEP_2)
	v_cmp_lt_u32_e32 vcc_lo, 0xffffff, v37
	v_sub_nc_u32_e32 v27, v38, v39
	v_cndmask_b32_e64 v38, 0, 1, vcc_lo
	v_add_co_ci_u32_e32 v27, vcc_lo, 0, v27, vcc_lo
	s_delay_alu instid0(VALU_DEP_2)
	v_lshrrev_b32_e32 v37, v38, v37
; %bb.4982:                             ;   in Loop: Header=BB6_3265 Depth=4
	s_and_not1_saveexec_b32 s13, s13
; %bb.4983:                             ;   in Loop: Header=BB6_3265 Depth=4
	s_delay_alu instid0(VALU_DEP_1)
	v_bfe_u32 v27, v37, 23, 1
; %bb.4984:                             ;   in Loop: Header=BB6_3265 Depth=4
	s_or_b32 exec_lo, exec_lo, s13
	v_lshrrev_b32_e32 v37, 21, v37
	s_delay_alu instid0(VALU_DEP_2) | instskip(SKIP_2) | instid1(VALU_DEP_2)
	v_cmp_gt_i32_e32 vcc_lo, 32, v27
	v_lshrrev_b32_e32 v36, 24, v36
	v_min_i32_e32 v38, 31, v27
	v_dual_cndmask_b32 v37, 3, v37 :: v_dual_and_b32 v36, 0x80, v36
	s_delay_alu instid0(VALU_DEP_1) | instskip(SKIP_1) | instid1(VALU_DEP_2)
	v_or_b32_e32 v27, v27, v37
	v_and_b32_e32 v39, 3, v37
	v_cmp_ne_u32_e32 vcc_lo, 0, v27
	v_lshlrev_b32_e32 v38, 2, v38
	s_delay_alu instid0(VALU_DEP_1) | instskip(NEXT) | instid1(VALU_DEP_1)
	v_or3_b32 v36, v38, v36, v39
	v_cndmask_b32_e32 v27, 0, v36, vcc_lo
.LBB6_4985:                             ;   in Loop: Header=BB6_3265 Depth=4
	s_or_b32 exec_lo, exec_lo, s35
.LBB6_4986:                             ;   in Loop: Header=BB6_3265 Depth=4
	s_delay_alu instid0(SALU_CYCLE_1) | instskip(SKIP_3) | instid1(VALU_DEP_1)
	s_or_b32 exec_lo, exec_lo, s34
	v_and_b32_e32 v37, 0xff, v163
	s_mov_b32 s13, 0
	s_mov_b32 s35, exec_lo
                                        ; implicit-def: $sgpr34
	v_cmpx_lt_i16_e32 0x7f, v37
	s_xor_b32 s35, exec_lo, s35
	s_cbranch_execnz .LBB6_5792
; %bb.4987:                             ;   in Loop: Header=BB6_3265 Depth=4
	s_or_saveexec_b32 s35, s35
	v_mov_b32_e32 v36, s34
	s_xor_b32 exec_lo, exec_lo, s35
	s_cbranch_execnz .LBB6_5795
.LBB6_4988:                             ;   in Loop: Header=BB6_3265 Depth=4
	s_or_b32 exec_lo, exec_lo, s35
	s_and_saveexec_b32 s34, s13
	s_cbranch_execz .LBB6_4990
.LBB6_4989:                             ;   in Loop: Header=BB6_3265 Depth=4
	v_lshlrev_b32_e32 v36, 8, v163
	s_delay_alu instid0(VALU_DEP_1) | instskip(SKIP_1) | instid1(VALU_DEP_2)
	v_and_b32_e32 v38, 0xff00, v36
	v_bfe_u32 v36, v36, 10, 5
	v_bfe_u32 v39, v38, 8, 2
	s_delay_alu instid0(VALU_DEP_2) | instskip(SKIP_1) | instid1(VALU_DEP_3)
	v_cmp_eq_u32_e32 vcc_lo, 0, v36
	v_lshlrev_b32_e32 v38, 16, v38
	v_clz_i32_u32_e32 v48, v39
	s_delay_alu instid0(VALU_DEP_2) | instskip(NEXT) | instid1(VALU_DEP_2)
	v_and_b32_e32 v38, 0x80000000, v38
	v_min_u32_e32 v48, 32, v48
	s_delay_alu instid0(VALU_DEP_1) | instskip(SKIP_1) | instid1(VALU_DEP_1)
	v_subrev_nc_u32_e32 v49, 29, v48
	v_sub_nc_u32_e32 v48, 30, v48
	v_dual_cndmask_b32 v36, v36, v48 :: v_dual_lshlrev_b32 v37, v49, v37
	s_delay_alu instid0(VALU_DEP_1) | instskip(NEXT) | instid1(VALU_DEP_2)
	v_and_b32_e32 v37, 3, v37
	v_lshl_add_u32 v36, v36, 23, 0x37800000
	s_delay_alu instid0(VALU_DEP_2) | instskip(NEXT) | instid1(VALU_DEP_1)
	v_cndmask_b32_e32 v37, v39, v37, vcc_lo
	v_lshlrev_b32_e32 v37, 21, v37
	s_delay_alu instid0(VALU_DEP_1)
	v_or3_b32 v36, v38, v36, v37
.LBB6_4990:                             ;   in Loop: Header=BB6_3265 Depth=4
	s_or_b32 exec_lo, exec_lo, s34
	v_lshrrev_b32_e32 v37, 24, v10
	s_mov_b32 s13, 0
	s_mov_b32 s35, exec_lo
                                        ; implicit-def: $sgpr34
	s_delay_alu instid0(VALU_DEP_1)
	v_cmpx_lt_i16_e32 0x7f, v37
	s_xor_b32 s35, exec_lo, s35
	s_cbranch_execnz .LBB6_5796
; %bb.4991:                             ;   in Loop: Header=BB6_3265 Depth=4
	s_or_saveexec_b32 s35, s35
	v_mov_b32_e32 v38, s34
	s_xor_b32 exec_lo, exec_lo, s35
	s_cbranch_execnz .LBB6_5799
.LBB6_4992:                             ;   in Loop: Header=BB6_3265 Depth=4
	s_or_b32 exec_lo, exec_lo, s35
	s_and_saveexec_b32 s34, s13
	s_cbranch_execz .LBB6_4994
.LBB6_4993:                             ;   in Loop: Header=BB6_3265 Depth=4
	v_bfe_u32 v38, v10, 24, 2
	s_delay_alu instid0(VALU_DEP_1) | instskip(NEXT) | instid1(VALU_DEP_1)
	v_clz_i32_u32_e32 v39, v38
	v_min_u32_e32 v39, 32, v39
	s_delay_alu instid0(VALU_DEP_1) | instskip(SKIP_1) | instid1(VALU_DEP_2)
	v_subrev_nc_u32_e32 v48, 29, v39
	v_sub_nc_u32_e32 v39, 30, v39
	v_lshlrev_b32_e32 v37, v48, v37
	v_bfe_u32 v48, v10, 26, 5
	v_and_b32_e32 v10, 0x80000000, v10
	s_delay_alu instid0(VALU_DEP_3) | instskip(NEXT) | instid1(VALU_DEP_3)
	v_and_b32_e32 v37, 3, v37
	v_cmp_eq_u32_e32 vcc_lo, 0, v48
	v_cndmask_b32_e32 v39, v48, v39, vcc_lo
	s_delay_alu instid0(VALU_DEP_3) | instskip(NEXT) | instid1(VALU_DEP_2)
	v_cndmask_b32_e32 v37, v38, v37, vcc_lo
	v_lshl_add_u32 v38, v39, 23, 0x37800000
	s_delay_alu instid0(VALU_DEP_2) | instskip(NEXT) | instid1(VALU_DEP_1)
	v_lshlrev_b32_e32 v37, 21, v37
	v_or3_b32 v38, v10, v38, v37
.LBB6_4994:                             ;   in Loop: Header=BB6_3265 Depth=4
	s_or_b32 exec_lo, exec_lo, s34
	s_delay_alu instid0(VALU_DEP_1) | instskip(NEXT) | instid1(VALU_DEP_1)
	v_add_f32_e32 v36, v36, v38
	v_and_b32_e32 v10, 0x7f800000, v36
	s_delay_alu instid0(VALU_DEP_1)
	v_cmp_ne_u32_e32 vcc_lo, 0x7f800000, v10
	v_mov_b32_e32 v10, 0x80
	s_and_saveexec_b32 s34, vcc_lo
	s_cbranch_execz .LBB6_5002
; %bb.4995:                             ;   in Loop: Header=BB6_3265 Depth=4
	v_mov_b32_e32 v10, 0
	s_mov_b32 s35, exec_lo
	v_cmpx_ne_u32_e32 0, v36
	s_cbranch_execz .LBB6_5001
; %bb.4996:                             ;   in Loop: Header=BB6_3265 Depth=4
	v_bfe_u32 v10, v36, 23, 8
	s_delay_alu instid0(VALU_DEP_1) | instskip(SKIP_1) | instid1(VALU_DEP_2)
	v_sub_nc_u32_e32 v38, 0x70, v10
	v_cmp_gt_u32_e32 vcc_lo, 0x71, v10
	v_dual_cndmask_b32 v38, 0, v38 :: v_dual_and_b32 v37, 0x7fffff, v36
	s_delay_alu instid0(VALU_DEP_1) | instskip(SKIP_2) | instid1(VALU_DEP_4)
	v_or_b32_e32 v39, 0x800000, v37
	v_cmp_eq_u32_e32 vcc_lo, 0, v10
	v_add_nc_u32_e32 v10, 0xffffff91, v10
	v_cndmask_b32_e64 v38, v38, 0x6f, vcc_lo
	s_delay_alu instid0(VALU_DEP_4) | instskip(NEXT) | instid1(VALU_DEP_3)
	v_cndmask_b32_e32 v37, v39, v37, vcc_lo
	v_cndmask_b32_e64 v10, v10, 0xffffff92, vcc_lo
	s_delay_alu instid0(VALU_DEP_3) | instskip(NEXT) | instid1(VALU_DEP_3)
	v_lshl_add_u32 v39, 0x200000, v38, -1
	v_lshrrev_b32_e32 v48, v38, v37
	v_lshlrev_b32_e64 v50, v38, 0x100000
	s_delay_alu instid0(VALU_DEP_4) | instskip(NEXT) | instid1(VALU_DEP_4)
	v_add_nc_u32_e32 v38, v38, v10
	v_and_b32_e32 v37, v39, v37
	s_delay_alu instid0(VALU_DEP_4) | instskip(NEXT) | instid1(VALU_DEP_2)
	v_bfe_u32 v49, v48, 21, 1
	v_cmp_eq_u32_e64 s13, v37, v50
	s_delay_alu instid0(VALU_DEP_2) | instskip(NEXT) | instid1(VALU_DEP_1)
	v_add_nc_u32_e32 v39, -1, v49
	v_cndmask_b32_e64 v37, 0, v39, s13
	v_lshrrev_b32_e32 v39, 23, v48
	s_mov_b32 s13, exec_lo
	s_delay_alu instid0(VALU_DEP_2) | instskip(NEXT) | instid1(VALU_DEP_2)
	v_add_nc_u32_e32 v37, v37, v48
	v_xor_b32_e32 v39, 1, v39
	s_delay_alu instid0(VALU_DEP_2) | instskip(NEXT) | instid1(VALU_DEP_1)
	v_and_b32_e32 v10, 0x1fffff, v37
	v_add_nc_u32_e32 v37, v10, v48
                                        ; implicit-def: $vgpr10
	s_delay_alu instid0(VALU_DEP_3)
	v_cmpx_ne_u32_e64 v38, v39
	s_xor_b32 s13, exec_lo, s13
; %bb.4997:                             ;   in Loop: Header=BB6_3265 Depth=4
	s_delay_alu instid0(VALU_DEP_2) | instskip(SKIP_2) | instid1(VALU_DEP_2)
	v_cmp_lt_u32_e32 vcc_lo, 0xffffff, v37
	v_sub_nc_u32_e32 v10, v38, v39
	v_cndmask_b32_e64 v38, 0, 1, vcc_lo
	v_add_co_ci_u32_e32 v10, vcc_lo, 0, v10, vcc_lo
	s_delay_alu instid0(VALU_DEP_2)
	v_lshrrev_b32_e32 v37, v38, v37
; %bb.4998:                             ;   in Loop: Header=BB6_3265 Depth=4
	s_and_not1_saveexec_b32 s13, s13
; %bb.4999:                             ;   in Loop: Header=BB6_3265 Depth=4
	s_delay_alu instid0(VALU_DEP_1)
	v_bfe_u32 v10, v37, 23, 1
; %bb.5000:                             ;   in Loop: Header=BB6_3265 Depth=4
	s_or_b32 exec_lo, exec_lo, s13
	v_lshrrev_b32_e32 v37, 21, v37
	s_delay_alu instid0(VALU_DEP_2) | instskip(SKIP_2) | instid1(VALU_DEP_2)
	v_cmp_gt_i32_e32 vcc_lo, 32, v10
	v_lshrrev_b32_e32 v36, 24, v36
	v_min_i32_e32 v38, 31, v10
	v_dual_cndmask_b32 v37, 3, v37 :: v_dual_and_b32 v36, 0x80, v36
	s_delay_alu instid0(VALU_DEP_2) | instskip(NEXT) | instid1(VALU_DEP_2)
	v_lshlrev_b32_e32 v38, 2, v38
	v_or_b32_e32 v10, v10, v37
	s_delay_alu instid0(VALU_DEP_1) | instskip(SKIP_1) | instid1(VALU_DEP_1)
	v_cmp_ne_u32_e32 vcc_lo, 0, v10
	v_and_b32_e32 v39, 3, v37
	v_or3_b32 v36, v38, v36, v39
	s_delay_alu instid0(VALU_DEP_1)
	v_cndmask_b32_e32 v10, 0, v36, vcc_lo
.LBB6_5001:                             ;   in Loop: Header=BB6_3265 Depth=4
	s_or_b32 exec_lo, exec_lo, s35
.LBB6_5002:                             ;   in Loop: Header=BB6_3265 Depth=4
	s_delay_alu instid0(SALU_CYCLE_1) | instskip(SKIP_3) | instid1(VALU_DEP_1)
	s_or_b32 exec_lo, exec_lo, s34
	v_or_b32_e32 v38, v54, v53
	s_mov_b32 s13, 0
	s_mov_b32 s35, exec_lo
                                        ; implicit-def: $sgpr34
	v_and_b32_e32 v37, 0xff, v38
	s_delay_alu instid0(VALU_DEP_1)
	v_cmpx_lt_i16_e32 0x7f, v37
	s_xor_b32 s35, exec_lo, s35
	s_cbranch_execnz .LBB6_5800
; %bb.5003:                             ;   in Loop: Header=BB6_3265 Depth=4
	s_or_saveexec_b32 s35, s35
	v_mov_b32_e32 v36, s34
	s_xor_b32 exec_lo, exec_lo, s35
	s_cbranch_execnz .LBB6_5803
.LBB6_5004:                             ;   in Loop: Header=BB6_3265 Depth=4
	s_or_b32 exec_lo, exec_lo, s35
	s_and_saveexec_b32 s34, s13
	s_cbranch_execz .LBB6_5006
.LBB6_5005:                             ;   in Loop: Header=BB6_3265 Depth=4
	v_bfe_u32 v48, v38, 2, 5
	s_delay_alu instid0(VALU_DEP_1) | instskip(SKIP_1) | instid1(VALU_DEP_1)
	v_cmp_eq_u32_e32 vcc_lo, 0, v48
	v_and_b32_e32 v36, 3, v38
	v_clz_i32_u32_e32 v37, v36
	s_delay_alu instid0(VALU_DEP_1) | instskip(NEXT) | instid1(VALU_DEP_1)
	v_min_u32_e32 v37, 32, v37
	v_subrev_nc_u32_e32 v39, 29, v37
	v_sub_nc_u32_e32 v37, 30, v37
	s_delay_alu instid0(VALU_DEP_2) | instskip(NEXT) | instid1(VALU_DEP_2)
	v_lshlrev_b32_e32 v39, v39, v38
	v_cndmask_b32_e32 v37, v48, v37, vcc_lo
	s_delay_alu instid0(VALU_DEP_2) | instskip(SKIP_1) | instid1(VALU_DEP_3)
	v_and_b32_e32 v39, 3, v39
	v_lshlrev_b32_e32 v49, 24, v38
	v_lshl_add_u32 v37, v37, 23, 0x37800000
	s_delay_alu instid0(VALU_DEP_2) | instskip(NEXT) | instid1(VALU_DEP_1)
	v_dual_cndmask_b32 v36, v36, v39 :: v_dual_and_b32 v39, 0x80000000, v49
	v_lshlrev_b32_e32 v36, 21, v36
	s_delay_alu instid0(VALU_DEP_1)
	v_or3_b32 v36, v39, v37, v36
.LBB6_5006:                             ;   in Loop: Header=BB6_3265 Depth=4
	s_or_b32 exec_lo, exec_lo, s34
	v_and_b32_e32 v39, 0xff, v11
	s_mov_b32 s13, 0
	s_mov_b32 s35, exec_lo
                                        ; implicit-def: $sgpr34
	s_delay_alu instid0(VALU_DEP_1)
	v_cmpx_lt_i16_e32 0x7f, v39
	s_xor_b32 s35, exec_lo, s35
	s_cbranch_execnz .LBB6_5804
; %bb.5007:                             ;   in Loop: Header=BB6_3265 Depth=4
	s_or_saveexec_b32 s35, s35
	v_mov_b32_e32 v37, s34
	s_xor_b32 exec_lo, exec_lo, s35
	s_cbranch_execnz .LBB6_5807
.LBB6_5008:                             ;   in Loop: Header=BB6_3265 Depth=4
	s_or_b32 exec_lo, exec_lo, s35
	s_and_saveexec_b32 s34, s13
	s_cbranch_execz .LBB6_5010
.LBB6_5009:                             ;   in Loop: Header=BB6_3265 Depth=4
	v_and_b32_e32 v37, 3, v11
	v_bfe_u32 v49, v11, 2, 5
	s_delay_alu instid0(VALU_DEP_2) | instskip(NEXT) | instid1(VALU_DEP_2)
	v_clz_i32_u32_e32 v39, v37
	v_cmp_eq_u32_e32 vcc_lo, 0, v49
	s_delay_alu instid0(VALU_DEP_2) | instskip(NEXT) | instid1(VALU_DEP_1)
	v_min_u32_e32 v39, 32, v39
	v_subrev_nc_u32_e32 v48, 29, v39
	v_sub_nc_u32_e32 v39, 30, v39
	s_delay_alu instid0(VALU_DEP_2) | instskip(NEXT) | instid1(VALU_DEP_1)
	v_lshlrev_b32_e32 v48, v48, v11
	v_dual_cndmask_b32 v39, v49, v39 :: v_dual_and_b32 v48, 3, v48
	v_lshlrev_b32_e32 v50, 24, v11
	s_delay_alu instid0(VALU_DEP_2) | instskip(NEXT) | instid1(VALU_DEP_2)
	v_lshl_add_u32 v39, v39, 23, 0x37800000
	v_dual_cndmask_b32 v37, v37, v48 :: v_dual_and_b32 v48, 0x80000000, v50
	s_delay_alu instid0(VALU_DEP_1) | instskip(NEXT) | instid1(VALU_DEP_1)
	v_lshlrev_b32_e32 v37, 21, v37
	v_or3_b32 v37, v48, v39, v37
.LBB6_5010:                             ;   in Loop: Header=BB6_3265 Depth=4
	s_or_b32 exec_lo, exec_lo, s34
	s_delay_alu instid0(VALU_DEP_1) | instskip(NEXT) | instid1(VALU_DEP_1)
	v_add_f32_e32 v37, v36, v37
	v_and_b32_e32 v36, 0x7f800000, v37
	s_delay_alu instid0(VALU_DEP_1)
	v_cmp_ne_u32_e32 vcc_lo, 0x7f800000, v36
	v_mov_b32_e32 v36, 0x80
	s_and_saveexec_b32 s34, vcc_lo
	s_cbranch_execz .LBB6_5018
; %bb.5011:                             ;   in Loop: Header=BB6_3265 Depth=4
	v_mov_b32_e32 v36, 0
	s_mov_b32 s35, exec_lo
	v_cmpx_ne_u32_e32 0, v37
	s_cbranch_execz .LBB6_5017
; %bb.5012:                             ;   in Loop: Header=BB6_3265 Depth=4
	v_bfe_u32 v36, v37, 23, 8
	s_delay_alu instid0(VALU_DEP_1) | instskip(SKIP_1) | instid1(VALU_DEP_2)
	v_sub_nc_u32_e32 v48, 0x70, v36
	v_cmp_gt_u32_e32 vcc_lo, 0x71, v36
	v_dual_cndmask_b32 v48, 0, v48 :: v_dual_and_b32 v39, 0x7fffff, v37
	s_delay_alu instid0(VALU_DEP_1) | instskip(SKIP_2) | instid1(VALU_DEP_4)
	v_or_b32_e32 v49, 0x800000, v39
	v_cmp_eq_u32_e32 vcc_lo, 0, v36
	v_add_nc_u32_e32 v36, 0xffffff91, v36
	v_cndmask_b32_e64 v48, v48, 0x6f, vcc_lo
	s_delay_alu instid0(VALU_DEP_4) | instskip(NEXT) | instid1(VALU_DEP_3)
	v_cndmask_b32_e32 v39, v49, v39, vcc_lo
	v_cndmask_b32_e64 v36, v36, 0xffffff92, vcc_lo
	s_delay_alu instid0(VALU_DEP_3) | instskip(NEXT) | instid1(VALU_DEP_3)
	v_lshl_add_u32 v49, 0x200000, v48, -1
	v_lshrrev_b32_e32 v50, v48, v39
	v_lshlrev_b32_e64 v53, v48, 0x100000
	s_delay_alu instid0(VALU_DEP_4) | instskip(NEXT) | instid1(VALU_DEP_4)
	v_add_nc_u32_e32 v48, v48, v36
	v_and_b32_e32 v39, v49, v39
	s_delay_alu instid0(VALU_DEP_4) | instskip(NEXT) | instid1(VALU_DEP_2)
	v_bfe_u32 v51, v50, 21, 1
	v_cmp_eq_u32_e64 s13, v39, v53
	s_delay_alu instid0(VALU_DEP_2) | instskip(NEXT) | instid1(VALU_DEP_1)
	v_add_nc_u32_e32 v49, -1, v51
	v_cndmask_b32_e64 v39, 0, v49, s13
	v_lshrrev_b32_e32 v49, 23, v50
	s_mov_b32 s13, exec_lo
	s_delay_alu instid0(VALU_DEP_2) | instskip(NEXT) | instid1(VALU_DEP_2)
	v_add_nc_u32_e32 v39, v39, v50
	v_xor_b32_e32 v49, 1, v49
	s_delay_alu instid0(VALU_DEP_2) | instskip(NEXT) | instid1(VALU_DEP_1)
	v_and_b32_e32 v36, 0x1fffff, v39
	v_add_nc_u32_e32 v39, v36, v50
                                        ; implicit-def: $vgpr36
	s_delay_alu instid0(VALU_DEP_3)
	v_cmpx_ne_u32_e64 v48, v49
	s_xor_b32 s13, exec_lo, s13
; %bb.5013:                             ;   in Loop: Header=BB6_3265 Depth=4
	s_delay_alu instid0(VALU_DEP_2) | instskip(SKIP_2) | instid1(VALU_DEP_2)
	v_cmp_lt_u32_e32 vcc_lo, 0xffffff, v39
	v_sub_nc_u32_e32 v36, v48, v49
	v_cndmask_b32_e64 v48, 0, 1, vcc_lo
	v_add_co_ci_u32_e32 v36, vcc_lo, 0, v36, vcc_lo
	s_delay_alu instid0(VALU_DEP_2)
	v_lshrrev_b32_e32 v39, v48, v39
; %bb.5014:                             ;   in Loop: Header=BB6_3265 Depth=4
	s_and_not1_saveexec_b32 s13, s13
; %bb.5015:                             ;   in Loop: Header=BB6_3265 Depth=4
	s_delay_alu instid0(VALU_DEP_1)
	v_bfe_u32 v36, v39, 23, 1
; %bb.5016:                             ;   in Loop: Header=BB6_3265 Depth=4
	s_or_b32 exec_lo, exec_lo, s13
	v_lshrrev_b32_e32 v39, 21, v39
	s_delay_alu instid0(VALU_DEP_2) | instskip(SKIP_2) | instid1(VALU_DEP_2)
	v_cmp_gt_i32_e32 vcc_lo, 32, v36
	v_min_i32_e32 v48, 31, v36
	v_lshrrev_b32_e32 v37, 24, v37
	v_dual_cndmask_b32 v39, 3, v39 :: v_dual_lshlrev_b32 v48, 2, v48
	s_delay_alu instid0(VALU_DEP_2) | instskip(NEXT) | instid1(VALU_DEP_2)
	v_and_b32_e32 v37, 0x80, v37
	v_or_b32_e32 v36, v36, v39
	s_delay_alu instid0(VALU_DEP_1) | instskip(SKIP_1) | instid1(VALU_DEP_1)
	v_cmp_ne_u32_e32 vcc_lo, 0, v36
	v_and_b32_e32 v49, 3, v39
	v_or3_b32 v37, v48, v37, v49
	s_delay_alu instid0(VALU_DEP_1)
	v_cndmask_b32_e32 v36, 0, v37, vcc_lo
.LBB6_5017:                             ;   in Loop: Header=BB6_3265 Depth=4
	s_or_b32 exec_lo, exec_lo, s35
.LBB6_5018:                             ;   in Loop: Header=BB6_3265 Depth=4
	s_delay_alu instid0(SALU_CYCLE_1) | instskip(SKIP_3) | instid1(VALU_DEP_1)
	s_or_b32 exec_lo, exec_lo, s34
	v_lshrrev_b16 v39, 8, v38
	s_mov_b32 s13, 0
	s_mov_b32 s35, exec_lo
                                        ; implicit-def: $sgpr34
	v_cmpx_lt_i16_e32 0x7f, v39
	s_xor_b32 s35, exec_lo, s35
	s_cbranch_execnz .LBB6_5808
; %bb.5019:                             ;   in Loop: Header=BB6_3265 Depth=4
	s_or_saveexec_b32 s35, s35
	v_mov_b32_e32 v37, s34
	s_xor_b32 exec_lo, exec_lo, s35
	s_cbranch_execnz .LBB6_5811
.LBB6_5020:                             ;   in Loop: Header=BB6_3265 Depth=4
	s_or_b32 exec_lo, exec_lo, s35
	s_and_saveexec_b32 s34, s13
	s_cbranch_execz .LBB6_5022
.LBB6_5021:                             ;   in Loop: Header=BB6_3265 Depth=4
	v_and_b32_e32 v37, 0xffff, v39
	v_lshlrev_b32_e32 v39, 24, v39
	s_delay_alu instid0(VALU_DEP_2) | instskip(NEXT) | instid1(VALU_DEP_2)
	v_and_b32_e32 v48, 3, v37
	v_and_b32_e32 v39, 0x80000000, v39
	s_delay_alu instid0(VALU_DEP_2) | instskip(NEXT) | instid1(VALU_DEP_1)
	v_clz_i32_u32_e32 v49, v48
	v_min_u32_e32 v49, 32, v49
	s_delay_alu instid0(VALU_DEP_1) | instskip(SKIP_1) | instid1(VALU_DEP_2)
	v_subrev_nc_u32_e32 v50, 29, v49
	v_sub_nc_u32_e32 v49, 30, v49
	v_lshlrev_b32_e32 v50, v50, v37
	v_bfe_u32 v37, v37, 2, 5
	s_delay_alu instid0(VALU_DEP_1) | instskip(NEXT) | instid1(VALU_DEP_3)
	v_cmp_eq_u32_e32 vcc_lo, 0, v37
	v_dual_cndmask_b32 v37, v37, v49 :: v_dual_and_b32 v50, 3, v50
	s_delay_alu instid0(VALU_DEP_1) | instskip(NEXT) | instid1(VALU_DEP_2)
	v_cndmask_b32_e32 v48, v48, v50, vcc_lo
	v_lshl_add_u32 v37, v37, 23, 0x37800000
	s_delay_alu instid0(VALU_DEP_2) | instskip(NEXT) | instid1(VALU_DEP_1)
	v_lshlrev_b32_e32 v48, 21, v48
	v_or3_b32 v37, v39, v37, v48
.LBB6_5022:                             ;   in Loop: Header=BB6_3265 Depth=4
	s_or_b32 exec_lo, exec_lo, s34
	v_lshrrev_b16 v39, 8, v11
	s_mov_b32 s13, 0
	s_mov_b32 s35, exec_lo
                                        ; implicit-def: $sgpr34
	s_delay_alu instid0(VALU_DEP_1)
	v_cmpx_lt_i16_e32 0x7f, v39
	s_xor_b32 s35, exec_lo, s35
	s_cbranch_execnz .LBB6_5812
; %bb.5023:                             ;   in Loop: Header=BB6_3265 Depth=4
	s_or_saveexec_b32 s35, s35
	v_mov_b32_e32 v48, s34
	s_xor_b32 exec_lo, exec_lo, s35
	s_cbranch_execnz .LBB6_5815
.LBB6_5024:                             ;   in Loop: Header=BB6_3265 Depth=4
	s_or_b32 exec_lo, exec_lo, s35
	s_and_saveexec_b32 s34, s13
	s_cbranch_execz .LBB6_5026
.LBB6_5025:                             ;   in Loop: Header=BB6_3265 Depth=4
	v_and_b32_e32 v48, 0xffff, v39
	v_lshlrev_b32_e32 v39, 24, v39
	s_delay_alu instid0(VALU_DEP_2) | instskip(NEXT) | instid1(VALU_DEP_2)
	v_and_b32_e32 v49, 3, v48
	v_and_b32_e32 v39, 0x80000000, v39
	s_delay_alu instid0(VALU_DEP_2) | instskip(NEXT) | instid1(VALU_DEP_1)
	v_clz_i32_u32_e32 v50, v49
	v_min_u32_e32 v50, 32, v50
	s_delay_alu instid0(VALU_DEP_1) | instskip(SKIP_1) | instid1(VALU_DEP_2)
	v_subrev_nc_u32_e32 v51, 29, v50
	v_sub_nc_u32_e32 v50, 30, v50
	v_lshlrev_b32_e32 v51, v51, v48
	v_bfe_u32 v48, v48, 2, 5
	s_delay_alu instid0(VALU_DEP_2) | instskip(NEXT) | instid1(VALU_DEP_2)
	v_and_b32_e32 v51, 3, v51
	v_cmp_eq_u32_e32 vcc_lo, 0, v48
	s_delay_alu instid0(VALU_DEP_2) | instskip(NEXT) | instid1(VALU_DEP_1)
	v_dual_cndmask_b32 v48, v48, v50 :: v_dual_cndmask_b32 v49, v49, v51
	v_lshl_add_u32 v48, v48, 23, 0x37800000
	s_delay_alu instid0(VALU_DEP_2) | instskip(NEXT) | instid1(VALU_DEP_1)
	v_lshlrev_b32_e32 v49, 21, v49
	v_or3_b32 v48, v39, v48, v49
.LBB6_5026:                             ;   in Loop: Header=BB6_3265 Depth=4
	s_or_b32 exec_lo, exec_lo, s34
	s_delay_alu instid0(VALU_DEP_1) | instskip(NEXT) | instid1(VALU_DEP_1)
	v_add_f32_e32 v39, v37, v48
	v_and_b32_e32 v37, 0x7f800000, v39
	s_delay_alu instid0(VALU_DEP_1)
	v_cmp_ne_u32_e32 vcc_lo, 0x7f800000, v37
	v_mov_b32_e32 v37, 0x8000
	s_and_saveexec_b32 s34, vcc_lo
	s_cbranch_execz .LBB6_5034
; %bb.5027:                             ;   in Loop: Header=BB6_3265 Depth=4
	v_mov_b32_e32 v37, 0
	s_mov_b32 s35, exec_lo
	v_cmpx_ne_u32_e32 0, v39
	s_cbranch_execz .LBB6_5033
; %bb.5028:                             ;   in Loop: Header=BB6_3265 Depth=4
	v_bfe_u32 v37, v39, 23, 8
	s_delay_alu instid0(VALU_DEP_1) | instskip(SKIP_1) | instid1(VALU_DEP_2)
	v_sub_nc_u32_e32 v49, 0x70, v37
	v_cmp_gt_u32_e32 vcc_lo, 0x71, v37
	v_dual_cndmask_b32 v49, 0, v49 :: v_dual_and_b32 v48, 0x7fffff, v39
	s_delay_alu instid0(VALU_DEP_1) | instskip(SKIP_2) | instid1(VALU_DEP_4)
	v_or_b32_e32 v50, 0x800000, v48
	v_cmp_eq_u32_e32 vcc_lo, 0, v37
	v_add_nc_u32_e32 v37, 0xffffff91, v37
	v_cndmask_b32_e64 v49, v49, 0x6f, vcc_lo
	s_delay_alu instid0(VALU_DEP_4) | instskip(NEXT) | instid1(VALU_DEP_3)
	v_cndmask_b32_e32 v48, v50, v48, vcc_lo
	v_cndmask_b32_e64 v37, v37, 0xffffff92, vcc_lo
	s_delay_alu instid0(VALU_DEP_3) | instskip(NEXT) | instid1(VALU_DEP_3)
	v_lshl_add_u32 v51, 0x200000, v49, -1
	v_lshrrev_b32_e32 v50, v49, v48
	v_lshlrev_b32_e64 v54, v49, 0x100000
	s_delay_alu instid0(VALU_DEP_4) | instskip(NEXT) | instid1(VALU_DEP_4)
	v_add_nc_u32_e32 v49, v49, v37
	v_and_b32_e32 v48, v51, v48
	s_delay_alu instid0(VALU_DEP_4) | instskip(NEXT) | instid1(VALU_DEP_2)
	v_bfe_u32 v53, v50, 21, 1
	v_cmp_eq_u32_e64 s13, v48, v54
	s_delay_alu instid0(VALU_DEP_2) | instskip(NEXT) | instid1(VALU_DEP_1)
	v_add_nc_u32_e32 v51, -1, v53
	v_cndmask_b32_e64 v48, 0, v51, s13
	v_lshrrev_b32_e32 v51, 23, v50
	s_mov_b32 s13, exec_lo
	s_delay_alu instid0(VALU_DEP_2) | instskip(NEXT) | instid1(VALU_DEP_2)
	v_add_nc_u32_e32 v48, v48, v50
	v_xor_b32_e32 v53, 1, v51
	s_delay_alu instid0(VALU_DEP_2) | instskip(NEXT) | instid1(VALU_DEP_1)
	v_and_b32_e32 v37, 0x1fffff, v48
	v_add_nc_u32_e32 v48, v37, v50
                                        ; implicit-def: $vgpr37
	s_delay_alu instid0(VALU_DEP_3)
	v_cmpx_ne_u32_e64 v49, v53
	s_xor_b32 s13, exec_lo, s13
; %bb.5029:                             ;   in Loop: Header=BB6_3265 Depth=4
	s_delay_alu instid0(VALU_DEP_2) | instskip(SKIP_2) | instid1(VALU_DEP_2)
	v_cmp_lt_u32_e32 vcc_lo, 0xffffff, v48
	v_sub_nc_u32_e32 v37, v49, v53
	v_cndmask_b32_e64 v49, 0, 1, vcc_lo
	v_add_co_ci_u32_e32 v37, vcc_lo, 0, v37, vcc_lo
	s_delay_alu instid0(VALU_DEP_2)
	v_lshrrev_b32_e32 v48, v49, v48
; %bb.5030:                             ;   in Loop: Header=BB6_3265 Depth=4
	s_and_not1_saveexec_b32 s13, s13
; %bb.5031:                             ;   in Loop: Header=BB6_3265 Depth=4
	s_delay_alu instid0(VALU_DEP_1)
	v_bfe_u32 v37, v48, 23, 1
; %bb.5032:                             ;   in Loop: Header=BB6_3265 Depth=4
	s_or_b32 exec_lo, exec_lo, s13
	v_lshrrev_b32_e32 v48, 21, v48
	s_delay_alu instid0(VALU_DEP_2) | instskip(SKIP_2) | instid1(VALU_DEP_2)
	v_cmp_gt_i32_e32 vcc_lo, 32, v37
	v_min_i32_e32 v49, 31, v37
	v_lshrrev_b32_e32 v39, 24, v39
	v_dual_cndmask_b32 v48, 3, v48 :: v_dual_lshlrev_b32 v49, 2, v49
	s_delay_alu instid0(VALU_DEP_2) | instskip(NEXT) | instid1(VALU_DEP_2)
	v_and_b32_e32 v39, 0x80, v39
	v_or_b32_e32 v37, v37, v48
	s_delay_alu instid0(VALU_DEP_3) | instskip(NEXT) | instid1(VALU_DEP_2)
	v_and_b32_e32 v49, 0xfc, v49
	v_cmp_ne_u32_e32 vcc_lo, 0, v37
	v_and_b32_e32 v50, 3, v48
	s_delay_alu instid0(VALU_DEP_1) | instskip(NEXT) | instid1(VALU_DEP_1)
	v_or3_b32 v39, v39, v49, v50
	v_lshlrev_b32_e32 v39, 8, v39
	s_delay_alu instid0(VALU_DEP_1)
	v_cndmask_b32_e32 v37, 0, v39, vcc_lo
.LBB6_5033:                             ;   in Loop: Header=BB6_3265 Depth=4
	s_or_b32 exec_lo, exec_lo, s35
.LBB6_5034:                             ;   in Loop: Header=BB6_3265 Depth=4
	s_delay_alu instid0(SALU_CYCLE_1) | instskip(SKIP_3) | instid1(VALU_DEP_1)
	s_or_b32 exec_lo, exec_lo, s34
	v_or_b32_e32 v39, v55, v160
	s_mov_b32 s13, 0
	s_mov_b32 s35, exec_lo
                                        ; implicit-def: $sgpr34
	v_and_b32_e32 v49, 0xff, v39
	s_delay_alu instid0(VALU_DEP_1)
	v_cmpx_lt_i16_e32 0x7f, v49
	s_xor_b32 s35, exec_lo, s35
	s_cbranch_execnz .LBB6_5816
; %bb.5035:                             ;   in Loop: Header=BB6_3265 Depth=4
	s_or_saveexec_b32 s35, s35
	v_mov_b32_e32 v48, s34
	s_xor_b32 exec_lo, exec_lo, s35
	s_cbranch_execnz .LBB6_5819
.LBB6_5036:                             ;   in Loop: Header=BB6_3265 Depth=4
	s_or_b32 exec_lo, exec_lo, s35
	v_lshl_or_b32 v39, v39, 16, v38
	s_and_saveexec_b32 s34, s13
	s_cbranch_execz .LBB6_5038
.LBB6_5037:                             ;   in Loop: Header=BB6_3265 Depth=4
	s_delay_alu instid0(VALU_DEP_1) | instskip(SKIP_1) | instid1(VALU_DEP_2)
	v_bfe_u32 v38, v39, 16, 2
	v_lshrrev_b32_e32 v49, 16, v39
	v_clz_i32_u32_e32 v48, v38
	s_delay_alu instid0(VALU_DEP_1) | instskip(NEXT) | instid1(VALU_DEP_1)
	v_min_u32_e32 v48, 32, v48
	v_subrev_nc_u32_e32 v50, 29, v48
	v_sub_nc_u32_e32 v48, 30, v48
	s_delay_alu instid0(VALU_DEP_2) | instskip(SKIP_1) | instid1(VALU_DEP_1)
	v_lshlrev_b32_e32 v49, v50, v49
	v_bfe_u32 v50, v39, 18, 5
	v_cmp_eq_u32_e32 vcc_lo, 0, v50
	s_delay_alu instid0(VALU_DEP_3) | instskip(NEXT) | instid1(VALU_DEP_1)
	v_dual_cndmask_b32 v48, v50, v48 :: v_dual_and_b32 v49, 3, v49
	v_dual_cndmask_b32 v38, v38, v49 :: v_dual_lshlrev_b32 v51, 8, v39
	s_delay_alu instid0(VALU_DEP_2) | instskip(NEXT) | instid1(VALU_DEP_2)
	v_lshl_add_u32 v48, v48, 23, 0x37800000
	v_and_b32_e32 v49, 0x80000000, v51
	s_delay_alu instid0(VALU_DEP_3) | instskip(NEXT) | instid1(VALU_DEP_1)
	v_lshlrev_b32_e32 v38, 21, v38
	v_or3_b32 v48, v49, v48, v38
.LBB6_5038:                             ;   in Loop: Header=BB6_3265 Depth=4
	s_or_b32 exec_lo, exec_lo, s34
	v_lshrrev_b32_e32 v38, 16, v11
	s_mov_b32 s13, 0
	s_mov_b32 s35, exec_lo
                                        ; implicit-def: $sgpr34
	s_delay_alu instid0(VALU_DEP_1) | instskip(NEXT) | instid1(VALU_DEP_1)
	v_and_b32_e32 v53, 0xff, v38
	v_cmpx_lt_i16_e32 0x7f, v53
	s_xor_b32 s35, exec_lo, s35
	s_cbranch_execnz .LBB6_5820
; %bb.5039:                             ;   in Loop: Header=BB6_3265 Depth=4
	s_or_saveexec_b32 s35, s35
	v_mov_b32_e32 v49, s34
	s_xor_b32 exec_lo, exec_lo, s35
	s_cbranch_execnz .LBB6_5823
.LBB6_5040:                             ;   in Loop: Header=BB6_3265 Depth=4
	s_or_b32 exec_lo, exec_lo, s35
	s_and_saveexec_b32 s34, s13
	s_cbranch_execz .LBB6_5042
.LBB6_5041:                             ;   in Loop: Header=BB6_3265 Depth=4
	v_bfe_u32 v49, v11, 16, 2
	s_delay_alu instid0(VALU_DEP_1) | instskip(NEXT) | instid1(VALU_DEP_1)
	v_clz_i32_u32_e32 v50, v49
	v_min_u32_e32 v50, 32, v50
	s_delay_alu instid0(VALU_DEP_1) | instskip(SKIP_1) | instid1(VALU_DEP_2)
	v_subrev_nc_u32_e32 v51, 29, v50
	v_sub_nc_u32_e32 v50, 30, v50
	v_lshlrev_b32_e32 v38, v51, v38
	v_bfe_u32 v51, v11, 18, 5
	s_delay_alu instid0(VALU_DEP_2) | instskip(NEXT) | instid1(VALU_DEP_2)
	v_and_b32_e32 v38, 3, v38
	v_cmp_eq_u32_e32 vcc_lo, 0, v51
	v_dual_cndmask_b32 v50, v51, v50 :: v_dual_lshlrev_b32 v53, 8, v11
	s_delay_alu instid0(VALU_DEP_1) | instskip(NEXT) | instid1(VALU_DEP_2)
	v_dual_cndmask_b32 v38, v49, v38 :: v_dual_and_b32 v49, 0x80000000, v53
	v_lshl_add_u32 v50, v50, 23, 0x37800000
	s_delay_alu instid0(VALU_DEP_2) | instskip(NEXT) | instid1(VALU_DEP_1)
	v_lshlrev_b32_e32 v38, 21, v38
	v_or3_b32 v49, v49, v50, v38
.LBB6_5042:                             ;   in Loop: Header=BB6_3265 Depth=4
	s_or_b32 exec_lo, exec_lo, s34
	s_delay_alu instid0(VALU_DEP_1) | instskip(NEXT) | instid1(VALU_DEP_1)
	v_add_f32_e32 v48, v48, v49
	v_and_b32_e32 v38, 0x7f800000, v48
	s_delay_alu instid0(VALU_DEP_1)
	v_cmp_ne_u32_e32 vcc_lo, 0x7f800000, v38
	v_mov_b32_e32 v38, 0x80
	s_and_saveexec_b32 s34, vcc_lo
	s_cbranch_execz .LBB6_5050
; %bb.5043:                             ;   in Loop: Header=BB6_3265 Depth=4
	v_mov_b32_e32 v38, 0
	s_mov_b32 s35, exec_lo
	v_cmpx_ne_u32_e32 0, v48
	s_cbranch_execz .LBB6_5049
; %bb.5044:                             ;   in Loop: Header=BB6_3265 Depth=4
	v_bfe_u32 v38, v48, 23, 8
	s_delay_alu instid0(VALU_DEP_1) | instskip(SKIP_1) | instid1(VALU_DEP_2)
	v_sub_nc_u32_e32 v50, 0x70, v38
	v_cmp_gt_u32_e32 vcc_lo, 0x71, v38
	v_dual_cndmask_b32 v50, 0, v50 :: v_dual_and_b32 v49, 0x7fffff, v48
	s_delay_alu instid0(VALU_DEP_1) | instskip(SKIP_2) | instid1(VALU_DEP_4)
	v_or_b32_e32 v51, 0x800000, v49
	v_cmp_eq_u32_e32 vcc_lo, 0, v38
	v_add_nc_u32_e32 v38, 0xffffff91, v38
	v_cndmask_b32_e64 v50, v50, 0x6f, vcc_lo
	s_delay_alu instid0(VALU_DEP_4) | instskip(NEXT) | instid1(VALU_DEP_3)
	v_cndmask_b32_e32 v49, v51, v49, vcc_lo
	v_cndmask_b32_e64 v38, v38, 0xffffff92, vcc_lo
	s_delay_alu instid0(VALU_DEP_3) | instskip(NEXT) | instid1(VALU_DEP_3)
	v_lshl_add_u32 v53, 0x200000, v50, -1
	v_lshrrev_b32_e32 v51, v50, v49
	v_lshlrev_b32_e64 v55, v50, 0x100000
	s_delay_alu instid0(VALU_DEP_3) | instskip(NEXT) | instid1(VALU_DEP_3)
	v_and_b32_e32 v49, v53, v49
	v_bfe_u32 v54, v51, 21, 1
	s_delay_alu instid0(VALU_DEP_2) | instskip(NEXT) | instid1(VALU_DEP_2)
	v_cmp_eq_u32_e64 s13, v49, v55
	v_add_nc_u32_e32 v53, -1, v54
	v_lshrrev_b32_e32 v54, 23, v51
	s_delay_alu instid0(VALU_DEP_2) | instskip(SKIP_1) | instid1(VALU_DEP_3)
	v_cndmask_b32_e64 v49, 0, v53, s13
	v_add_nc_u32_e32 v53, v50, v38
	v_xor_b32_e32 v54, 1, v54
	s_mov_b32 s13, exec_lo
	s_delay_alu instid0(VALU_DEP_3) | instskip(NEXT) | instid1(VALU_DEP_1)
	v_add_nc_u32_e32 v49, v49, v51
	v_and_b32_e32 v38, 0x1fffff, v49
	s_delay_alu instid0(VALU_DEP_1)
	v_add_nc_u32_e32 v49, v38, v51
                                        ; implicit-def: $vgpr38
	v_cmpx_ne_u32_e64 v53, v54
	s_xor_b32 s13, exec_lo, s13
; %bb.5045:                             ;   in Loop: Header=BB6_3265 Depth=4
	s_delay_alu instid0(VALU_DEP_2) | instskip(SKIP_2) | instid1(VALU_DEP_2)
	v_cmp_lt_u32_e32 vcc_lo, 0xffffff, v49
	v_sub_nc_u32_e32 v38, v53, v54
	v_cndmask_b32_e64 v50, 0, 1, vcc_lo
	v_add_co_ci_u32_e32 v38, vcc_lo, 0, v38, vcc_lo
	s_delay_alu instid0(VALU_DEP_2)
	v_lshrrev_b32_e32 v49, v50, v49
; %bb.5046:                             ;   in Loop: Header=BB6_3265 Depth=4
	s_and_not1_saveexec_b32 s13, s13
; %bb.5047:                             ;   in Loop: Header=BB6_3265 Depth=4
	s_delay_alu instid0(VALU_DEP_1)
	v_bfe_u32 v38, v49, 23, 1
; %bb.5048:                             ;   in Loop: Header=BB6_3265 Depth=4
	s_or_b32 exec_lo, exec_lo, s13
	v_lshrrev_b32_e32 v49, 21, v49
	s_delay_alu instid0(VALU_DEP_2) | instskip(SKIP_2) | instid1(VALU_DEP_2)
	v_cmp_gt_i32_e32 vcc_lo, 32, v38
	v_min_i32_e32 v50, 31, v38
	v_lshrrev_b32_e32 v48, 24, v48
	v_dual_cndmask_b32 v49, 3, v49 :: v_dual_lshlrev_b32 v50, 2, v50
	s_delay_alu instid0(VALU_DEP_2) | instskip(NEXT) | instid1(VALU_DEP_2)
	v_and_b32_e32 v48, 0x80, v48
	v_or_b32_e32 v38, v38, v49
	s_delay_alu instid0(VALU_DEP_3) | instskip(NEXT) | instid1(VALU_DEP_2)
	v_and_b32_e32 v50, 0xfc, v50
	v_cmp_ne_u32_e32 vcc_lo, 0, v38
	v_and_b32_e32 v51, 3, v49
	s_delay_alu instid0(VALU_DEP_1) | instskip(NEXT) | instid1(VALU_DEP_1)
	v_or3_b32 v48, v50, v48, v51
	v_cndmask_b32_e32 v38, 0, v48, vcc_lo
.LBB6_5049:                             ;   in Loop: Header=BB6_3265 Depth=4
	s_or_b32 exec_lo, exec_lo, s35
.LBB6_5050:                             ;   in Loop: Header=BB6_3265 Depth=4
	s_delay_alu instid0(SALU_CYCLE_1) | instskip(SKIP_3) | instid1(VALU_DEP_1)
	s_or_b32 exec_lo, exec_lo, s34
	v_lshrrev_b32_e32 v49, 24, v39
	s_mov_b32 s13, 0
	s_mov_b32 s35, exec_lo
                                        ; implicit-def: $sgpr34
	v_cmpx_lt_i16_e32 0x7f, v49
	s_xor_b32 s35, exec_lo, s35
	s_cbranch_execnz .LBB6_5824
; %bb.5051:                             ;   in Loop: Header=BB6_3265 Depth=4
	s_or_saveexec_b32 s35, s35
	v_mov_b32_e32 v48, s34
	s_xor_b32 exec_lo, exec_lo, s35
	s_cbranch_execnz .LBB6_5827
.LBB6_5052:                             ;   in Loop: Header=BB6_3265 Depth=4
	s_or_b32 exec_lo, exec_lo, s35
	s_and_saveexec_b32 s34, s13
	s_cbranch_execz .LBB6_5054
.LBB6_5053:                             ;   in Loop: Header=BB6_3265 Depth=4
	v_bfe_u32 v48, v39, 24, 2
	s_delay_alu instid0(VALU_DEP_1) | instskip(NEXT) | instid1(VALU_DEP_1)
	v_clz_i32_u32_e32 v50, v48
	v_min_u32_e32 v50, 32, v50
	s_delay_alu instid0(VALU_DEP_1) | instskip(SKIP_1) | instid1(VALU_DEP_2)
	v_subrev_nc_u32_e32 v51, 29, v50
	v_sub_nc_u32_e32 v50, 30, v50
	v_lshlrev_b32_e32 v49, v51, v49
	v_bfe_u32 v51, v39, 26, 5
	v_and_b32_e32 v39, 0x80000000, v39
	s_delay_alu instid0(VALU_DEP_2) | instskip(NEXT) | instid1(VALU_DEP_4)
	v_cmp_eq_u32_e32 vcc_lo, 0, v51
	v_dual_cndmask_b32 v50, v51, v50 :: v_dual_and_b32 v49, 3, v49
	s_delay_alu instid0(VALU_DEP_1) | instskip(NEXT) | instid1(VALU_DEP_2)
	v_cndmask_b32_e32 v48, v48, v49, vcc_lo
	v_lshl_add_u32 v49, v50, 23, 0x37800000
	s_delay_alu instid0(VALU_DEP_2) | instskip(NEXT) | instid1(VALU_DEP_1)
	v_lshlrev_b32_e32 v48, 21, v48
	v_or3_b32 v48, v39, v49, v48
.LBB6_5054:                             ;   in Loop: Header=BB6_3265 Depth=4
	s_or_b32 exec_lo, exec_lo, s34
	v_lshrrev_b32_e32 v39, 24, v11
	s_mov_b32 s13, 0
	s_mov_b32 s35, exec_lo
                                        ; implicit-def: $sgpr34
	s_delay_alu instid0(VALU_DEP_1)
	v_cmpx_lt_i16_e32 0x7f, v39
	s_xor_b32 s35, exec_lo, s35
	s_cbranch_execnz .LBB6_5828
; %bb.5055:                             ;   in Loop: Header=BB6_3265 Depth=4
	s_or_saveexec_b32 s35, s35
	v_mov_b32_e32 v49, s34
	s_xor_b32 exec_lo, exec_lo, s35
	s_cbranch_execnz .LBB6_5831
.LBB6_5056:                             ;   in Loop: Header=BB6_3265 Depth=4
	s_or_b32 exec_lo, exec_lo, s35
	s_and_saveexec_b32 s34, s13
	s_cbranch_execz .LBB6_5058
.LBB6_5057:                             ;   in Loop: Header=BB6_3265 Depth=4
	v_bfe_u32 v49, v11, 24, 2
	s_delay_alu instid0(VALU_DEP_1) | instskip(NEXT) | instid1(VALU_DEP_1)
	v_clz_i32_u32_e32 v50, v49
	v_min_u32_e32 v50, 32, v50
	s_delay_alu instid0(VALU_DEP_1) | instskip(SKIP_1) | instid1(VALU_DEP_2)
	v_subrev_nc_u32_e32 v51, 29, v50
	v_sub_nc_u32_e32 v50, 30, v50
	v_lshlrev_b32_e32 v39, v51, v39
	v_bfe_u32 v51, v11, 26, 5
	v_and_b32_e32 v11, 0x80000000, v11
	s_delay_alu instid0(VALU_DEP_2) | instskip(NEXT) | instid1(VALU_DEP_4)
	v_cmp_eq_u32_e32 vcc_lo, 0, v51
	v_dual_cndmask_b32 v50, v51, v50 :: v_dual_and_b32 v39, 3, v39
	s_delay_alu instid0(VALU_DEP_1) | instskip(NEXT) | instid1(VALU_DEP_2)
	v_cndmask_b32_e32 v39, v49, v39, vcc_lo
	v_lshl_add_u32 v49, v50, 23, 0x37800000
	s_delay_alu instid0(VALU_DEP_2) | instskip(NEXT) | instid1(VALU_DEP_1)
	v_lshlrev_b32_e32 v39, 21, v39
	v_or3_b32 v49, v11, v49, v39
.LBB6_5058:                             ;   in Loop: Header=BB6_3265 Depth=4
	s_or_b32 exec_lo, exec_lo, s34
	s_delay_alu instid0(VALU_DEP_1) | instskip(NEXT) | instid1(VALU_DEP_1)
	v_add_f32_e32 v39, v48, v49
	v_and_b32_e32 v11, 0x7f800000, v39
	s_delay_alu instid0(VALU_DEP_1)
	v_cmp_ne_u32_e32 vcc_lo, 0x7f800000, v11
	v_mov_b32_e32 v11, 0x8000
	s_and_saveexec_b32 s34, vcc_lo
	s_cbranch_execz .LBB6_3264
; %bb.5059:                             ;   in Loop: Header=BB6_3265 Depth=4
	v_mov_b32_e32 v11, 0
	s_mov_b32 s35, exec_lo
	v_cmpx_ne_u32_e32 0, v39
	s_cbranch_execz .LBB6_3263
; %bb.5060:                             ;   in Loop: Header=BB6_3265 Depth=4
	v_bfe_u32 v11, v39, 23, 8
	s_delay_alu instid0(VALU_DEP_1) | instskip(SKIP_1) | instid1(VALU_DEP_2)
	v_sub_nc_u32_e32 v49, 0x70, v11
	v_cmp_gt_u32_e32 vcc_lo, 0x71, v11
	v_dual_cndmask_b32 v49, 0, v49 :: v_dual_and_b32 v48, 0x7fffff, v39
	s_delay_alu instid0(VALU_DEP_1) | instskip(SKIP_2) | instid1(VALU_DEP_4)
	v_or_b32_e32 v50, 0x800000, v48
	v_cmp_eq_u32_e32 vcc_lo, 0, v11
	v_add_nc_u32_e32 v11, 0xffffff91, v11
	v_cndmask_b32_e64 v49, v49, 0x6f, vcc_lo
	s_delay_alu instid0(VALU_DEP_4) | instskip(NEXT) | instid1(VALU_DEP_3)
	v_cndmask_b32_e32 v48, v50, v48, vcc_lo
	v_cndmask_b32_e64 v11, v11, 0xffffff92, vcc_lo
	s_delay_alu instid0(VALU_DEP_3) | instskip(NEXT) | instid1(VALU_DEP_3)
	v_lshl_add_u32 v51, 0x200000, v49, -1
	v_lshrrev_b32_e32 v50, v49, v48
	v_lshlrev_b32_e64 v54, v49, 0x100000
	s_delay_alu instid0(VALU_DEP_4) | instskip(NEXT) | instid1(VALU_DEP_4)
	v_add_nc_u32_e32 v49, v49, v11
	v_and_b32_e32 v48, v51, v48
	s_delay_alu instid0(VALU_DEP_4) | instskip(NEXT) | instid1(VALU_DEP_2)
	v_bfe_u32 v53, v50, 21, 1
	v_cmp_eq_u32_e64 s13, v48, v54
	s_delay_alu instid0(VALU_DEP_2) | instskip(NEXT) | instid1(VALU_DEP_1)
	v_add_nc_u32_e32 v51, -1, v53
	v_cndmask_b32_e64 v48, 0, v51, s13
	v_lshrrev_b32_e32 v51, 23, v50
	s_mov_b32 s13, exec_lo
	s_delay_alu instid0(VALU_DEP_2) | instskip(NEXT) | instid1(VALU_DEP_2)
	v_add_nc_u32_e32 v48, v48, v50
	v_xor_b32_e32 v53, 1, v51
	s_delay_alu instid0(VALU_DEP_2) | instskip(NEXT) | instid1(VALU_DEP_1)
	v_and_b32_e32 v11, 0x1fffff, v48
	v_add_nc_u32_e32 v48, v11, v50
                                        ; implicit-def: $vgpr11
	s_delay_alu instid0(VALU_DEP_3)
	v_cmpx_ne_u32_e64 v49, v53
	s_xor_b32 s13, exec_lo, s13
; %bb.5061:                             ;   in Loop: Header=BB6_3265 Depth=4
	s_delay_alu instid0(VALU_DEP_2) | instskip(SKIP_2) | instid1(VALU_DEP_2)
	v_cmp_lt_u32_e32 vcc_lo, 0xffffff, v48
	v_sub_nc_u32_e32 v11, v49, v53
	v_cndmask_b32_e64 v49, 0, 1, vcc_lo
	v_add_co_ci_u32_e32 v11, vcc_lo, 0, v11, vcc_lo
	s_delay_alu instid0(VALU_DEP_2)
	v_lshrrev_b32_e32 v48, v49, v48
; %bb.5062:                             ;   in Loop: Header=BB6_3265 Depth=4
	s_and_not1_saveexec_b32 s13, s13
	s_cbranch_execz .LBB6_3262
; %bb.5063:                             ;   in Loop: Header=BB6_3265 Depth=4
	s_delay_alu instid0(VALU_DEP_1)
	v_bfe_u32 v11, v48, 23, 1
	s_branch .LBB6_3262
.LBB6_5064:                             ;   in Loop: Header=BB6_3265 Depth=4
	s_mov_b32 s13, -1
	s_mov_b32 s37, exec_lo
                                        ; implicit-def: $sgpr35
	v_cmpx_eq_u16_e32 0x80, v13
; %bb.5065:                             ;   in Loop: Header=BB6_3265 Depth=4
	s_mov_b32 s35, 0x7f800001
	s_xor_b32 s13, exec_lo, -1
; %bb.5066:                             ;   in Loop: Header=BB6_3265 Depth=4
	s_or_b32 exec_lo, exec_lo, s37
	s_delay_alu instid0(SALU_CYCLE_1)
	s_and_b32 s13, s13, exec_lo
                                        ; implicit-def: $vgpr13
	s_or_saveexec_b32 s36, s36
	v_mov_b32_e32 v12, s35
	s_xor_b32 exec_lo, exec_lo, s36
	s_cbranch_execz .LBB6_3276
.LBB6_5067:                             ;   in Loop: Header=BB6_3265 Depth=4
	v_cmp_ne_u16_e32 vcc_lo, 0, v13
	v_mov_b32_e32 v12, 0
	s_and_not1_b32 s13, s13, exec_lo
	s_and_b32 vcc_lo, vcc_lo, exec_lo
	s_delay_alu instid0(SALU_CYCLE_1)
	s_or_b32 s13, s13, vcc_lo
	s_or_b32 exec_lo, exec_lo, s36
	s_and_saveexec_b32 s35, s13
	s_cbranch_execnz .LBB6_3277
	s_branch .LBB6_3278
.LBB6_5068:                             ;   in Loop: Header=BB6_3265 Depth=4
	s_mov_b32 s13, -1
	s_mov_b32 s37, exec_lo
                                        ; implicit-def: $sgpr35
	v_cmpx_eq_u16_e32 0x80, v12
; %bb.5069:                             ;   in Loop: Header=BB6_3265 Depth=4
	s_mov_b32 s35, 0x7f800001
	s_xor_b32 s13, exec_lo, -1
; %bb.5070:                             ;   in Loop: Header=BB6_3265 Depth=4
	s_or_b32 exec_lo, exec_lo, s37
	s_delay_alu instid0(SALU_CYCLE_1)
	s_and_b32 s13, s13, exec_lo
	s_or_saveexec_b32 s36, s36
	v_mov_b32_e32 v13, s35
	s_xor_b32 exec_lo, exec_lo, s36
	s_cbranch_execz .LBB6_3288
.LBB6_5071:                             ;   in Loop: Header=BB6_3265 Depth=4
	v_cmp_ne_u16_e32 vcc_lo, 0, v12
	v_mov_b32_e32 v13, 0
	s_and_not1_b32 s13, s13, exec_lo
	s_and_b32 vcc_lo, vcc_lo, exec_lo
	s_delay_alu instid0(SALU_CYCLE_1)
	s_or_b32 s13, s13, vcc_lo
	s_or_b32 exec_lo, exec_lo, s36
	s_and_saveexec_b32 s35, s13
	s_cbranch_execnz .LBB6_3289
	s_branch .LBB6_3290
.LBB6_5072:                             ;   in Loop: Header=BB6_3265 Depth=4
	s_mov_b32 s13, -1
	s_mov_b32 s37, exec_lo
                                        ; implicit-def: $sgpr35
	v_cmpx_eq_u16_e32 0x80, v14
; %bb.5073:                             ;   in Loop: Header=BB6_3265 Depth=4
	s_mov_b32 s35, 0x7f800001
	s_xor_b32 s13, exec_lo, -1
; %bb.5074:                             ;   in Loop: Header=BB6_3265 Depth=4
	s_or_b32 exec_lo, exec_lo, s37
	s_delay_alu instid0(SALU_CYCLE_1)
	s_and_b32 s13, s13, exec_lo
                                        ; implicit-def: $vgpr14
	s_or_saveexec_b32 s36, s36
	v_mov_b32_e32 v13, s35
	s_xor_b32 exec_lo, exec_lo, s36
	s_cbranch_execz .LBB6_3300
.LBB6_5075:                             ;   in Loop: Header=BB6_3265 Depth=4
	v_cmp_ne_u16_e32 vcc_lo, 0, v14
	v_mov_b32_e32 v13, 0
	s_and_not1_b32 s13, s13, exec_lo
	s_and_b32 vcc_lo, vcc_lo, exec_lo
	s_delay_alu instid0(SALU_CYCLE_1)
	s_or_b32 s13, s13, vcc_lo
	s_or_b32 exec_lo, exec_lo, s36
	s_and_saveexec_b32 s35, s13
	s_cbranch_execnz .LBB6_3301
	s_branch .LBB6_3302
.LBB6_5076:                             ;   in Loop: Header=BB6_3265 Depth=4
	s_mov_b32 s13, -1
	s_mov_b32 s37, exec_lo
                                        ; implicit-def: $sgpr35
	v_cmpx_eq_u16_e32 0x80, v12
; %bb.5077:                             ;   in Loop: Header=BB6_3265 Depth=4
	s_mov_b32 s35, 0x7f800001
	s_xor_b32 s13, exec_lo, -1
; %bb.5078:                             ;   in Loop: Header=BB6_3265 Depth=4
	s_or_b32 exec_lo, exec_lo, s37
	s_delay_alu instid0(SALU_CYCLE_1)
	s_and_b32 s13, s13, exec_lo
	s_or_saveexec_b32 s36, s36
	v_mov_b32_e32 v13, s35
	s_xor_b32 exec_lo, exec_lo, s36
	s_cbranch_execz .LBB6_3312
.LBB6_5079:                             ;   in Loop: Header=BB6_3265 Depth=4
	v_cmp_ne_u16_e32 vcc_lo, 0, v12
	v_mov_b32_e32 v13, 0
	s_and_not1_b32 s13, s13, exec_lo
	s_and_b32 vcc_lo, vcc_lo, exec_lo
	s_delay_alu instid0(SALU_CYCLE_1)
	s_or_b32 s13, s13, vcc_lo
	s_or_b32 exec_lo, exec_lo, s36
	s_and_saveexec_b32 s35, s13
	s_cbranch_execnz .LBB6_3313
	s_branch .LBB6_3314
.LBB6_5080:                             ;   in Loop: Header=BB6_3265 Depth=4
	s_mov_b32 s13, -1
	s_mov_b32 s37, exec_lo
                                        ; implicit-def: $sgpr35
	v_cmpx_eq_u16_e32 0x80, v12
; %bb.5081:                             ;   in Loop: Header=BB6_3265 Depth=4
	s_mov_b32 s35, 0x7f800001
	s_xor_b32 s13, exec_lo, -1
; %bb.5082:                             ;   in Loop: Header=BB6_3265 Depth=4
	s_or_b32 exec_lo, exec_lo, s37
	s_delay_alu instid0(SALU_CYCLE_1)
	s_and_b32 s13, s13, exec_lo
                                        ; implicit-def: $vgpr12
	s_or_saveexec_b32 s36, s36
	v_mov_b32_e32 v8, s35
	s_xor_b32 exec_lo, exec_lo, s36
	s_cbranch_execz .LBB6_3324
.LBB6_5083:                             ;   in Loop: Header=BB6_3265 Depth=4
	v_cmp_ne_u16_e32 vcc_lo, 0, v12
	v_mov_b32_e32 v8, 0
	s_and_not1_b32 s13, s13, exec_lo
	s_and_b32 vcc_lo, vcc_lo, exec_lo
	s_delay_alu instid0(SALU_CYCLE_1)
	s_or_b32 s13, s13, vcc_lo
	s_or_b32 exec_lo, exec_lo, s36
	s_and_saveexec_b32 s35, s13
	s_cbranch_execnz .LBB6_3325
	s_branch .LBB6_3326
.LBB6_5084:                             ;   in Loop: Header=BB6_3265 Depth=4
	s_mov_b32 s13, -1
	s_mov_b32 s37, exec_lo
                                        ; implicit-def: $sgpr35
	v_cmpx_eq_u16_e32 0x80, v8
; %bb.5085:                             ;   in Loop: Header=BB6_3265 Depth=4
	s_mov_b32 s35, 0x7f800001
	s_xor_b32 s13, exec_lo, -1
; %bb.5086:                             ;   in Loop: Header=BB6_3265 Depth=4
	s_or_b32 exec_lo, exec_lo, s37
	s_delay_alu instid0(SALU_CYCLE_1)
	s_and_b32 s13, s13, exec_lo
	s_or_saveexec_b32 s36, s36
	v_mov_b32_e32 v12, s35
	s_xor_b32 exec_lo, exec_lo, s36
	s_cbranch_execz .LBB6_3336
.LBB6_5087:                             ;   in Loop: Header=BB6_3265 Depth=4
	v_cmp_ne_u16_e32 vcc_lo, 0, v8
	v_mov_b32_e32 v12, 0
	s_and_not1_b32 s13, s13, exec_lo
	s_and_b32 vcc_lo, vcc_lo, exec_lo
	s_delay_alu instid0(SALU_CYCLE_1)
	s_or_b32 s13, s13, vcc_lo
	s_or_b32 exec_lo, exec_lo, s36
	s_and_saveexec_b32 s35, s13
	s_cbranch_execnz .LBB6_3337
	s_branch .LBB6_3338
.LBB6_5088:                             ;   in Loop: Header=BB6_3265 Depth=4
	s_mov_b32 s13, -1
	s_mov_b32 s37, exec_lo
                                        ; implicit-def: $sgpr35
	v_cmpx_eq_u16_e32 0x80, v13
; %bb.5089:                             ;   in Loop: Header=BB6_3265 Depth=4
	s_mov_b32 s35, 0x7f800001
	s_xor_b32 s13, exec_lo, -1
; %bb.5090:                             ;   in Loop: Header=BB6_3265 Depth=4
	s_or_b32 exec_lo, exec_lo, s37
	s_delay_alu instid0(SALU_CYCLE_1)
	s_and_b32 s13, s13, exec_lo
                                        ; implicit-def: $vgpr13
	s_or_saveexec_b32 s36, s36
	v_mov_b32_e32 v12, s35
	s_xor_b32 exec_lo, exec_lo, s36
	s_cbranch_execz .LBB6_3348
.LBB6_5091:                             ;   in Loop: Header=BB6_3265 Depth=4
	v_cmp_ne_u16_e32 vcc_lo, 0, v13
	v_mov_b32_e32 v12, 0
	s_and_not1_b32 s13, s13, exec_lo
	s_and_b32 vcc_lo, vcc_lo, exec_lo
	s_delay_alu instid0(SALU_CYCLE_1)
	s_or_b32 s13, s13, vcc_lo
	s_or_b32 exec_lo, exec_lo, s36
	s_and_saveexec_b32 s35, s13
	s_cbranch_execnz .LBB6_3349
	s_branch .LBB6_3350
.LBB6_5092:                             ;   in Loop: Header=BB6_3265 Depth=4
	s_mov_b32 s13, -1
	s_mov_b32 s37, exec_lo
                                        ; implicit-def: $sgpr35
	v_cmpx_eq_u16_e32 0x80, v8
; %bb.5093:                             ;   in Loop: Header=BB6_3265 Depth=4
	s_mov_b32 s35, 0x7f800001
	s_xor_b32 s13, exec_lo, -1
; %bb.5094:                             ;   in Loop: Header=BB6_3265 Depth=4
	s_or_b32 exec_lo, exec_lo, s37
	s_delay_alu instid0(SALU_CYCLE_1)
	s_and_b32 s13, s13, exec_lo
	s_or_saveexec_b32 s36, s36
	v_mov_b32_e32 v12, s35
	s_xor_b32 exec_lo, exec_lo, s36
	s_cbranch_execz .LBB6_3360
.LBB6_5095:                             ;   in Loop: Header=BB6_3265 Depth=4
	v_cmp_ne_u16_e32 vcc_lo, 0, v8
	v_mov_b32_e32 v12, 0
	s_and_not1_b32 s13, s13, exec_lo
	s_and_b32 vcc_lo, vcc_lo, exec_lo
	s_delay_alu instid0(SALU_CYCLE_1)
	s_or_b32 s13, s13, vcc_lo
	s_or_b32 exec_lo, exec_lo, s36
	s_and_saveexec_b32 s35, s13
	s_cbranch_execnz .LBB6_3361
	s_branch .LBB6_3362
.LBB6_5096:                             ;   in Loop: Header=BB6_3265 Depth=4
	s_mov_b32 s13, -1
	s_mov_b32 s37, exec_lo
                                        ; implicit-def: $sgpr35
	v_cmpx_eq_u16_e32 0x80, v9
; %bb.5097:                             ;   in Loop: Header=BB6_3265 Depth=4
	s_mov_b32 s35, 0x7f800001
	s_xor_b32 s13, exec_lo, -1
; %bb.5098:                             ;   in Loop: Header=BB6_3265 Depth=4
	s_or_b32 exec_lo, exec_lo, s37
	s_delay_alu instid0(SALU_CYCLE_1)
	s_and_b32 s13, s13, exec_lo
                                        ; implicit-def: $vgpr9
	s_or_saveexec_b32 s36, s36
	v_mov_b32_e32 v8, s35
	s_xor_b32 exec_lo, exec_lo, s36
	s_cbranch_execz .LBB6_3372
.LBB6_5099:                             ;   in Loop: Header=BB6_3265 Depth=4
	v_cmp_ne_u16_e32 vcc_lo, 0, v9
	v_mov_b32_e32 v8, 0
	s_and_not1_b32 s13, s13, exec_lo
	s_and_b32 vcc_lo, vcc_lo, exec_lo
	s_delay_alu instid0(SALU_CYCLE_1)
	s_or_b32 s13, s13, vcc_lo
	s_or_b32 exec_lo, exec_lo, s36
	s_and_saveexec_b32 s35, s13
	s_cbranch_execnz .LBB6_3373
	s_branch .LBB6_3374
.LBB6_5100:                             ;   in Loop: Header=BB6_3265 Depth=4
	s_mov_b32 s13, -1
	s_mov_b32 s37, exec_lo
                                        ; implicit-def: $sgpr35
	v_cmpx_eq_u16_e32 0x80, v8
; %bb.5101:                             ;   in Loop: Header=BB6_3265 Depth=4
	s_mov_b32 s35, 0x7f800001
	s_xor_b32 s13, exec_lo, -1
; %bb.5102:                             ;   in Loop: Header=BB6_3265 Depth=4
	s_or_b32 exec_lo, exec_lo, s37
	s_delay_alu instid0(SALU_CYCLE_1)
	s_and_b32 s13, s13, exec_lo
	s_or_saveexec_b32 s36, s36
	v_mov_b32_e32 v9, s35
	s_xor_b32 exec_lo, exec_lo, s36
	s_cbranch_execz .LBB6_3384
.LBB6_5103:                             ;   in Loop: Header=BB6_3265 Depth=4
	v_cmp_ne_u16_e32 vcc_lo, 0, v8
	v_mov_b32_e32 v9, 0
	s_and_not1_b32 s13, s13, exec_lo
	s_and_b32 vcc_lo, vcc_lo, exec_lo
	s_delay_alu instid0(SALU_CYCLE_1)
	s_or_b32 s13, s13, vcc_lo
	s_or_b32 exec_lo, exec_lo, s36
	s_and_saveexec_b32 s35, s13
	s_cbranch_execnz .LBB6_3385
	s_branch .LBB6_3386
.LBB6_5104:                             ;   in Loop: Header=BB6_3265 Depth=4
	s_mov_b32 s13, -1
	s_mov_b32 s37, exec_lo
                                        ; implicit-def: $sgpr35
	v_cmpx_eq_u16_e32 0x80, v12
; %bb.5105:                             ;   in Loop: Header=BB6_3265 Depth=4
	s_mov_b32 s35, 0x7f800001
	s_xor_b32 s13, exec_lo, -1
; %bb.5106:                             ;   in Loop: Header=BB6_3265 Depth=4
	s_or_b32 exec_lo, exec_lo, s37
	s_delay_alu instid0(SALU_CYCLE_1)
	s_and_b32 s13, s13, exec_lo
                                        ; implicit-def: $vgpr12
	s_or_saveexec_b32 s36, s36
	v_mov_b32_e32 v9, s35
	s_xor_b32 exec_lo, exec_lo, s36
	s_cbranch_execz .LBB6_3396
.LBB6_5107:                             ;   in Loop: Header=BB6_3265 Depth=4
	v_cmp_ne_u16_e32 vcc_lo, 0, v12
	v_mov_b32_e32 v9, 0
	s_and_not1_b32 s13, s13, exec_lo
	s_and_b32 vcc_lo, vcc_lo, exec_lo
	s_delay_alu instid0(SALU_CYCLE_1)
	s_or_b32 s13, s13, vcc_lo
	s_or_b32 exec_lo, exec_lo, s36
	s_and_saveexec_b32 s35, s13
	s_cbranch_execnz .LBB6_3397
	s_branch .LBB6_3398
.LBB6_5108:                             ;   in Loop: Header=BB6_3265 Depth=4
	s_mov_b32 s13, -1
	s_mov_b32 s37, exec_lo
                                        ; implicit-def: $sgpr35
	v_cmpx_eq_u16_e32 0x80, v8
; %bb.5109:                             ;   in Loop: Header=BB6_3265 Depth=4
	s_mov_b32 s35, 0x7f800001
	s_xor_b32 s13, exec_lo, -1
; %bb.5110:                             ;   in Loop: Header=BB6_3265 Depth=4
	s_or_b32 exec_lo, exec_lo, s37
	s_delay_alu instid0(SALU_CYCLE_1)
	s_and_b32 s13, s13, exec_lo
	s_or_saveexec_b32 s36, s36
	v_mov_b32_e32 v9, s35
	s_xor_b32 exec_lo, exec_lo, s36
	s_cbranch_execz .LBB6_3408
.LBB6_5111:                             ;   in Loop: Header=BB6_3265 Depth=4
	v_cmp_ne_u16_e32 vcc_lo, 0, v8
	v_mov_b32_e32 v9, 0
	s_and_not1_b32 s13, s13, exec_lo
	s_and_b32 vcc_lo, vcc_lo, exec_lo
	s_delay_alu instid0(SALU_CYCLE_1)
	s_or_b32 s13, s13, vcc_lo
	s_or_b32 exec_lo, exec_lo, s36
	s_and_saveexec_b32 s35, s13
	s_cbranch_execnz .LBB6_3409
	s_branch .LBB6_3410
.LBB6_5112:                             ;   in Loop: Header=BB6_3265 Depth=4
	s_mov_b32 s13, -1
	s_mov_b32 s37, exec_lo
                                        ; implicit-def: $sgpr35
	v_cmpx_eq_u16_e32 0x80, v9
; %bb.5113:                             ;   in Loop: Header=BB6_3265 Depth=4
	s_mov_b32 s35, 0x7f800001
	s_xor_b32 s13, exec_lo, -1
; %bb.5114:                             ;   in Loop: Header=BB6_3265 Depth=4
	s_or_b32 exec_lo, exec_lo, s37
	s_delay_alu instid0(SALU_CYCLE_1)
	s_and_b32 s13, s13, exec_lo
                                        ; implicit-def: $vgpr9
	s_or_saveexec_b32 s36, s36
	v_mov_b32_e32 v8, s35
	s_xor_b32 exec_lo, exec_lo, s36
	s_cbranch_execz .LBB6_3420
.LBB6_5115:                             ;   in Loop: Header=BB6_3265 Depth=4
	v_cmp_ne_u16_e32 vcc_lo, 0, v9
	v_mov_b32_e32 v8, 0
	s_and_not1_b32 s13, s13, exec_lo
	s_and_b32 vcc_lo, vcc_lo, exec_lo
	s_delay_alu instid0(SALU_CYCLE_1)
	s_or_b32 s13, s13, vcc_lo
	s_or_b32 exec_lo, exec_lo, s36
	s_and_saveexec_b32 s35, s13
	s_cbranch_execnz .LBB6_3421
	s_branch .LBB6_3422
.LBB6_5116:                             ;   in Loop: Header=BB6_3265 Depth=4
	s_mov_b32 s13, -1
	s_mov_b32 s37, exec_lo
                                        ; implicit-def: $sgpr35
	v_cmpx_eq_u16_e32 0x80, v8
; %bb.5117:                             ;   in Loop: Header=BB6_3265 Depth=4
	s_mov_b32 s35, 0x7f800001
	s_xor_b32 s13, exec_lo, -1
; %bb.5118:                             ;   in Loop: Header=BB6_3265 Depth=4
	s_or_b32 exec_lo, exec_lo, s37
	s_delay_alu instid0(SALU_CYCLE_1)
	s_and_b32 s13, s13, exec_lo
	s_or_saveexec_b32 s36, s36
	v_mov_b32_e32 v9, s35
	s_xor_b32 exec_lo, exec_lo, s36
	s_cbranch_execz .LBB6_3432
.LBB6_5119:                             ;   in Loop: Header=BB6_3265 Depth=4
	v_cmp_ne_u16_e32 vcc_lo, 0, v8
	v_mov_b32_e32 v9, 0
	s_and_not1_b32 s13, s13, exec_lo
	s_and_b32 vcc_lo, vcc_lo, exec_lo
	s_delay_alu instid0(SALU_CYCLE_1)
	s_or_b32 s13, s13, vcc_lo
	s_or_b32 exec_lo, exec_lo, s36
	s_and_saveexec_b32 s35, s13
	s_cbranch_execnz .LBB6_3433
	s_branch .LBB6_3434
.LBB6_5120:                             ;   in Loop: Header=BB6_3265 Depth=4
	s_mov_b32 s13, -1
	s_mov_b32 s37, exec_lo
                                        ; implicit-def: $sgpr35
	v_cmpx_eq_u16_e32 0x80, v10
; %bb.5121:                             ;   in Loop: Header=BB6_3265 Depth=4
	s_mov_b32 s35, 0x7f800001
	s_xor_b32 s13, exec_lo, -1
; %bb.5122:                             ;   in Loop: Header=BB6_3265 Depth=4
	s_or_b32 exec_lo, exec_lo, s37
	s_delay_alu instid0(SALU_CYCLE_1)
	s_and_b32 s13, s13, exec_lo
                                        ; implicit-def: $vgpr10
	s_or_saveexec_b32 s36, s36
	v_mov_b32_e32 v9, s35
	s_xor_b32 exec_lo, exec_lo, s36
	s_cbranch_execz .LBB6_3444
.LBB6_5123:                             ;   in Loop: Header=BB6_3265 Depth=4
	v_cmp_ne_u16_e32 vcc_lo, 0, v10
	v_mov_b32_e32 v9, 0
	s_and_not1_b32 s13, s13, exec_lo
	s_and_b32 vcc_lo, vcc_lo, exec_lo
	s_delay_alu instid0(SALU_CYCLE_1)
	s_or_b32 s13, s13, vcc_lo
	s_or_b32 exec_lo, exec_lo, s36
	s_and_saveexec_b32 s35, s13
	s_cbranch_execnz .LBB6_3445
	s_branch .LBB6_3446
.LBB6_5124:                             ;   in Loop: Header=BB6_3265 Depth=4
	s_mov_b32 s13, -1
	s_mov_b32 s37, exec_lo
                                        ; implicit-def: $sgpr35
	v_cmpx_eq_u16_e32 0x80, v8
; %bb.5125:                             ;   in Loop: Header=BB6_3265 Depth=4
	s_mov_b32 s35, 0x7f800001
	s_xor_b32 s13, exec_lo, -1
; %bb.5126:                             ;   in Loop: Header=BB6_3265 Depth=4
	s_or_b32 exec_lo, exec_lo, s37
	s_delay_alu instid0(SALU_CYCLE_1)
	s_and_b32 s13, s13, exec_lo
	s_or_saveexec_b32 s36, s36
	v_mov_b32_e32 v9, s35
	s_xor_b32 exec_lo, exec_lo, s36
	s_cbranch_execz .LBB6_3456
.LBB6_5127:                             ;   in Loop: Header=BB6_3265 Depth=4
	v_cmp_ne_u16_e32 vcc_lo, 0, v8
	v_mov_b32_e32 v9, 0
	s_and_not1_b32 s13, s13, exec_lo
	s_and_b32 vcc_lo, vcc_lo, exec_lo
	s_delay_alu instid0(SALU_CYCLE_1)
	s_or_b32 s13, s13, vcc_lo
	s_or_b32 exec_lo, exec_lo, s36
	s_and_saveexec_b32 s35, s13
	s_cbranch_execnz .LBB6_3457
	s_branch .LBB6_3458
.LBB6_5128:                             ;   in Loop: Header=BB6_3265 Depth=4
	s_mov_b32 s13, -1
	s_mov_b32 s37, exec_lo
                                        ; implicit-def: $sgpr35
	v_cmpx_eq_u16_e32 0x80, v13
; %bb.5129:                             ;   in Loop: Header=BB6_3265 Depth=4
	s_mov_b32 s35, 0x7f800001
	s_xor_b32 s13, exec_lo, -1
; %bb.5130:                             ;   in Loop: Header=BB6_3265 Depth=4
	s_or_b32 exec_lo, exec_lo, s37
	s_delay_alu instid0(SALU_CYCLE_1)
	s_and_b32 s13, s13, exec_lo
                                        ; implicit-def: $vgpr13
	s_or_saveexec_b32 s36, s36
	v_mov_b32_e32 v12, s35
	s_xor_b32 exec_lo, exec_lo, s36
	s_cbranch_execz .LBB6_3468
.LBB6_5131:                             ;   in Loop: Header=BB6_3265 Depth=4
	v_cmp_ne_u16_e32 vcc_lo, 0, v13
	v_mov_b32_e32 v12, 0
	s_and_not1_b32 s13, s13, exec_lo
	s_and_b32 vcc_lo, vcc_lo, exec_lo
	s_delay_alu instid0(SALU_CYCLE_1)
	s_or_b32 s13, s13, vcc_lo
	s_or_b32 exec_lo, exec_lo, s36
	s_and_saveexec_b32 s35, s13
	s_cbranch_execnz .LBB6_3469
	s_branch .LBB6_3470
.LBB6_5132:                             ;   in Loop: Header=BB6_3265 Depth=4
	s_mov_b32 s13, -1
	s_mov_b32 s37, exec_lo
                                        ; implicit-def: $sgpr35
	v_cmpx_eq_u16_e32 0x80, v12
; %bb.5133:                             ;   in Loop: Header=BB6_3265 Depth=4
	s_mov_b32 s35, 0x7f800001
	s_xor_b32 s13, exec_lo, -1
; %bb.5134:                             ;   in Loop: Header=BB6_3265 Depth=4
	s_or_b32 exec_lo, exec_lo, s37
	s_delay_alu instid0(SALU_CYCLE_1)
	s_and_b32 s13, s13, exec_lo
	s_or_saveexec_b32 s36, s36
	v_mov_b32_e32 v13, s35
	s_xor_b32 exec_lo, exec_lo, s36
	s_cbranch_execz .LBB6_3480
.LBB6_5135:                             ;   in Loop: Header=BB6_3265 Depth=4
	v_cmp_ne_u16_e32 vcc_lo, 0, v12
	v_mov_b32_e32 v13, 0
	s_and_not1_b32 s13, s13, exec_lo
	s_and_b32 vcc_lo, vcc_lo, exec_lo
	s_delay_alu instid0(SALU_CYCLE_1)
	s_or_b32 s13, s13, vcc_lo
	s_or_b32 exec_lo, exec_lo, s36
	s_and_saveexec_b32 s35, s13
	s_cbranch_execnz .LBB6_3481
	s_branch .LBB6_3482
.LBB6_5136:                             ;   in Loop: Header=BB6_3265 Depth=4
	s_mov_b32 s13, -1
	s_mov_b32 s37, exec_lo
                                        ; implicit-def: $sgpr35
	v_cmpx_eq_u16_e32 0x80, v14
; %bb.5137:                             ;   in Loop: Header=BB6_3265 Depth=4
	s_mov_b32 s35, 0x7f800001
	s_xor_b32 s13, exec_lo, -1
; %bb.5138:                             ;   in Loop: Header=BB6_3265 Depth=4
	s_or_b32 exec_lo, exec_lo, s37
	s_delay_alu instid0(SALU_CYCLE_1)
	s_and_b32 s13, s13, exec_lo
                                        ; implicit-def: $vgpr14
	s_or_saveexec_b32 s36, s36
	v_mov_b32_e32 v13, s35
	s_xor_b32 exec_lo, exec_lo, s36
	s_cbranch_execz .LBB6_3492
.LBB6_5139:                             ;   in Loop: Header=BB6_3265 Depth=4
	v_cmp_ne_u16_e32 vcc_lo, 0, v14
	v_mov_b32_e32 v13, 0
	s_and_not1_b32 s13, s13, exec_lo
	s_and_b32 vcc_lo, vcc_lo, exec_lo
	s_delay_alu instid0(SALU_CYCLE_1)
	s_or_b32 s13, s13, vcc_lo
	s_or_b32 exec_lo, exec_lo, s36
	s_and_saveexec_b32 s35, s13
	s_cbranch_execnz .LBB6_3493
	s_branch .LBB6_3494
.LBB6_5140:                             ;   in Loop: Header=BB6_3265 Depth=4
	s_mov_b32 s13, -1
	s_mov_b32 s37, exec_lo
                                        ; implicit-def: $sgpr35
	v_cmpx_eq_u16_e32 0x80, v12
; %bb.5141:                             ;   in Loop: Header=BB6_3265 Depth=4
	s_mov_b32 s35, 0x7f800001
	s_xor_b32 s13, exec_lo, -1
; %bb.5142:                             ;   in Loop: Header=BB6_3265 Depth=4
	s_or_b32 exec_lo, exec_lo, s37
	s_delay_alu instid0(SALU_CYCLE_1)
	s_and_b32 s13, s13, exec_lo
	s_or_saveexec_b32 s36, s36
	v_mov_b32_e32 v13, s35
	s_xor_b32 exec_lo, exec_lo, s36
	s_cbranch_execz .LBB6_3504
.LBB6_5143:                             ;   in Loop: Header=BB6_3265 Depth=4
	v_cmp_ne_u16_e32 vcc_lo, 0, v12
	v_mov_b32_e32 v13, 0
	s_and_not1_b32 s13, s13, exec_lo
	s_and_b32 vcc_lo, vcc_lo, exec_lo
	s_delay_alu instid0(SALU_CYCLE_1)
	s_or_b32 s13, s13, vcc_lo
	s_or_b32 exec_lo, exec_lo, s36
	s_and_saveexec_b32 s35, s13
	s_cbranch_execnz .LBB6_3505
	s_branch .LBB6_3506
.LBB6_5144:                             ;   in Loop: Header=BB6_3265 Depth=4
	s_mov_b32 s13, -1
	s_mov_b32 s37, exec_lo
                                        ; implicit-def: $sgpr35
	v_cmpx_eq_u16_e32 0x80, v12
; %bb.5145:                             ;   in Loop: Header=BB6_3265 Depth=4
	s_mov_b32 s35, 0x7f800001
	s_xor_b32 s13, exec_lo, -1
; %bb.5146:                             ;   in Loop: Header=BB6_3265 Depth=4
	s_or_b32 exec_lo, exec_lo, s37
	s_delay_alu instid0(SALU_CYCLE_1)
	s_and_b32 s13, s13, exec_lo
                                        ; implicit-def: $vgpr12
	s_or_saveexec_b32 s36, s36
	v_mov_b32_e32 v8, s35
	s_xor_b32 exec_lo, exec_lo, s36
	s_cbranch_execz .LBB6_3516
.LBB6_5147:                             ;   in Loop: Header=BB6_3265 Depth=4
	v_cmp_ne_u16_e32 vcc_lo, 0, v12
	v_mov_b32_e32 v8, 0
	s_and_not1_b32 s13, s13, exec_lo
	s_and_b32 vcc_lo, vcc_lo, exec_lo
	s_delay_alu instid0(SALU_CYCLE_1)
	s_or_b32 s13, s13, vcc_lo
	s_or_b32 exec_lo, exec_lo, s36
	s_and_saveexec_b32 s35, s13
	s_cbranch_execnz .LBB6_3517
	s_branch .LBB6_3518
.LBB6_5148:                             ;   in Loop: Header=BB6_3265 Depth=4
	s_mov_b32 s13, -1
	s_mov_b32 s37, exec_lo
                                        ; implicit-def: $sgpr35
	v_cmpx_eq_u16_e32 0x80, v8
; %bb.5149:                             ;   in Loop: Header=BB6_3265 Depth=4
	s_mov_b32 s35, 0x7f800001
	s_xor_b32 s13, exec_lo, -1
; %bb.5150:                             ;   in Loop: Header=BB6_3265 Depth=4
	s_or_b32 exec_lo, exec_lo, s37
	s_delay_alu instid0(SALU_CYCLE_1)
	s_and_b32 s13, s13, exec_lo
	s_or_saveexec_b32 s36, s36
	v_mov_b32_e32 v12, s35
	s_xor_b32 exec_lo, exec_lo, s36
	s_cbranch_execz .LBB6_3528
.LBB6_5151:                             ;   in Loop: Header=BB6_3265 Depth=4
	v_cmp_ne_u16_e32 vcc_lo, 0, v8
	v_mov_b32_e32 v12, 0
	s_and_not1_b32 s13, s13, exec_lo
	s_and_b32 vcc_lo, vcc_lo, exec_lo
	s_delay_alu instid0(SALU_CYCLE_1)
	s_or_b32 s13, s13, vcc_lo
	s_or_b32 exec_lo, exec_lo, s36
	s_and_saveexec_b32 s35, s13
	s_cbranch_execnz .LBB6_3529
	s_branch .LBB6_3530
.LBB6_5152:                             ;   in Loop: Header=BB6_3265 Depth=4
	s_mov_b32 s13, -1
	s_mov_b32 s37, exec_lo
                                        ; implicit-def: $sgpr35
	v_cmpx_eq_u16_e32 0x80, v13
; %bb.5153:                             ;   in Loop: Header=BB6_3265 Depth=4
	s_mov_b32 s35, 0x7f800001
	s_xor_b32 s13, exec_lo, -1
; %bb.5154:                             ;   in Loop: Header=BB6_3265 Depth=4
	s_or_b32 exec_lo, exec_lo, s37
	s_delay_alu instid0(SALU_CYCLE_1)
	s_and_b32 s13, s13, exec_lo
                                        ; implicit-def: $vgpr13
	s_or_saveexec_b32 s36, s36
	v_mov_b32_e32 v12, s35
	s_xor_b32 exec_lo, exec_lo, s36
	s_cbranch_execz .LBB6_3540
.LBB6_5155:                             ;   in Loop: Header=BB6_3265 Depth=4
	v_cmp_ne_u16_e32 vcc_lo, 0, v13
	v_mov_b32_e32 v12, 0
	s_and_not1_b32 s13, s13, exec_lo
	s_and_b32 vcc_lo, vcc_lo, exec_lo
	s_delay_alu instid0(SALU_CYCLE_1)
	s_or_b32 s13, s13, vcc_lo
	s_or_b32 exec_lo, exec_lo, s36
	s_and_saveexec_b32 s35, s13
	s_cbranch_execnz .LBB6_3541
	s_branch .LBB6_3542
.LBB6_5156:                             ;   in Loop: Header=BB6_3265 Depth=4
	s_mov_b32 s13, -1
	s_mov_b32 s37, exec_lo
                                        ; implicit-def: $sgpr35
	v_cmpx_eq_u16_e32 0x80, v8
; %bb.5157:                             ;   in Loop: Header=BB6_3265 Depth=4
	s_mov_b32 s35, 0x7f800001
	s_xor_b32 s13, exec_lo, -1
; %bb.5158:                             ;   in Loop: Header=BB6_3265 Depth=4
	s_or_b32 exec_lo, exec_lo, s37
	s_delay_alu instid0(SALU_CYCLE_1)
	s_and_b32 s13, s13, exec_lo
	s_or_saveexec_b32 s36, s36
	v_mov_b32_e32 v12, s35
	s_xor_b32 exec_lo, exec_lo, s36
	s_cbranch_execz .LBB6_3552
.LBB6_5159:                             ;   in Loop: Header=BB6_3265 Depth=4
	v_cmp_ne_u16_e32 vcc_lo, 0, v8
	v_mov_b32_e32 v12, 0
	s_and_not1_b32 s13, s13, exec_lo
	s_and_b32 vcc_lo, vcc_lo, exec_lo
	s_delay_alu instid0(SALU_CYCLE_1)
	s_or_b32 s13, s13, vcc_lo
	s_or_b32 exec_lo, exec_lo, s36
	s_and_saveexec_b32 s35, s13
	s_cbranch_execnz .LBB6_3553
	s_branch .LBB6_3554
.LBB6_5160:                             ;   in Loop: Header=BB6_3265 Depth=4
	s_mov_b32 s13, -1
	s_mov_b32 s37, exec_lo
                                        ; implicit-def: $sgpr35
	v_cmpx_eq_u16_e32 0x80, v9
; %bb.5161:                             ;   in Loop: Header=BB6_3265 Depth=4
	s_mov_b32 s35, 0x7f800001
	s_xor_b32 s13, exec_lo, -1
; %bb.5162:                             ;   in Loop: Header=BB6_3265 Depth=4
	s_or_b32 exec_lo, exec_lo, s37
	s_delay_alu instid0(SALU_CYCLE_1)
	s_and_b32 s13, s13, exec_lo
                                        ; implicit-def: $vgpr9
	s_or_saveexec_b32 s36, s36
	v_mov_b32_e32 v8, s35
	s_xor_b32 exec_lo, exec_lo, s36
	s_cbranch_execz .LBB6_3564
.LBB6_5163:                             ;   in Loop: Header=BB6_3265 Depth=4
	v_cmp_ne_u16_e32 vcc_lo, 0, v9
	v_mov_b32_e32 v8, 0
	s_and_not1_b32 s13, s13, exec_lo
	s_and_b32 vcc_lo, vcc_lo, exec_lo
	s_delay_alu instid0(SALU_CYCLE_1)
	s_or_b32 s13, s13, vcc_lo
	s_or_b32 exec_lo, exec_lo, s36
	s_and_saveexec_b32 s35, s13
	s_cbranch_execnz .LBB6_3565
	s_branch .LBB6_3566
.LBB6_5164:                             ;   in Loop: Header=BB6_3265 Depth=4
	s_mov_b32 s13, -1
	s_mov_b32 s37, exec_lo
                                        ; implicit-def: $sgpr35
	v_cmpx_eq_u16_e32 0x80, v8
; %bb.5165:                             ;   in Loop: Header=BB6_3265 Depth=4
	s_mov_b32 s35, 0x7f800001
	s_xor_b32 s13, exec_lo, -1
; %bb.5166:                             ;   in Loop: Header=BB6_3265 Depth=4
	s_or_b32 exec_lo, exec_lo, s37
	s_delay_alu instid0(SALU_CYCLE_1)
	s_and_b32 s13, s13, exec_lo
	s_or_saveexec_b32 s36, s36
	v_mov_b32_e32 v9, s35
	s_xor_b32 exec_lo, exec_lo, s36
	s_cbranch_execz .LBB6_3576
.LBB6_5167:                             ;   in Loop: Header=BB6_3265 Depth=4
	v_cmp_ne_u16_e32 vcc_lo, 0, v8
	v_mov_b32_e32 v9, 0
	s_and_not1_b32 s13, s13, exec_lo
	s_and_b32 vcc_lo, vcc_lo, exec_lo
	s_delay_alu instid0(SALU_CYCLE_1)
	s_or_b32 s13, s13, vcc_lo
	s_or_b32 exec_lo, exec_lo, s36
	s_and_saveexec_b32 s35, s13
	s_cbranch_execnz .LBB6_3577
	s_branch .LBB6_3578
.LBB6_5168:                             ;   in Loop: Header=BB6_3265 Depth=4
	s_mov_b32 s13, -1
	s_mov_b32 s37, exec_lo
                                        ; implicit-def: $sgpr35
	v_cmpx_eq_u16_e32 0x80, v12
; %bb.5169:                             ;   in Loop: Header=BB6_3265 Depth=4
	s_mov_b32 s35, 0x7f800001
	s_xor_b32 s13, exec_lo, -1
; %bb.5170:                             ;   in Loop: Header=BB6_3265 Depth=4
	s_or_b32 exec_lo, exec_lo, s37
	s_delay_alu instid0(SALU_CYCLE_1)
	s_and_b32 s13, s13, exec_lo
                                        ; implicit-def: $vgpr12
	s_or_saveexec_b32 s36, s36
	v_mov_b32_e32 v9, s35
	s_xor_b32 exec_lo, exec_lo, s36
	s_cbranch_execz .LBB6_3588
.LBB6_5171:                             ;   in Loop: Header=BB6_3265 Depth=4
	v_cmp_ne_u16_e32 vcc_lo, 0, v12
	v_mov_b32_e32 v9, 0
	s_and_not1_b32 s13, s13, exec_lo
	s_and_b32 vcc_lo, vcc_lo, exec_lo
	s_delay_alu instid0(SALU_CYCLE_1)
	s_or_b32 s13, s13, vcc_lo
	s_or_b32 exec_lo, exec_lo, s36
	s_and_saveexec_b32 s35, s13
	s_cbranch_execnz .LBB6_3589
	s_branch .LBB6_3590
.LBB6_5172:                             ;   in Loop: Header=BB6_3265 Depth=4
	s_mov_b32 s13, -1
	s_mov_b32 s37, exec_lo
                                        ; implicit-def: $sgpr35
	v_cmpx_eq_u16_e32 0x80, v8
; %bb.5173:                             ;   in Loop: Header=BB6_3265 Depth=4
	s_mov_b32 s35, 0x7f800001
	s_xor_b32 s13, exec_lo, -1
; %bb.5174:                             ;   in Loop: Header=BB6_3265 Depth=4
	s_or_b32 exec_lo, exec_lo, s37
	s_delay_alu instid0(SALU_CYCLE_1)
	s_and_b32 s13, s13, exec_lo
	s_or_saveexec_b32 s36, s36
	v_mov_b32_e32 v9, s35
	s_xor_b32 exec_lo, exec_lo, s36
	s_cbranch_execz .LBB6_3600
.LBB6_5175:                             ;   in Loop: Header=BB6_3265 Depth=4
	v_cmp_ne_u16_e32 vcc_lo, 0, v8
	v_mov_b32_e32 v9, 0
	s_and_not1_b32 s13, s13, exec_lo
	s_and_b32 vcc_lo, vcc_lo, exec_lo
	s_delay_alu instid0(SALU_CYCLE_1)
	s_or_b32 s13, s13, vcc_lo
	s_or_b32 exec_lo, exec_lo, s36
	s_and_saveexec_b32 s35, s13
	s_cbranch_execnz .LBB6_3601
	s_branch .LBB6_3602
.LBB6_5176:                             ;   in Loop: Header=BB6_3265 Depth=4
	s_mov_b32 s13, -1
	s_mov_b32 s37, exec_lo
                                        ; implicit-def: $sgpr35
	v_cmpx_eq_u16_e32 0x80, v9
; %bb.5177:                             ;   in Loop: Header=BB6_3265 Depth=4
	s_mov_b32 s35, 0x7f800001
	s_xor_b32 s13, exec_lo, -1
; %bb.5178:                             ;   in Loop: Header=BB6_3265 Depth=4
	s_or_b32 exec_lo, exec_lo, s37
	s_delay_alu instid0(SALU_CYCLE_1)
	s_and_b32 s13, s13, exec_lo
                                        ; implicit-def: $vgpr9
	s_or_saveexec_b32 s36, s36
	v_mov_b32_e32 v8, s35
	s_xor_b32 exec_lo, exec_lo, s36
	s_cbranch_execz .LBB6_3612
.LBB6_5179:                             ;   in Loop: Header=BB6_3265 Depth=4
	v_cmp_ne_u16_e32 vcc_lo, 0, v9
	v_mov_b32_e32 v8, 0
	s_and_not1_b32 s13, s13, exec_lo
	s_and_b32 vcc_lo, vcc_lo, exec_lo
	s_delay_alu instid0(SALU_CYCLE_1)
	s_or_b32 s13, s13, vcc_lo
	s_or_b32 exec_lo, exec_lo, s36
	s_and_saveexec_b32 s35, s13
	s_cbranch_execnz .LBB6_3613
	s_branch .LBB6_3614
.LBB6_5180:                             ;   in Loop: Header=BB6_3265 Depth=4
	s_mov_b32 s13, -1
	s_mov_b32 s37, exec_lo
                                        ; implicit-def: $sgpr35
	v_cmpx_eq_u16_e32 0x80, v8
; %bb.5181:                             ;   in Loop: Header=BB6_3265 Depth=4
	s_mov_b32 s35, 0x7f800001
	s_xor_b32 s13, exec_lo, -1
; %bb.5182:                             ;   in Loop: Header=BB6_3265 Depth=4
	s_or_b32 exec_lo, exec_lo, s37
	s_delay_alu instid0(SALU_CYCLE_1)
	s_and_b32 s13, s13, exec_lo
	s_or_saveexec_b32 s36, s36
	v_mov_b32_e32 v9, s35
	s_xor_b32 exec_lo, exec_lo, s36
	s_cbranch_execz .LBB6_3624
.LBB6_5183:                             ;   in Loop: Header=BB6_3265 Depth=4
	v_cmp_ne_u16_e32 vcc_lo, 0, v8
	v_mov_b32_e32 v9, 0
	s_and_not1_b32 s13, s13, exec_lo
	s_and_b32 vcc_lo, vcc_lo, exec_lo
	s_delay_alu instid0(SALU_CYCLE_1)
	s_or_b32 s13, s13, vcc_lo
	s_or_b32 exec_lo, exec_lo, s36
	s_and_saveexec_b32 s35, s13
	s_cbranch_execnz .LBB6_3625
	s_branch .LBB6_3626
.LBB6_5184:                             ;   in Loop: Header=BB6_3265 Depth=4
	s_mov_b32 s13, -1
	s_mov_b32 s37, exec_lo
                                        ; implicit-def: $sgpr35
	v_cmpx_eq_u16_e32 0x80, v10
; %bb.5185:                             ;   in Loop: Header=BB6_3265 Depth=4
	s_mov_b32 s35, 0x7f800001
	s_xor_b32 s13, exec_lo, -1
; %bb.5186:                             ;   in Loop: Header=BB6_3265 Depth=4
	s_or_b32 exec_lo, exec_lo, s37
	s_delay_alu instid0(SALU_CYCLE_1)
	s_and_b32 s13, s13, exec_lo
                                        ; implicit-def: $vgpr10
	s_or_saveexec_b32 s36, s36
	v_mov_b32_e32 v9, s35
	s_xor_b32 exec_lo, exec_lo, s36
	s_cbranch_execz .LBB6_3636
.LBB6_5187:                             ;   in Loop: Header=BB6_3265 Depth=4
	v_cmp_ne_u16_e32 vcc_lo, 0, v10
	v_mov_b32_e32 v9, 0
	s_and_not1_b32 s13, s13, exec_lo
	s_and_b32 vcc_lo, vcc_lo, exec_lo
	s_delay_alu instid0(SALU_CYCLE_1)
	s_or_b32 s13, s13, vcc_lo
	s_or_b32 exec_lo, exec_lo, s36
	s_and_saveexec_b32 s35, s13
	s_cbranch_execnz .LBB6_3637
	s_branch .LBB6_3638
.LBB6_5188:                             ;   in Loop: Header=BB6_3265 Depth=4
	s_mov_b32 s13, -1
	s_mov_b32 s37, exec_lo
                                        ; implicit-def: $sgpr35
	v_cmpx_eq_u16_e32 0x80, v8
; %bb.5189:                             ;   in Loop: Header=BB6_3265 Depth=4
	s_mov_b32 s35, 0x7f800001
	s_xor_b32 s13, exec_lo, -1
; %bb.5190:                             ;   in Loop: Header=BB6_3265 Depth=4
	s_or_b32 exec_lo, exec_lo, s37
	s_delay_alu instid0(SALU_CYCLE_1)
	s_and_b32 s13, s13, exec_lo
	s_or_saveexec_b32 s36, s36
	v_mov_b32_e32 v9, s35
	s_xor_b32 exec_lo, exec_lo, s36
	s_cbranch_execz .LBB6_3648
.LBB6_5191:                             ;   in Loop: Header=BB6_3265 Depth=4
	v_cmp_ne_u16_e32 vcc_lo, 0, v8
	v_mov_b32_e32 v9, 0
	s_and_not1_b32 s13, s13, exec_lo
	s_and_b32 vcc_lo, vcc_lo, exec_lo
	s_delay_alu instid0(SALU_CYCLE_1)
	s_or_b32 s13, s13, vcc_lo
	s_or_b32 exec_lo, exec_lo, s36
	s_and_saveexec_b32 s35, s13
	s_cbranch_execnz .LBB6_3649
	s_branch .LBB6_3650
.LBB6_5192:                             ;   in Loop: Header=BB6_3265 Depth=4
	s_mov_b32 s13, -1
	s_mov_b32 s37, exec_lo
                                        ; implicit-def: $sgpr35
	v_cmpx_eq_u16_e32 0x80, v13
; %bb.5193:                             ;   in Loop: Header=BB6_3265 Depth=4
	s_mov_b32 s35, 0x7f800001
	s_xor_b32 s13, exec_lo, -1
; %bb.5194:                             ;   in Loop: Header=BB6_3265 Depth=4
	s_or_b32 exec_lo, exec_lo, s37
	s_delay_alu instid0(SALU_CYCLE_1)
	s_and_b32 s13, s13, exec_lo
                                        ; implicit-def: $vgpr13
	s_or_saveexec_b32 s36, s36
	v_mov_b32_e32 v12, s35
	s_xor_b32 exec_lo, exec_lo, s36
	s_cbranch_execz .LBB6_3660
.LBB6_5195:                             ;   in Loop: Header=BB6_3265 Depth=4
	v_cmp_ne_u16_e32 vcc_lo, 0, v13
	v_mov_b32_e32 v12, 0
	s_and_not1_b32 s13, s13, exec_lo
	s_and_b32 vcc_lo, vcc_lo, exec_lo
	s_delay_alu instid0(SALU_CYCLE_1)
	s_or_b32 s13, s13, vcc_lo
	s_or_b32 exec_lo, exec_lo, s36
	s_and_saveexec_b32 s35, s13
	s_cbranch_execnz .LBB6_3661
	s_branch .LBB6_3662
.LBB6_5196:                             ;   in Loop: Header=BB6_3265 Depth=4
	s_mov_b32 s13, -1
	s_mov_b32 s37, exec_lo
                                        ; implicit-def: $sgpr35
	v_cmpx_eq_u16_e32 0x80, v12
; %bb.5197:                             ;   in Loop: Header=BB6_3265 Depth=4
	s_mov_b32 s35, 0x7f800001
	s_xor_b32 s13, exec_lo, -1
; %bb.5198:                             ;   in Loop: Header=BB6_3265 Depth=4
	s_or_b32 exec_lo, exec_lo, s37
	s_delay_alu instid0(SALU_CYCLE_1)
	s_and_b32 s13, s13, exec_lo
	s_or_saveexec_b32 s36, s36
	v_mov_b32_e32 v13, s35
	s_xor_b32 exec_lo, exec_lo, s36
	s_cbranch_execz .LBB6_3672
.LBB6_5199:                             ;   in Loop: Header=BB6_3265 Depth=4
	v_cmp_ne_u16_e32 vcc_lo, 0, v12
	v_mov_b32_e32 v13, 0
	s_and_not1_b32 s13, s13, exec_lo
	s_and_b32 vcc_lo, vcc_lo, exec_lo
	s_delay_alu instid0(SALU_CYCLE_1)
	s_or_b32 s13, s13, vcc_lo
	s_or_b32 exec_lo, exec_lo, s36
	s_and_saveexec_b32 s35, s13
	s_cbranch_execnz .LBB6_3673
	s_branch .LBB6_3674
.LBB6_5200:                             ;   in Loop: Header=BB6_3265 Depth=4
	s_mov_b32 s13, -1
	s_mov_b32 s37, exec_lo
                                        ; implicit-def: $sgpr35
	v_cmpx_eq_u16_e32 0x80, v14
; %bb.5201:                             ;   in Loop: Header=BB6_3265 Depth=4
	s_mov_b32 s35, 0x7f800001
	s_xor_b32 s13, exec_lo, -1
; %bb.5202:                             ;   in Loop: Header=BB6_3265 Depth=4
	s_or_b32 exec_lo, exec_lo, s37
	s_delay_alu instid0(SALU_CYCLE_1)
	s_and_b32 s13, s13, exec_lo
                                        ; implicit-def: $vgpr14
	s_or_saveexec_b32 s36, s36
	v_mov_b32_e32 v13, s35
	s_xor_b32 exec_lo, exec_lo, s36
	s_cbranch_execz .LBB6_3684
.LBB6_5203:                             ;   in Loop: Header=BB6_3265 Depth=4
	v_cmp_ne_u16_e32 vcc_lo, 0, v14
	v_mov_b32_e32 v13, 0
	s_and_not1_b32 s13, s13, exec_lo
	s_and_b32 vcc_lo, vcc_lo, exec_lo
	s_delay_alu instid0(SALU_CYCLE_1)
	s_or_b32 s13, s13, vcc_lo
	s_or_b32 exec_lo, exec_lo, s36
	s_and_saveexec_b32 s35, s13
	s_cbranch_execnz .LBB6_3685
	s_branch .LBB6_3686
.LBB6_5204:                             ;   in Loop: Header=BB6_3265 Depth=4
	s_mov_b32 s13, -1
	s_mov_b32 s37, exec_lo
                                        ; implicit-def: $sgpr35
	v_cmpx_eq_u16_e32 0x80, v12
; %bb.5205:                             ;   in Loop: Header=BB6_3265 Depth=4
	s_mov_b32 s35, 0x7f800001
	s_xor_b32 s13, exec_lo, -1
; %bb.5206:                             ;   in Loop: Header=BB6_3265 Depth=4
	s_or_b32 exec_lo, exec_lo, s37
	s_delay_alu instid0(SALU_CYCLE_1)
	s_and_b32 s13, s13, exec_lo
	s_or_saveexec_b32 s36, s36
	v_mov_b32_e32 v13, s35
	s_xor_b32 exec_lo, exec_lo, s36
	s_cbranch_execz .LBB6_3696
.LBB6_5207:                             ;   in Loop: Header=BB6_3265 Depth=4
	v_cmp_ne_u16_e32 vcc_lo, 0, v12
	v_mov_b32_e32 v13, 0
	s_and_not1_b32 s13, s13, exec_lo
	s_and_b32 vcc_lo, vcc_lo, exec_lo
	s_delay_alu instid0(SALU_CYCLE_1)
	s_or_b32 s13, s13, vcc_lo
	s_or_b32 exec_lo, exec_lo, s36
	s_and_saveexec_b32 s35, s13
	s_cbranch_execnz .LBB6_3697
	s_branch .LBB6_3698
.LBB6_5208:                             ;   in Loop: Header=BB6_3265 Depth=4
	s_mov_b32 s13, -1
	s_mov_b32 s37, exec_lo
                                        ; implicit-def: $sgpr35
	v_cmpx_eq_u16_e32 0x80, v12
; %bb.5209:                             ;   in Loop: Header=BB6_3265 Depth=4
	s_mov_b32 s35, 0x7f800001
	s_xor_b32 s13, exec_lo, -1
; %bb.5210:                             ;   in Loop: Header=BB6_3265 Depth=4
	s_or_b32 exec_lo, exec_lo, s37
	s_delay_alu instid0(SALU_CYCLE_1)
	s_and_b32 s13, s13, exec_lo
                                        ; implicit-def: $vgpr12
	s_or_saveexec_b32 s36, s36
	v_mov_b32_e32 v8, s35
	s_xor_b32 exec_lo, exec_lo, s36
	s_cbranch_execz .LBB6_3708
.LBB6_5211:                             ;   in Loop: Header=BB6_3265 Depth=4
	v_cmp_ne_u16_e32 vcc_lo, 0, v12
	v_mov_b32_e32 v8, 0
	s_and_not1_b32 s13, s13, exec_lo
	s_and_b32 vcc_lo, vcc_lo, exec_lo
	s_delay_alu instid0(SALU_CYCLE_1)
	s_or_b32 s13, s13, vcc_lo
	s_or_b32 exec_lo, exec_lo, s36
	s_and_saveexec_b32 s35, s13
	s_cbranch_execnz .LBB6_3709
	s_branch .LBB6_3710
.LBB6_5212:                             ;   in Loop: Header=BB6_3265 Depth=4
	s_mov_b32 s13, -1
	s_mov_b32 s37, exec_lo
                                        ; implicit-def: $sgpr35
	v_cmpx_eq_u16_e32 0x80, v8
; %bb.5213:                             ;   in Loop: Header=BB6_3265 Depth=4
	s_mov_b32 s35, 0x7f800001
	s_xor_b32 s13, exec_lo, -1
; %bb.5214:                             ;   in Loop: Header=BB6_3265 Depth=4
	s_or_b32 exec_lo, exec_lo, s37
	s_delay_alu instid0(SALU_CYCLE_1)
	s_and_b32 s13, s13, exec_lo
	s_or_saveexec_b32 s36, s36
	v_mov_b32_e32 v12, s35
	s_xor_b32 exec_lo, exec_lo, s36
	s_cbranch_execz .LBB6_3720
.LBB6_5215:                             ;   in Loop: Header=BB6_3265 Depth=4
	v_cmp_ne_u16_e32 vcc_lo, 0, v8
	v_mov_b32_e32 v12, 0
	s_and_not1_b32 s13, s13, exec_lo
	s_and_b32 vcc_lo, vcc_lo, exec_lo
	s_delay_alu instid0(SALU_CYCLE_1)
	s_or_b32 s13, s13, vcc_lo
	s_or_b32 exec_lo, exec_lo, s36
	s_and_saveexec_b32 s35, s13
	s_cbranch_execnz .LBB6_3721
	s_branch .LBB6_3722
.LBB6_5216:                             ;   in Loop: Header=BB6_3265 Depth=4
	s_mov_b32 s13, -1
	s_mov_b32 s37, exec_lo
                                        ; implicit-def: $sgpr35
	v_cmpx_eq_u16_e32 0x80, v13
; %bb.5217:                             ;   in Loop: Header=BB6_3265 Depth=4
	s_mov_b32 s35, 0x7f800001
	s_xor_b32 s13, exec_lo, -1
; %bb.5218:                             ;   in Loop: Header=BB6_3265 Depth=4
	s_or_b32 exec_lo, exec_lo, s37
	s_delay_alu instid0(SALU_CYCLE_1)
	s_and_b32 s13, s13, exec_lo
                                        ; implicit-def: $vgpr13
	s_or_saveexec_b32 s36, s36
	v_mov_b32_e32 v12, s35
	s_xor_b32 exec_lo, exec_lo, s36
	s_cbranch_execz .LBB6_3732
.LBB6_5219:                             ;   in Loop: Header=BB6_3265 Depth=4
	v_cmp_ne_u16_e32 vcc_lo, 0, v13
	v_mov_b32_e32 v12, 0
	s_and_not1_b32 s13, s13, exec_lo
	s_and_b32 vcc_lo, vcc_lo, exec_lo
	s_delay_alu instid0(SALU_CYCLE_1)
	s_or_b32 s13, s13, vcc_lo
	s_or_b32 exec_lo, exec_lo, s36
	s_and_saveexec_b32 s35, s13
	s_cbranch_execnz .LBB6_3733
	s_branch .LBB6_3734
.LBB6_5220:                             ;   in Loop: Header=BB6_3265 Depth=4
	s_mov_b32 s13, -1
	s_mov_b32 s37, exec_lo
                                        ; implicit-def: $sgpr35
	v_cmpx_eq_u16_e32 0x80, v8
; %bb.5221:                             ;   in Loop: Header=BB6_3265 Depth=4
	s_mov_b32 s35, 0x7f800001
	s_xor_b32 s13, exec_lo, -1
; %bb.5222:                             ;   in Loop: Header=BB6_3265 Depth=4
	s_or_b32 exec_lo, exec_lo, s37
	s_delay_alu instid0(SALU_CYCLE_1)
	s_and_b32 s13, s13, exec_lo
	s_or_saveexec_b32 s36, s36
	v_mov_b32_e32 v12, s35
	s_xor_b32 exec_lo, exec_lo, s36
	s_cbranch_execz .LBB6_3744
.LBB6_5223:                             ;   in Loop: Header=BB6_3265 Depth=4
	v_cmp_ne_u16_e32 vcc_lo, 0, v8
	v_mov_b32_e32 v12, 0
	s_and_not1_b32 s13, s13, exec_lo
	s_and_b32 vcc_lo, vcc_lo, exec_lo
	s_delay_alu instid0(SALU_CYCLE_1)
	s_or_b32 s13, s13, vcc_lo
	s_or_b32 exec_lo, exec_lo, s36
	s_and_saveexec_b32 s35, s13
	s_cbranch_execnz .LBB6_3745
	s_branch .LBB6_3746
.LBB6_5224:                             ;   in Loop: Header=BB6_3265 Depth=4
	s_mov_b32 s13, -1
	s_mov_b32 s37, exec_lo
                                        ; implicit-def: $sgpr35
	v_cmpx_eq_u16_e32 0x80, v9
; %bb.5225:                             ;   in Loop: Header=BB6_3265 Depth=4
	s_mov_b32 s35, 0x7f800001
	s_xor_b32 s13, exec_lo, -1
; %bb.5226:                             ;   in Loop: Header=BB6_3265 Depth=4
	s_or_b32 exec_lo, exec_lo, s37
	s_delay_alu instid0(SALU_CYCLE_1)
	s_and_b32 s13, s13, exec_lo
                                        ; implicit-def: $vgpr9
	s_or_saveexec_b32 s36, s36
	v_mov_b32_e32 v8, s35
	s_xor_b32 exec_lo, exec_lo, s36
	s_cbranch_execz .LBB6_3756
.LBB6_5227:                             ;   in Loop: Header=BB6_3265 Depth=4
	v_cmp_ne_u16_e32 vcc_lo, 0, v9
	v_mov_b32_e32 v8, 0
	s_and_not1_b32 s13, s13, exec_lo
	s_and_b32 vcc_lo, vcc_lo, exec_lo
	s_delay_alu instid0(SALU_CYCLE_1)
	s_or_b32 s13, s13, vcc_lo
	s_or_b32 exec_lo, exec_lo, s36
	s_and_saveexec_b32 s35, s13
	s_cbranch_execnz .LBB6_3757
	s_branch .LBB6_3758
.LBB6_5228:                             ;   in Loop: Header=BB6_3265 Depth=4
	s_mov_b32 s13, -1
	s_mov_b32 s37, exec_lo
                                        ; implicit-def: $sgpr35
	v_cmpx_eq_u16_e32 0x80, v8
; %bb.5229:                             ;   in Loop: Header=BB6_3265 Depth=4
	s_mov_b32 s35, 0x7f800001
	s_xor_b32 s13, exec_lo, -1
; %bb.5230:                             ;   in Loop: Header=BB6_3265 Depth=4
	s_or_b32 exec_lo, exec_lo, s37
	s_delay_alu instid0(SALU_CYCLE_1)
	s_and_b32 s13, s13, exec_lo
	s_or_saveexec_b32 s36, s36
	v_mov_b32_e32 v9, s35
	s_xor_b32 exec_lo, exec_lo, s36
	s_cbranch_execz .LBB6_3768
.LBB6_5231:                             ;   in Loop: Header=BB6_3265 Depth=4
	v_cmp_ne_u16_e32 vcc_lo, 0, v8
	v_mov_b32_e32 v9, 0
	s_and_not1_b32 s13, s13, exec_lo
	s_and_b32 vcc_lo, vcc_lo, exec_lo
	s_delay_alu instid0(SALU_CYCLE_1)
	s_or_b32 s13, s13, vcc_lo
	s_or_b32 exec_lo, exec_lo, s36
	s_and_saveexec_b32 s35, s13
	s_cbranch_execnz .LBB6_3769
	s_branch .LBB6_3770
.LBB6_5232:                             ;   in Loop: Header=BB6_3265 Depth=4
	s_mov_b32 s13, -1
	s_mov_b32 s37, exec_lo
                                        ; implicit-def: $sgpr35
	v_cmpx_eq_u16_e32 0x80, v12
; %bb.5233:                             ;   in Loop: Header=BB6_3265 Depth=4
	s_mov_b32 s35, 0x7f800001
	s_xor_b32 s13, exec_lo, -1
; %bb.5234:                             ;   in Loop: Header=BB6_3265 Depth=4
	s_or_b32 exec_lo, exec_lo, s37
	s_delay_alu instid0(SALU_CYCLE_1)
	s_and_b32 s13, s13, exec_lo
                                        ; implicit-def: $vgpr12
	s_or_saveexec_b32 s36, s36
	v_mov_b32_e32 v9, s35
	s_xor_b32 exec_lo, exec_lo, s36
	s_cbranch_execz .LBB6_3780
.LBB6_5235:                             ;   in Loop: Header=BB6_3265 Depth=4
	v_cmp_ne_u16_e32 vcc_lo, 0, v12
	v_mov_b32_e32 v9, 0
	s_and_not1_b32 s13, s13, exec_lo
	s_and_b32 vcc_lo, vcc_lo, exec_lo
	s_delay_alu instid0(SALU_CYCLE_1)
	s_or_b32 s13, s13, vcc_lo
	s_or_b32 exec_lo, exec_lo, s36
	s_and_saveexec_b32 s35, s13
	s_cbranch_execnz .LBB6_3781
	s_branch .LBB6_3782
.LBB6_5236:                             ;   in Loop: Header=BB6_3265 Depth=4
	s_mov_b32 s13, -1
	s_mov_b32 s37, exec_lo
                                        ; implicit-def: $sgpr35
	v_cmpx_eq_u16_e32 0x80, v8
; %bb.5237:                             ;   in Loop: Header=BB6_3265 Depth=4
	s_mov_b32 s35, 0x7f800001
	s_xor_b32 s13, exec_lo, -1
; %bb.5238:                             ;   in Loop: Header=BB6_3265 Depth=4
	s_or_b32 exec_lo, exec_lo, s37
	s_delay_alu instid0(SALU_CYCLE_1)
	s_and_b32 s13, s13, exec_lo
	s_or_saveexec_b32 s36, s36
	v_mov_b32_e32 v9, s35
	s_xor_b32 exec_lo, exec_lo, s36
	s_cbranch_execz .LBB6_3792
.LBB6_5239:                             ;   in Loop: Header=BB6_3265 Depth=4
	v_cmp_ne_u16_e32 vcc_lo, 0, v8
	v_mov_b32_e32 v9, 0
	s_and_not1_b32 s13, s13, exec_lo
	s_and_b32 vcc_lo, vcc_lo, exec_lo
	s_delay_alu instid0(SALU_CYCLE_1)
	s_or_b32 s13, s13, vcc_lo
	s_or_b32 exec_lo, exec_lo, s36
	s_and_saveexec_b32 s35, s13
	s_cbranch_execnz .LBB6_3793
	s_branch .LBB6_3794
.LBB6_5240:                             ;   in Loop: Header=BB6_3265 Depth=4
	s_mov_b32 s13, -1
	s_mov_b32 s37, exec_lo
                                        ; implicit-def: $sgpr35
	v_cmpx_eq_u16_e32 0x80, v9
; %bb.5241:                             ;   in Loop: Header=BB6_3265 Depth=4
	s_mov_b32 s35, 0x7f800001
	s_xor_b32 s13, exec_lo, -1
; %bb.5242:                             ;   in Loop: Header=BB6_3265 Depth=4
	s_or_b32 exec_lo, exec_lo, s37
	s_delay_alu instid0(SALU_CYCLE_1)
	s_and_b32 s13, s13, exec_lo
                                        ; implicit-def: $vgpr9
	s_or_saveexec_b32 s36, s36
	v_mov_b32_e32 v8, s35
	s_xor_b32 exec_lo, exec_lo, s36
	s_cbranch_execz .LBB6_3804
.LBB6_5243:                             ;   in Loop: Header=BB6_3265 Depth=4
	v_cmp_ne_u16_e32 vcc_lo, 0, v9
	v_mov_b32_e32 v8, 0
	s_and_not1_b32 s13, s13, exec_lo
	s_and_b32 vcc_lo, vcc_lo, exec_lo
	s_delay_alu instid0(SALU_CYCLE_1)
	s_or_b32 s13, s13, vcc_lo
	s_or_b32 exec_lo, exec_lo, s36
	s_and_saveexec_b32 s35, s13
	s_cbranch_execnz .LBB6_3805
	s_branch .LBB6_3806
.LBB6_5244:                             ;   in Loop: Header=BB6_3265 Depth=4
	s_mov_b32 s13, -1
	s_mov_b32 s37, exec_lo
                                        ; implicit-def: $sgpr35
	v_cmpx_eq_u16_e32 0x80, v8
; %bb.5245:                             ;   in Loop: Header=BB6_3265 Depth=4
	s_mov_b32 s35, 0x7f800001
	s_xor_b32 s13, exec_lo, -1
; %bb.5246:                             ;   in Loop: Header=BB6_3265 Depth=4
	s_or_b32 exec_lo, exec_lo, s37
	s_delay_alu instid0(SALU_CYCLE_1)
	s_and_b32 s13, s13, exec_lo
	s_or_saveexec_b32 s36, s36
	v_mov_b32_e32 v9, s35
	s_xor_b32 exec_lo, exec_lo, s36
	s_cbranch_execz .LBB6_3816
.LBB6_5247:                             ;   in Loop: Header=BB6_3265 Depth=4
	v_cmp_ne_u16_e32 vcc_lo, 0, v8
	v_mov_b32_e32 v9, 0
	s_and_not1_b32 s13, s13, exec_lo
	s_and_b32 vcc_lo, vcc_lo, exec_lo
	s_delay_alu instid0(SALU_CYCLE_1)
	s_or_b32 s13, s13, vcc_lo
	s_or_b32 exec_lo, exec_lo, s36
	s_and_saveexec_b32 s35, s13
	s_cbranch_execnz .LBB6_3817
	s_branch .LBB6_3818
.LBB6_5248:                             ;   in Loop: Header=BB6_3265 Depth=4
	s_mov_b32 s13, -1
	s_mov_b32 s37, exec_lo
                                        ; implicit-def: $sgpr35
	v_cmpx_eq_u16_e32 0x80, v10
; %bb.5249:                             ;   in Loop: Header=BB6_3265 Depth=4
	s_mov_b32 s35, 0x7f800001
	s_xor_b32 s13, exec_lo, -1
; %bb.5250:                             ;   in Loop: Header=BB6_3265 Depth=4
	s_or_b32 exec_lo, exec_lo, s37
	s_delay_alu instid0(SALU_CYCLE_1)
	s_and_b32 s13, s13, exec_lo
                                        ; implicit-def: $vgpr10
	s_or_saveexec_b32 s36, s36
	v_mov_b32_e32 v9, s35
	s_xor_b32 exec_lo, exec_lo, s36
	s_cbranch_execz .LBB6_3828
.LBB6_5251:                             ;   in Loop: Header=BB6_3265 Depth=4
	v_cmp_ne_u16_e32 vcc_lo, 0, v10
	v_mov_b32_e32 v9, 0
	s_and_not1_b32 s13, s13, exec_lo
	s_and_b32 vcc_lo, vcc_lo, exec_lo
	s_delay_alu instid0(SALU_CYCLE_1)
	s_or_b32 s13, s13, vcc_lo
	s_or_b32 exec_lo, exec_lo, s36
	s_and_saveexec_b32 s35, s13
	s_cbranch_execnz .LBB6_3829
	s_branch .LBB6_3830
.LBB6_5252:                             ;   in Loop: Header=BB6_3265 Depth=4
	s_mov_b32 s13, -1
	s_mov_b32 s37, exec_lo
                                        ; implicit-def: $sgpr35
	v_cmpx_eq_u16_e32 0x80, v8
; %bb.5253:                             ;   in Loop: Header=BB6_3265 Depth=4
	s_mov_b32 s35, 0x7f800001
	s_xor_b32 s13, exec_lo, -1
; %bb.5254:                             ;   in Loop: Header=BB6_3265 Depth=4
	s_or_b32 exec_lo, exec_lo, s37
	s_delay_alu instid0(SALU_CYCLE_1)
	s_and_b32 s13, s13, exec_lo
	s_or_saveexec_b32 s36, s36
	v_mov_b32_e32 v9, s35
	s_xor_b32 exec_lo, exec_lo, s36
	s_cbranch_execz .LBB6_3840
.LBB6_5255:                             ;   in Loop: Header=BB6_3265 Depth=4
	v_cmp_ne_u16_e32 vcc_lo, 0, v8
	v_mov_b32_e32 v9, 0
	s_and_not1_b32 s13, s13, exec_lo
	s_and_b32 vcc_lo, vcc_lo, exec_lo
	s_delay_alu instid0(SALU_CYCLE_1)
	s_or_b32 s13, s13, vcc_lo
	s_or_b32 exec_lo, exec_lo, s36
	s_and_saveexec_b32 s35, s13
	s_cbranch_execnz .LBB6_3841
	s_branch .LBB6_3842
.LBB6_5256:                             ;   in Loop: Header=BB6_3265 Depth=4
	s_mov_b32 s13, -1
	s_mov_b32 s37, exec_lo
                                        ; implicit-def: $sgpr35
	v_cmpx_eq_u16_e32 0x80, v13
; %bb.5257:                             ;   in Loop: Header=BB6_3265 Depth=4
	s_mov_b32 s35, 0x7f800001
	s_xor_b32 s13, exec_lo, -1
; %bb.5258:                             ;   in Loop: Header=BB6_3265 Depth=4
	s_or_b32 exec_lo, exec_lo, s37
	s_delay_alu instid0(SALU_CYCLE_1)
	s_and_b32 s13, s13, exec_lo
                                        ; implicit-def: $vgpr13
	s_or_saveexec_b32 s36, s36
	v_mov_b32_e32 v12, s35
	s_xor_b32 exec_lo, exec_lo, s36
	s_cbranch_execz .LBB6_3852
.LBB6_5259:                             ;   in Loop: Header=BB6_3265 Depth=4
	v_cmp_ne_u16_e32 vcc_lo, 0, v13
	v_mov_b32_e32 v12, 0
	s_and_not1_b32 s13, s13, exec_lo
	s_and_b32 vcc_lo, vcc_lo, exec_lo
	s_delay_alu instid0(SALU_CYCLE_1)
	s_or_b32 s13, s13, vcc_lo
	s_or_b32 exec_lo, exec_lo, s36
	s_and_saveexec_b32 s35, s13
	s_cbranch_execnz .LBB6_3853
	s_branch .LBB6_3854
.LBB6_5260:                             ;   in Loop: Header=BB6_3265 Depth=4
	s_mov_b32 s13, -1
	s_mov_b32 s37, exec_lo
                                        ; implicit-def: $sgpr35
	v_cmpx_eq_u16_e32 0x80, v12
; %bb.5261:                             ;   in Loop: Header=BB6_3265 Depth=4
	s_mov_b32 s35, 0x7f800001
	s_xor_b32 s13, exec_lo, -1
; %bb.5262:                             ;   in Loop: Header=BB6_3265 Depth=4
	s_or_b32 exec_lo, exec_lo, s37
	s_delay_alu instid0(SALU_CYCLE_1)
	s_and_b32 s13, s13, exec_lo
	s_or_saveexec_b32 s36, s36
	v_mov_b32_e32 v13, s35
	s_xor_b32 exec_lo, exec_lo, s36
	s_cbranch_execz .LBB6_3864
.LBB6_5263:                             ;   in Loop: Header=BB6_3265 Depth=4
	v_cmp_ne_u16_e32 vcc_lo, 0, v12
	v_mov_b32_e32 v13, 0
	s_and_not1_b32 s13, s13, exec_lo
	s_and_b32 vcc_lo, vcc_lo, exec_lo
	s_delay_alu instid0(SALU_CYCLE_1)
	s_or_b32 s13, s13, vcc_lo
	s_or_b32 exec_lo, exec_lo, s36
	s_and_saveexec_b32 s35, s13
	s_cbranch_execnz .LBB6_3865
	s_branch .LBB6_3866
.LBB6_5264:                             ;   in Loop: Header=BB6_3265 Depth=4
	s_mov_b32 s13, -1
	s_mov_b32 s37, exec_lo
                                        ; implicit-def: $sgpr35
	v_cmpx_eq_u16_e32 0x80, v14
; %bb.5265:                             ;   in Loop: Header=BB6_3265 Depth=4
	s_mov_b32 s35, 0x7f800001
	s_xor_b32 s13, exec_lo, -1
; %bb.5266:                             ;   in Loop: Header=BB6_3265 Depth=4
	s_or_b32 exec_lo, exec_lo, s37
	s_delay_alu instid0(SALU_CYCLE_1)
	s_and_b32 s13, s13, exec_lo
                                        ; implicit-def: $vgpr14
	s_or_saveexec_b32 s36, s36
	v_mov_b32_e32 v13, s35
	s_xor_b32 exec_lo, exec_lo, s36
	s_cbranch_execz .LBB6_3876
.LBB6_5267:                             ;   in Loop: Header=BB6_3265 Depth=4
	v_cmp_ne_u16_e32 vcc_lo, 0, v14
	v_mov_b32_e32 v13, 0
	s_and_not1_b32 s13, s13, exec_lo
	s_and_b32 vcc_lo, vcc_lo, exec_lo
	s_delay_alu instid0(SALU_CYCLE_1)
	s_or_b32 s13, s13, vcc_lo
	s_or_b32 exec_lo, exec_lo, s36
	s_and_saveexec_b32 s35, s13
	s_cbranch_execnz .LBB6_3877
	s_branch .LBB6_3878
.LBB6_5268:                             ;   in Loop: Header=BB6_3265 Depth=4
	s_mov_b32 s13, -1
	s_mov_b32 s37, exec_lo
                                        ; implicit-def: $sgpr35
	v_cmpx_eq_u16_e32 0x80, v12
; %bb.5269:                             ;   in Loop: Header=BB6_3265 Depth=4
	s_mov_b32 s35, 0x7f800001
	s_xor_b32 s13, exec_lo, -1
; %bb.5270:                             ;   in Loop: Header=BB6_3265 Depth=4
	s_or_b32 exec_lo, exec_lo, s37
	s_delay_alu instid0(SALU_CYCLE_1)
	s_and_b32 s13, s13, exec_lo
	s_or_saveexec_b32 s36, s36
	v_mov_b32_e32 v13, s35
	s_xor_b32 exec_lo, exec_lo, s36
	s_cbranch_execz .LBB6_3888
.LBB6_5271:                             ;   in Loop: Header=BB6_3265 Depth=4
	v_cmp_ne_u16_e32 vcc_lo, 0, v12
	v_mov_b32_e32 v13, 0
	s_and_not1_b32 s13, s13, exec_lo
	s_and_b32 vcc_lo, vcc_lo, exec_lo
	s_delay_alu instid0(SALU_CYCLE_1)
	s_or_b32 s13, s13, vcc_lo
	s_or_b32 exec_lo, exec_lo, s36
	s_and_saveexec_b32 s35, s13
	s_cbranch_execnz .LBB6_3889
	s_branch .LBB6_3890
.LBB6_5272:                             ;   in Loop: Header=BB6_3265 Depth=4
	s_mov_b32 s13, -1
	s_mov_b32 s37, exec_lo
                                        ; implicit-def: $sgpr35
	v_cmpx_eq_u16_e32 0x80, v12
; %bb.5273:                             ;   in Loop: Header=BB6_3265 Depth=4
	s_mov_b32 s35, 0x7f800001
	s_xor_b32 s13, exec_lo, -1
; %bb.5274:                             ;   in Loop: Header=BB6_3265 Depth=4
	s_or_b32 exec_lo, exec_lo, s37
	s_delay_alu instid0(SALU_CYCLE_1)
	s_and_b32 s13, s13, exec_lo
                                        ; implicit-def: $vgpr12
	s_or_saveexec_b32 s36, s36
	v_mov_b32_e32 v8, s35
	s_xor_b32 exec_lo, exec_lo, s36
	s_cbranch_execz .LBB6_3900
.LBB6_5275:                             ;   in Loop: Header=BB6_3265 Depth=4
	v_cmp_ne_u16_e32 vcc_lo, 0, v12
	v_mov_b32_e32 v8, 0
	s_and_not1_b32 s13, s13, exec_lo
	s_and_b32 vcc_lo, vcc_lo, exec_lo
	s_delay_alu instid0(SALU_CYCLE_1)
	s_or_b32 s13, s13, vcc_lo
	s_or_b32 exec_lo, exec_lo, s36
	s_and_saveexec_b32 s35, s13
	s_cbranch_execnz .LBB6_3901
	s_branch .LBB6_3902
.LBB6_5276:                             ;   in Loop: Header=BB6_3265 Depth=4
	s_mov_b32 s13, -1
	s_mov_b32 s37, exec_lo
                                        ; implicit-def: $sgpr35
	v_cmpx_eq_u16_e32 0x80, v8
; %bb.5277:                             ;   in Loop: Header=BB6_3265 Depth=4
	s_mov_b32 s35, 0x7f800001
	s_xor_b32 s13, exec_lo, -1
; %bb.5278:                             ;   in Loop: Header=BB6_3265 Depth=4
	s_or_b32 exec_lo, exec_lo, s37
	s_delay_alu instid0(SALU_CYCLE_1)
	s_and_b32 s13, s13, exec_lo
	s_or_saveexec_b32 s36, s36
	v_mov_b32_e32 v12, s35
	s_xor_b32 exec_lo, exec_lo, s36
	s_cbranch_execz .LBB6_3912
.LBB6_5279:                             ;   in Loop: Header=BB6_3265 Depth=4
	v_cmp_ne_u16_e32 vcc_lo, 0, v8
	v_mov_b32_e32 v12, 0
	s_and_not1_b32 s13, s13, exec_lo
	s_and_b32 vcc_lo, vcc_lo, exec_lo
	s_delay_alu instid0(SALU_CYCLE_1)
	s_or_b32 s13, s13, vcc_lo
	s_or_b32 exec_lo, exec_lo, s36
	s_and_saveexec_b32 s35, s13
	s_cbranch_execnz .LBB6_3913
	s_branch .LBB6_3914
.LBB6_5280:                             ;   in Loop: Header=BB6_3265 Depth=4
	s_mov_b32 s13, -1
	s_mov_b32 s37, exec_lo
                                        ; implicit-def: $sgpr35
	v_cmpx_eq_u16_e32 0x80, v13
; %bb.5281:                             ;   in Loop: Header=BB6_3265 Depth=4
	s_mov_b32 s35, 0x7f800001
	s_xor_b32 s13, exec_lo, -1
; %bb.5282:                             ;   in Loop: Header=BB6_3265 Depth=4
	s_or_b32 exec_lo, exec_lo, s37
	s_delay_alu instid0(SALU_CYCLE_1)
	s_and_b32 s13, s13, exec_lo
                                        ; implicit-def: $vgpr13
	s_or_saveexec_b32 s36, s36
	v_mov_b32_e32 v12, s35
	s_xor_b32 exec_lo, exec_lo, s36
	s_cbranch_execz .LBB6_3924
.LBB6_5283:                             ;   in Loop: Header=BB6_3265 Depth=4
	v_cmp_ne_u16_e32 vcc_lo, 0, v13
	v_mov_b32_e32 v12, 0
	s_and_not1_b32 s13, s13, exec_lo
	s_and_b32 vcc_lo, vcc_lo, exec_lo
	s_delay_alu instid0(SALU_CYCLE_1)
	s_or_b32 s13, s13, vcc_lo
	s_or_b32 exec_lo, exec_lo, s36
	s_and_saveexec_b32 s35, s13
	s_cbranch_execnz .LBB6_3925
	s_branch .LBB6_3926
.LBB6_5284:                             ;   in Loop: Header=BB6_3265 Depth=4
	s_mov_b32 s13, -1
	s_mov_b32 s37, exec_lo
                                        ; implicit-def: $sgpr35
	v_cmpx_eq_u16_e32 0x80, v8
; %bb.5285:                             ;   in Loop: Header=BB6_3265 Depth=4
	s_mov_b32 s35, 0x7f800001
	s_xor_b32 s13, exec_lo, -1
; %bb.5286:                             ;   in Loop: Header=BB6_3265 Depth=4
	s_or_b32 exec_lo, exec_lo, s37
	s_delay_alu instid0(SALU_CYCLE_1)
	s_and_b32 s13, s13, exec_lo
	s_or_saveexec_b32 s36, s36
	v_mov_b32_e32 v12, s35
	s_xor_b32 exec_lo, exec_lo, s36
	s_cbranch_execz .LBB6_3936
.LBB6_5287:                             ;   in Loop: Header=BB6_3265 Depth=4
	v_cmp_ne_u16_e32 vcc_lo, 0, v8
	v_mov_b32_e32 v12, 0
	s_and_not1_b32 s13, s13, exec_lo
	s_and_b32 vcc_lo, vcc_lo, exec_lo
	s_delay_alu instid0(SALU_CYCLE_1)
	s_or_b32 s13, s13, vcc_lo
	s_or_b32 exec_lo, exec_lo, s36
	s_and_saveexec_b32 s35, s13
	s_cbranch_execnz .LBB6_3937
	s_branch .LBB6_3938
.LBB6_5288:                             ;   in Loop: Header=BB6_3265 Depth=4
	s_mov_b32 s13, -1
	s_mov_b32 s37, exec_lo
                                        ; implicit-def: $sgpr35
	v_cmpx_eq_u16_e32 0x80, v9
; %bb.5289:                             ;   in Loop: Header=BB6_3265 Depth=4
	s_mov_b32 s35, 0x7f800001
	s_xor_b32 s13, exec_lo, -1
; %bb.5290:                             ;   in Loop: Header=BB6_3265 Depth=4
	s_or_b32 exec_lo, exec_lo, s37
	s_delay_alu instid0(SALU_CYCLE_1)
	s_and_b32 s13, s13, exec_lo
                                        ; implicit-def: $vgpr9
	s_or_saveexec_b32 s36, s36
	v_mov_b32_e32 v8, s35
	s_xor_b32 exec_lo, exec_lo, s36
	s_cbranch_execz .LBB6_3948
.LBB6_5291:                             ;   in Loop: Header=BB6_3265 Depth=4
	v_cmp_ne_u16_e32 vcc_lo, 0, v9
	v_mov_b32_e32 v8, 0
	s_and_not1_b32 s13, s13, exec_lo
	s_and_b32 vcc_lo, vcc_lo, exec_lo
	s_delay_alu instid0(SALU_CYCLE_1)
	s_or_b32 s13, s13, vcc_lo
	s_or_b32 exec_lo, exec_lo, s36
	s_and_saveexec_b32 s35, s13
	s_cbranch_execnz .LBB6_3949
	s_branch .LBB6_3950
.LBB6_5292:                             ;   in Loop: Header=BB6_3265 Depth=4
	s_mov_b32 s13, -1
	s_mov_b32 s37, exec_lo
                                        ; implicit-def: $sgpr35
	v_cmpx_eq_u16_e32 0x80, v8
; %bb.5293:                             ;   in Loop: Header=BB6_3265 Depth=4
	s_mov_b32 s35, 0x7f800001
	s_xor_b32 s13, exec_lo, -1
; %bb.5294:                             ;   in Loop: Header=BB6_3265 Depth=4
	s_or_b32 exec_lo, exec_lo, s37
	s_delay_alu instid0(SALU_CYCLE_1)
	s_and_b32 s13, s13, exec_lo
	s_or_saveexec_b32 s36, s36
	v_mov_b32_e32 v9, s35
	s_xor_b32 exec_lo, exec_lo, s36
	s_cbranch_execz .LBB6_3960
.LBB6_5295:                             ;   in Loop: Header=BB6_3265 Depth=4
	v_cmp_ne_u16_e32 vcc_lo, 0, v8
	v_mov_b32_e32 v9, 0
	s_and_not1_b32 s13, s13, exec_lo
	s_and_b32 vcc_lo, vcc_lo, exec_lo
	s_delay_alu instid0(SALU_CYCLE_1)
	s_or_b32 s13, s13, vcc_lo
	s_or_b32 exec_lo, exec_lo, s36
	s_and_saveexec_b32 s35, s13
	s_cbranch_execnz .LBB6_3961
	s_branch .LBB6_3962
.LBB6_5296:                             ;   in Loop: Header=BB6_3265 Depth=4
	s_mov_b32 s13, -1
	s_mov_b32 s37, exec_lo
                                        ; implicit-def: $sgpr35
	v_cmpx_eq_u16_e32 0x80, v12
; %bb.5297:                             ;   in Loop: Header=BB6_3265 Depth=4
	s_mov_b32 s35, 0x7f800001
	s_xor_b32 s13, exec_lo, -1
; %bb.5298:                             ;   in Loop: Header=BB6_3265 Depth=4
	s_or_b32 exec_lo, exec_lo, s37
	s_delay_alu instid0(SALU_CYCLE_1)
	s_and_b32 s13, s13, exec_lo
                                        ; implicit-def: $vgpr12
	s_or_saveexec_b32 s36, s36
	v_mov_b32_e32 v9, s35
	s_xor_b32 exec_lo, exec_lo, s36
	s_cbranch_execz .LBB6_3972
.LBB6_5299:                             ;   in Loop: Header=BB6_3265 Depth=4
	v_cmp_ne_u16_e32 vcc_lo, 0, v12
	v_mov_b32_e32 v9, 0
	s_and_not1_b32 s13, s13, exec_lo
	s_and_b32 vcc_lo, vcc_lo, exec_lo
	s_delay_alu instid0(SALU_CYCLE_1)
	s_or_b32 s13, s13, vcc_lo
	s_or_b32 exec_lo, exec_lo, s36
	s_and_saveexec_b32 s35, s13
	s_cbranch_execnz .LBB6_3973
	s_branch .LBB6_3974
.LBB6_5300:                             ;   in Loop: Header=BB6_3265 Depth=4
	s_mov_b32 s13, -1
	s_mov_b32 s37, exec_lo
                                        ; implicit-def: $sgpr35
	v_cmpx_eq_u16_e32 0x80, v8
; %bb.5301:                             ;   in Loop: Header=BB6_3265 Depth=4
	s_mov_b32 s35, 0x7f800001
	s_xor_b32 s13, exec_lo, -1
; %bb.5302:                             ;   in Loop: Header=BB6_3265 Depth=4
	s_or_b32 exec_lo, exec_lo, s37
	s_delay_alu instid0(SALU_CYCLE_1)
	s_and_b32 s13, s13, exec_lo
	s_or_saveexec_b32 s36, s36
	v_mov_b32_e32 v9, s35
	s_xor_b32 exec_lo, exec_lo, s36
	s_cbranch_execz .LBB6_3984
.LBB6_5303:                             ;   in Loop: Header=BB6_3265 Depth=4
	v_cmp_ne_u16_e32 vcc_lo, 0, v8
	v_mov_b32_e32 v9, 0
	s_and_not1_b32 s13, s13, exec_lo
	s_and_b32 vcc_lo, vcc_lo, exec_lo
	s_delay_alu instid0(SALU_CYCLE_1)
	s_or_b32 s13, s13, vcc_lo
	s_or_b32 exec_lo, exec_lo, s36
	s_and_saveexec_b32 s35, s13
	s_cbranch_execnz .LBB6_3985
	s_branch .LBB6_3986
.LBB6_5304:                             ;   in Loop: Header=BB6_3265 Depth=4
	s_mov_b32 s13, -1
	s_mov_b32 s37, exec_lo
                                        ; implicit-def: $sgpr35
	v_cmpx_eq_u16_e32 0x80, v9
; %bb.5305:                             ;   in Loop: Header=BB6_3265 Depth=4
	s_mov_b32 s35, 0x7f800001
	s_xor_b32 s13, exec_lo, -1
; %bb.5306:                             ;   in Loop: Header=BB6_3265 Depth=4
	s_or_b32 exec_lo, exec_lo, s37
	s_delay_alu instid0(SALU_CYCLE_1)
	s_and_b32 s13, s13, exec_lo
                                        ; implicit-def: $vgpr9
	s_or_saveexec_b32 s36, s36
	v_mov_b32_e32 v8, s35
	s_xor_b32 exec_lo, exec_lo, s36
	s_cbranch_execz .LBB6_3996
.LBB6_5307:                             ;   in Loop: Header=BB6_3265 Depth=4
	v_cmp_ne_u16_e32 vcc_lo, 0, v9
	v_mov_b32_e32 v8, 0
	s_and_not1_b32 s13, s13, exec_lo
	s_and_b32 vcc_lo, vcc_lo, exec_lo
	s_delay_alu instid0(SALU_CYCLE_1)
	s_or_b32 s13, s13, vcc_lo
	s_or_b32 exec_lo, exec_lo, s36
	s_and_saveexec_b32 s35, s13
	s_cbranch_execnz .LBB6_3997
	s_branch .LBB6_3998
.LBB6_5308:                             ;   in Loop: Header=BB6_3265 Depth=4
	s_mov_b32 s13, -1
	s_mov_b32 s37, exec_lo
                                        ; implicit-def: $sgpr35
	v_cmpx_eq_u16_e32 0x80, v8
; %bb.5309:                             ;   in Loop: Header=BB6_3265 Depth=4
	s_mov_b32 s35, 0x7f800001
	s_xor_b32 s13, exec_lo, -1
; %bb.5310:                             ;   in Loop: Header=BB6_3265 Depth=4
	s_or_b32 exec_lo, exec_lo, s37
	s_delay_alu instid0(SALU_CYCLE_1)
	s_and_b32 s13, s13, exec_lo
	s_or_saveexec_b32 s36, s36
	v_mov_b32_e32 v9, s35
	s_xor_b32 exec_lo, exec_lo, s36
	s_cbranch_execz .LBB6_4008
.LBB6_5311:                             ;   in Loop: Header=BB6_3265 Depth=4
	v_cmp_ne_u16_e32 vcc_lo, 0, v8
	v_mov_b32_e32 v9, 0
	s_and_not1_b32 s13, s13, exec_lo
	s_and_b32 vcc_lo, vcc_lo, exec_lo
	s_delay_alu instid0(SALU_CYCLE_1)
	s_or_b32 s13, s13, vcc_lo
	s_or_b32 exec_lo, exec_lo, s36
	s_and_saveexec_b32 s35, s13
	s_cbranch_execnz .LBB6_4009
	s_branch .LBB6_4010
.LBB6_5312:                             ;   in Loop: Header=BB6_3265 Depth=4
	s_mov_b32 s13, -1
	s_mov_b32 s37, exec_lo
                                        ; implicit-def: $sgpr35
	v_cmpx_eq_u16_e32 0x80, v10
; %bb.5313:                             ;   in Loop: Header=BB6_3265 Depth=4
	s_mov_b32 s35, 0x7f800001
	s_xor_b32 s13, exec_lo, -1
; %bb.5314:                             ;   in Loop: Header=BB6_3265 Depth=4
	s_or_b32 exec_lo, exec_lo, s37
	s_delay_alu instid0(SALU_CYCLE_1)
	s_and_b32 s13, s13, exec_lo
                                        ; implicit-def: $vgpr10
	s_or_saveexec_b32 s36, s36
	v_mov_b32_e32 v9, s35
	s_xor_b32 exec_lo, exec_lo, s36
	s_cbranch_execz .LBB6_4020
.LBB6_5315:                             ;   in Loop: Header=BB6_3265 Depth=4
	v_cmp_ne_u16_e32 vcc_lo, 0, v10
	v_mov_b32_e32 v9, 0
	s_and_not1_b32 s13, s13, exec_lo
	s_and_b32 vcc_lo, vcc_lo, exec_lo
	s_delay_alu instid0(SALU_CYCLE_1)
	s_or_b32 s13, s13, vcc_lo
	s_or_b32 exec_lo, exec_lo, s36
	s_and_saveexec_b32 s35, s13
	s_cbranch_execnz .LBB6_4021
	s_branch .LBB6_4022
.LBB6_5316:                             ;   in Loop: Header=BB6_3265 Depth=4
	s_mov_b32 s13, -1
	s_mov_b32 s37, exec_lo
                                        ; implicit-def: $sgpr35
	v_cmpx_eq_u16_e32 0x80, v8
; %bb.5317:                             ;   in Loop: Header=BB6_3265 Depth=4
	s_mov_b32 s35, 0x7f800001
	s_xor_b32 s13, exec_lo, -1
; %bb.5318:                             ;   in Loop: Header=BB6_3265 Depth=4
	s_or_b32 exec_lo, exec_lo, s37
	s_delay_alu instid0(SALU_CYCLE_1)
	s_and_b32 s13, s13, exec_lo
	s_or_saveexec_b32 s36, s36
	v_mov_b32_e32 v9, s35
	s_xor_b32 exec_lo, exec_lo, s36
	s_cbranch_execz .LBB6_4032
.LBB6_5319:                             ;   in Loop: Header=BB6_3265 Depth=4
	v_cmp_ne_u16_e32 vcc_lo, 0, v8
	v_mov_b32_e32 v9, 0
	s_and_not1_b32 s13, s13, exec_lo
	s_and_b32 vcc_lo, vcc_lo, exec_lo
	s_delay_alu instid0(SALU_CYCLE_1)
	s_or_b32 s13, s13, vcc_lo
	s_or_b32 exec_lo, exec_lo, s36
	s_and_saveexec_b32 s35, s13
	s_cbranch_execnz .LBB6_4033
	s_branch .LBB6_4034
.LBB6_5320:                             ;   in Loop: Header=BB6_3265 Depth=4
	s_mov_b32 s13, -1
	s_mov_b32 s36, exec_lo
                                        ; implicit-def: $sgpr34
	v_cmpx_eq_u16_e32 0x80, v27
; %bb.5321:                             ;   in Loop: Header=BB6_3265 Depth=4
	s_mov_b32 s34, 0x7f800001
	s_xor_b32 s13, exec_lo, -1
; %bb.5322:                             ;   in Loop: Header=BB6_3265 Depth=4
	s_or_b32 exec_lo, exec_lo, s36
	s_delay_alu instid0(SALU_CYCLE_1)
	s_and_b32 s13, s13, exec_lo
                                        ; implicit-def: $vgpr27
	s_or_saveexec_b32 s35, s35
	v_mov_b32_e32 v26, s34
	s_xor_b32 exec_lo, exec_lo, s35
	s_cbranch_execz .LBB6_4044
.LBB6_5323:                             ;   in Loop: Header=BB6_3265 Depth=4
	v_cmp_ne_u16_e32 vcc_lo, 0, v27
	v_mov_b32_e32 v26, 0
	s_and_not1_b32 s13, s13, exec_lo
	s_and_b32 vcc_lo, vcc_lo, exec_lo
	s_delay_alu instid0(SALU_CYCLE_1)
	s_or_b32 s13, s13, vcc_lo
	s_or_b32 exec_lo, exec_lo, s35
	s_and_saveexec_b32 s34, s13
	s_cbranch_execnz .LBB6_4045
	s_branch .LBB6_4046
.LBB6_5324:                             ;   in Loop: Header=BB6_3265 Depth=4
	s_mov_b32 s13, -1
	s_mov_b32 s36, exec_lo
                                        ; implicit-def: $sgpr34
	v_cmpx_eq_u16_e32 0x80, v36
; %bb.5325:                             ;   in Loop: Header=BB6_3265 Depth=4
	s_mov_b32 s34, 0x7f800001
	s_xor_b32 s13, exec_lo, -1
; %bb.5326:                             ;   in Loop: Header=BB6_3265 Depth=4
	s_or_b32 exec_lo, exec_lo, s36
	s_delay_alu instid0(SALU_CYCLE_1)
	s_and_b32 s13, s13, exec_lo
                                        ; implicit-def: $vgpr36
	s_or_saveexec_b32 s35, s35
	v_mov_b32_e32 v27, s34
	s_xor_b32 exec_lo, exec_lo, s35
	s_cbranch_execz .LBB6_4048
.LBB6_5327:                             ;   in Loop: Header=BB6_3265 Depth=4
	v_cmp_ne_u16_e32 vcc_lo, 0, v36
	v_mov_b32_e32 v27, 0
	s_and_not1_b32 s13, s13, exec_lo
	s_and_b32 vcc_lo, vcc_lo, exec_lo
	s_delay_alu instid0(SALU_CYCLE_1)
	s_or_b32 s13, s13, vcc_lo
	s_or_b32 exec_lo, exec_lo, s35
	s_and_saveexec_b32 s34, s13
	s_cbranch_execnz .LBB6_4049
	s_branch .LBB6_4050
.LBB6_5328:                             ;   in Loop: Header=BB6_3265 Depth=4
	s_mov_b32 s13, -1
	s_mov_b32 s36, exec_lo
                                        ; implicit-def: $sgpr34
	v_cmpx_eq_u16_e32 0x80, v27
; %bb.5329:                             ;   in Loop: Header=BB6_3265 Depth=4
	s_mov_b32 s34, 0x7f800001
	s_xor_b32 s13, exec_lo, -1
; %bb.5330:                             ;   in Loop: Header=BB6_3265 Depth=4
	s_or_b32 exec_lo, exec_lo, s36
	s_delay_alu instid0(SALU_CYCLE_1)
	s_and_b32 s13, s13, exec_lo
                                        ; implicit-def: $vgpr27
	s_or_saveexec_b32 s35, s35
	v_mov_b32_e32 v26, s34
	s_xor_b32 exec_lo, exec_lo, s35
	s_cbranch_execz .LBB6_4060
.LBB6_5331:                             ;   in Loop: Header=BB6_3265 Depth=4
	v_cmp_ne_u16_e32 vcc_lo, 0, v27
	v_mov_b32_e32 v26, 0
	s_and_not1_b32 s13, s13, exec_lo
	s_and_b32 vcc_lo, vcc_lo, exec_lo
	s_delay_alu instid0(SALU_CYCLE_1)
	s_or_b32 s13, s13, vcc_lo
	s_or_b32 exec_lo, exec_lo, s35
	s_and_saveexec_b32 s34, s13
	s_cbranch_execnz .LBB6_4061
	s_branch .LBB6_4062
.LBB6_5332:                             ;   in Loop: Header=BB6_3265 Depth=4
	s_mov_b32 s13, -1
	s_mov_b32 s36, exec_lo
                                        ; implicit-def: $sgpr34
	v_cmpx_eq_u16_e32 0x80, v27
; %bb.5333:                             ;   in Loop: Header=BB6_3265 Depth=4
	s_mov_b32 s34, 0x7f800001
	s_xor_b32 s13, exec_lo, -1
; %bb.5334:                             ;   in Loop: Header=BB6_3265 Depth=4
	s_or_b32 exec_lo, exec_lo, s36
	s_delay_alu instid0(SALU_CYCLE_1)
	s_and_b32 s13, s13, exec_lo
	s_or_saveexec_b32 s35, s35
	v_mov_b32_e32 v36, s34
	s_xor_b32 exec_lo, exec_lo, s35
	s_cbranch_execz .LBB6_4064
.LBB6_5335:                             ;   in Loop: Header=BB6_3265 Depth=4
	v_cmp_ne_u16_e32 vcc_lo, 0, v27
	v_mov_b32_e32 v36, 0
	s_and_not1_b32 s13, s13, exec_lo
	s_and_b32 vcc_lo, vcc_lo, exec_lo
	s_delay_alu instid0(SALU_CYCLE_1)
	s_or_b32 s13, s13, vcc_lo
	s_or_b32 exec_lo, exec_lo, s35
	s_and_saveexec_b32 s34, s13
	s_cbranch_execnz .LBB6_4065
	s_branch .LBB6_4066
.LBB6_5336:                             ;   in Loop: Header=BB6_3265 Depth=4
	s_mov_b32 s13, -1
	s_mov_b32 s36, exec_lo
                                        ; implicit-def: $sgpr34
	v_cmpx_eq_u16_e32 0x80, v27
; %bb.5337:                             ;   in Loop: Header=BB6_3265 Depth=4
	s_mov_b32 s34, 0x7f800001
	s_xor_b32 s13, exec_lo, -1
; %bb.5338:                             ;   in Loop: Header=BB6_3265 Depth=4
	s_or_b32 exec_lo, exec_lo, s36
	s_delay_alu instid0(SALU_CYCLE_1)
	s_and_b32 s13, s13, exec_lo
                                        ; implicit-def: $vgpr27
	s_or_saveexec_b32 s35, s35
	v_mov_b32_e32 v26, s34
	s_xor_b32 exec_lo, exec_lo, s35
	s_cbranch_execz .LBB6_4076
.LBB6_5339:                             ;   in Loop: Header=BB6_3265 Depth=4
	v_cmp_ne_u16_e32 vcc_lo, 0, v27
	v_mov_b32_e32 v26, 0
	s_and_not1_b32 s13, s13, exec_lo
	s_and_b32 vcc_lo, vcc_lo, exec_lo
	s_delay_alu instid0(SALU_CYCLE_1)
	s_or_b32 s13, s13, vcc_lo
	s_or_b32 exec_lo, exec_lo, s35
	s_and_saveexec_b32 s34, s13
	s_cbranch_execnz .LBB6_4077
	s_branch .LBB6_4078
.LBB6_5340:                             ;   in Loop: Header=BB6_3265 Depth=4
	s_mov_b32 s13, -1
	s_mov_b32 s36, exec_lo
                                        ; implicit-def: $sgpr34
	v_cmpx_eq_u16_e32 0x80, v37
; %bb.5341:                             ;   in Loop: Header=BB6_3265 Depth=4
	s_mov_b32 s34, 0x7f800001
	s_xor_b32 s13, exec_lo, -1
; %bb.5342:                             ;   in Loop: Header=BB6_3265 Depth=4
	s_or_b32 exec_lo, exec_lo, s36
	s_delay_alu instid0(SALU_CYCLE_1)
	s_and_b32 s13, s13, exec_lo
                                        ; implicit-def: $vgpr37
	s_or_saveexec_b32 s35, s35
	v_mov_b32_e32 v36, s34
	s_xor_b32 exec_lo, exec_lo, s35
	s_cbranch_execz .LBB6_4080
.LBB6_5343:                             ;   in Loop: Header=BB6_3265 Depth=4
	v_cmp_ne_u16_e32 vcc_lo, 0, v37
	v_mov_b32_e32 v36, 0
	s_and_not1_b32 s13, s13, exec_lo
	s_and_b32 vcc_lo, vcc_lo, exec_lo
	s_delay_alu instid0(SALU_CYCLE_1)
	s_or_b32 s13, s13, vcc_lo
	s_or_b32 exec_lo, exec_lo, s35
	s_and_saveexec_b32 s34, s13
	s_cbranch_execnz .LBB6_4081
	s_branch .LBB6_4082
.LBB6_5344:                             ;   in Loop: Header=BB6_3265 Depth=4
	s_mov_b32 s13, -1
	s_mov_b32 s36, exec_lo
                                        ; implicit-def: $sgpr34
	v_cmpx_eq_u16_e32 0x80, v27
; %bb.5345:                             ;   in Loop: Header=BB6_3265 Depth=4
	s_mov_b32 s34, 0x7f800001
	s_xor_b32 s13, exec_lo, -1
; %bb.5346:                             ;   in Loop: Header=BB6_3265 Depth=4
	s_or_b32 exec_lo, exec_lo, s36
	s_delay_alu instid0(SALU_CYCLE_1)
	s_and_b32 s13, s13, exec_lo
	s_or_saveexec_b32 s35, s35
	v_mov_b32_e32 v26, s34
	s_xor_b32 exec_lo, exec_lo, s35
	s_cbranch_execz .LBB6_4092
.LBB6_5347:                             ;   in Loop: Header=BB6_3265 Depth=4
	v_cmp_ne_u16_e32 vcc_lo, 0, v27
	v_mov_b32_e32 v26, 0
	s_and_not1_b32 s13, s13, exec_lo
	s_and_b32 vcc_lo, vcc_lo, exec_lo
	s_delay_alu instid0(SALU_CYCLE_1)
	s_or_b32 s13, s13, vcc_lo
	s_or_b32 exec_lo, exec_lo, s35
	s_and_saveexec_b32 s34, s13
	s_cbranch_execnz .LBB6_4093
	s_branch .LBB6_4094
.LBB6_5348:                             ;   in Loop: Header=BB6_3265 Depth=4
	s_mov_b32 s13, -1
	s_mov_b32 s36, exec_lo
                                        ; implicit-def: $sgpr34
	v_cmpx_eq_u16_e32 0x80, v27
; %bb.5349:                             ;   in Loop: Header=BB6_3265 Depth=4
	s_mov_b32 s34, 0x7f800001
	s_xor_b32 s13, exec_lo, -1
; %bb.5350:                             ;   in Loop: Header=BB6_3265 Depth=4
	s_or_b32 exec_lo, exec_lo, s36
	s_delay_alu instid0(SALU_CYCLE_1)
	s_and_b32 s13, s13, exec_lo
	s_or_saveexec_b32 s35, s35
	v_mov_b32_e32 v36, s34
	s_xor_b32 exec_lo, exec_lo, s35
	s_cbranch_execz .LBB6_4096
.LBB6_5351:                             ;   in Loop: Header=BB6_3265 Depth=4
	v_cmp_ne_u16_e32 vcc_lo, 0, v27
	v_mov_b32_e32 v36, 0
	s_and_not1_b32 s13, s13, exec_lo
	s_and_b32 vcc_lo, vcc_lo, exec_lo
	s_delay_alu instid0(SALU_CYCLE_1)
	s_or_b32 s13, s13, vcc_lo
	s_or_b32 exec_lo, exec_lo, s35
	s_and_saveexec_b32 s34, s13
	s_cbranch_execnz .LBB6_4097
	s_branch .LBB6_4098
.LBB6_5352:                             ;   in Loop: Header=BB6_3265 Depth=4
	s_mov_b32 s13, -1
	s_mov_b32 s36, exec_lo
                                        ; implicit-def: $sgpr34
	v_cmpx_eq_u16_e32 0x80, v36
; %bb.5353:                             ;   in Loop: Header=BB6_3265 Depth=4
	s_mov_b32 s34, 0x7f800001
	s_xor_b32 s13, exec_lo, -1
; %bb.5354:                             ;   in Loop: Header=BB6_3265 Depth=4
	s_or_b32 exec_lo, exec_lo, s36
	s_delay_alu instid0(SALU_CYCLE_1)
	s_and_b32 s13, s13, exec_lo
                                        ; implicit-def: $vgpr36
	s_or_saveexec_b32 s35, s35
	v_mov_b32_e32 v27, s34
	s_xor_b32 exec_lo, exec_lo, s35
	s_cbranch_execz .LBB6_4108
.LBB6_5355:                             ;   in Loop: Header=BB6_3265 Depth=4
	v_cmp_ne_u16_e32 vcc_lo, 0, v36
	v_mov_b32_e32 v27, 0
	s_and_not1_b32 s13, s13, exec_lo
	s_and_b32 vcc_lo, vcc_lo, exec_lo
	s_delay_alu instid0(SALU_CYCLE_1)
	s_or_b32 s13, s13, vcc_lo
	s_or_b32 exec_lo, exec_lo, s35
	s_and_saveexec_b32 s34, s13
	s_cbranch_execnz .LBB6_4109
	s_branch .LBB6_4110
.LBB6_5356:                             ;   in Loop: Header=BB6_3265 Depth=4
	s_mov_b32 s13, -1
	s_mov_b32 s36, exec_lo
                                        ; implicit-def: $sgpr34
	v_cmpx_eq_u16_e32 0x80, v37
; %bb.5357:                             ;   in Loop: Header=BB6_3265 Depth=4
	s_mov_b32 s34, 0x7f800001
	s_xor_b32 s13, exec_lo, -1
; %bb.5358:                             ;   in Loop: Header=BB6_3265 Depth=4
	s_or_b32 exec_lo, exec_lo, s36
	s_delay_alu instid0(SALU_CYCLE_1)
	s_and_b32 s13, s13, exec_lo
                                        ; implicit-def: $vgpr37
	s_or_saveexec_b32 s35, s35
	v_mov_b32_e32 v36, s34
	s_xor_b32 exec_lo, exec_lo, s35
	s_cbranch_execz .LBB6_4112
.LBB6_5359:                             ;   in Loop: Header=BB6_3265 Depth=4
	v_cmp_ne_u16_e32 vcc_lo, 0, v37
	v_mov_b32_e32 v36, 0
	s_and_not1_b32 s13, s13, exec_lo
	s_and_b32 vcc_lo, vcc_lo, exec_lo
	s_delay_alu instid0(SALU_CYCLE_1)
	s_or_b32 s13, s13, vcc_lo
	s_or_b32 exec_lo, exec_lo, s35
	s_and_saveexec_b32 s34, s13
	s_cbranch_execnz .LBB6_4113
	s_branch .LBB6_4114
.LBB6_5360:                             ;   in Loop: Header=BB6_3265 Depth=4
	s_mov_b32 s13, -1
	s_mov_b32 s36, exec_lo
                                        ; implicit-def: $sgpr34
	v_cmpx_eq_u16_e32 0x80, v36
; %bb.5361:                             ;   in Loop: Header=BB6_3265 Depth=4
	s_mov_b32 s34, 0x7f800001
	s_xor_b32 s13, exec_lo, -1
; %bb.5362:                             ;   in Loop: Header=BB6_3265 Depth=4
	s_or_b32 exec_lo, exec_lo, s36
	s_delay_alu instid0(SALU_CYCLE_1)
	s_and_b32 s13, s13, exec_lo
	s_or_saveexec_b32 s35, s35
	v_mov_b32_e32 v27, s34
	s_xor_b32 exec_lo, exec_lo, s35
	s_cbranch_execz .LBB6_4124
.LBB6_5363:                             ;   in Loop: Header=BB6_3265 Depth=4
	v_cmp_ne_u16_e32 vcc_lo, 0, v36
	v_mov_b32_e32 v27, 0
	s_and_not1_b32 s13, s13, exec_lo
	s_and_b32 vcc_lo, vcc_lo, exec_lo
	s_delay_alu instid0(SALU_CYCLE_1)
	s_or_b32 s13, s13, vcc_lo
	s_or_b32 exec_lo, exec_lo, s35
	s_and_saveexec_b32 s34, s13
	s_cbranch_execnz .LBB6_4125
	s_branch .LBB6_4126
.LBB6_5364:                             ;   in Loop: Header=BB6_3265 Depth=4
	s_mov_b32 s13, -1
	s_mov_b32 s36, exec_lo
                                        ; implicit-def: $sgpr34
	v_cmpx_eq_u16_e32 0x80, v36
; %bb.5365:                             ;   in Loop: Header=BB6_3265 Depth=4
	s_mov_b32 s34, 0x7f800001
	s_xor_b32 s13, exec_lo, -1
; %bb.5366:                             ;   in Loop: Header=BB6_3265 Depth=4
	s_or_b32 exec_lo, exec_lo, s36
	s_delay_alu instid0(SALU_CYCLE_1)
	s_and_b32 s13, s13, exec_lo
	s_or_saveexec_b32 s35, s35
	v_mov_b32_e32 v37, s34
	s_xor_b32 exec_lo, exec_lo, s35
	s_cbranch_execz .LBB6_4128
.LBB6_5367:                             ;   in Loop: Header=BB6_3265 Depth=4
	v_cmp_ne_u16_e32 vcc_lo, 0, v36
	v_mov_b32_e32 v37, 0
	s_and_not1_b32 s13, s13, exec_lo
	s_and_b32 vcc_lo, vcc_lo, exec_lo
	s_delay_alu instid0(SALU_CYCLE_1)
	s_or_b32 s13, s13, vcc_lo
	s_or_b32 exec_lo, exec_lo, s35
	s_and_saveexec_b32 s34, s13
	s_cbranch_execnz .LBB6_4129
	s_branch .LBB6_4130
.LBB6_5368:                             ;   in Loop: Header=BB6_3265 Depth=4
	s_mov_b32 s13, -1
	s_mov_b32 s36, exec_lo
                                        ; implicit-def: $sgpr34
	v_cmpx_eq_u16_e32 0x80, v37
; %bb.5369:                             ;   in Loop: Header=BB6_3265 Depth=4
	s_mov_b32 s34, 0x7f800001
	s_xor_b32 s13, exec_lo, -1
; %bb.5370:                             ;   in Loop: Header=BB6_3265 Depth=4
	s_or_b32 exec_lo, exec_lo, s36
	s_delay_alu instid0(SALU_CYCLE_1)
	s_and_b32 s13, s13, exec_lo
                                        ; implicit-def: $vgpr37
	s_or_saveexec_b32 s35, s35
	v_mov_b32_e32 v27, s34
	s_xor_b32 exec_lo, exec_lo, s35
	s_cbranch_execz .LBB6_4140
.LBB6_5371:                             ;   in Loop: Header=BB6_3265 Depth=4
	v_cmp_ne_u16_e32 vcc_lo, 0, v37
	v_mov_b32_e32 v27, 0
	s_and_not1_b32 s13, s13, exec_lo
	s_and_b32 vcc_lo, vcc_lo, exec_lo
	s_delay_alu instid0(SALU_CYCLE_1)
	s_or_b32 s13, s13, vcc_lo
	s_or_b32 exec_lo, exec_lo, s35
	v_lshl_or_b32 v26, v36, 16, v26
	s_and_saveexec_b32 s34, s13
	s_cbranch_execnz .LBB6_4141
	s_branch .LBB6_4142
.LBB6_5372:                             ;   in Loop: Header=BB6_3265 Depth=4
	s_mov_b32 s13, -1
	s_mov_b32 s36, exec_lo
                                        ; implicit-def: $sgpr34
	v_cmpx_eq_u16_e32 0x80, v38
; %bb.5373:                             ;   in Loop: Header=BB6_3265 Depth=4
	s_mov_b32 s34, 0x7f800001
	s_xor_b32 s13, exec_lo, -1
; %bb.5374:                             ;   in Loop: Header=BB6_3265 Depth=4
	s_or_b32 exec_lo, exec_lo, s36
	s_delay_alu instid0(SALU_CYCLE_1)
	s_and_b32 s13, s13, exec_lo
                                        ; implicit-def: $vgpr38
	s_or_saveexec_b32 s35, s35
	v_mov_b32_e32 v37, s34
	s_xor_b32 exec_lo, exec_lo, s35
	s_cbranch_execz .LBB6_4144
.LBB6_5375:                             ;   in Loop: Header=BB6_3265 Depth=4
	v_cmp_ne_u16_e32 vcc_lo, 0, v38
	v_mov_b32_e32 v37, 0
	s_and_not1_b32 s13, s13, exec_lo
	s_and_b32 vcc_lo, vcc_lo, exec_lo
	s_delay_alu instid0(SALU_CYCLE_1)
	s_or_b32 s13, s13, vcc_lo
	s_or_b32 exec_lo, exec_lo, s35
	s_and_saveexec_b32 s34, s13
	s_cbranch_execnz .LBB6_4145
	s_branch .LBB6_4146
.LBB6_5376:                             ;   in Loop: Header=BB6_3265 Depth=4
	s_mov_b32 s13, -1
	s_mov_b32 s36, exec_lo
                                        ; implicit-def: $sgpr34
	v_cmpx_eq_u16_e32 0x80, v36
; %bb.5377:                             ;   in Loop: Header=BB6_3265 Depth=4
	s_mov_b32 s34, 0x7f800001
	s_xor_b32 s13, exec_lo, -1
; %bb.5378:                             ;   in Loop: Header=BB6_3265 Depth=4
	s_or_b32 exec_lo, exec_lo, s36
	s_delay_alu instid0(SALU_CYCLE_1)
	s_and_b32 s13, s13, exec_lo
	s_or_saveexec_b32 s35, s35
	v_mov_b32_e32 v27, s34
	s_xor_b32 exec_lo, exec_lo, s35
	s_cbranch_execz .LBB6_4156
.LBB6_5379:                             ;   in Loop: Header=BB6_3265 Depth=4
	v_cmp_ne_u16_e32 vcc_lo, 0, v36
	v_mov_b32_e32 v27, 0
	s_and_not1_b32 s13, s13, exec_lo
	s_and_b32 vcc_lo, vcc_lo, exec_lo
	s_delay_alu instid0(SALU_CYCLE_1)
	s_or_b32 s13, s13, vcc_lo
	s_or_b32 exec_lo, exec_lo, s35
	s_and_saveexec_b32 s34, s13
	s_cbranch_execnz .LBB6_4157
	s_branch .LBB6_4158
.LBB6_5380:                             ;   in Loop: Header=BB6_3265 Depth=4
	s_mov_b32 s13, -1
	s_mov_b32 s36, exec_lo
                                        ; implicit-def: $sgpr34
	v_cmpx_eq_u16_e32 0x80, v26
; %bb.5381:                             ;   in Loop: Header=BB6_3265 Depth=4
	s_mov_b32 s34, 0x7f800001
	s_xor_b32 s13, exec_lo, -1
; %bb.5382:                             ;   in Loop: Header=BB6_3265 Depth=4
	s_or_b32 exec_lo, exec_lo, s36
	s_delay_alu instid0(SALU_CYCLE_1)
	s_and_b32 s13, s13, exec_lo
	s_or_saveexec_b32 s35, s35
	v_mov_b32_e32 v36, s34
	s_xor_b32 exec_lo, exec_lo, s35
	s_cbranch_execz .LBB6_4160
.LBB6_5383:                             ;   in Loop: Header=BB6_3265 Depth=4
	v_cmp_ne_u16_e32 vcc_lo, 0, v26
	v_mov_b32_e32 v36, 0
	s_and_not1_b32 s13, s13, exec_lo
	s_and_b32 vcc_lo, vcc_lo, exec_lo
	s_delay_alu instid0(SALU_CYCLE_1)
	s_or_b32 s13, s13, vcc_lo
	s_or_b32 exec_lo, exec_lo, s35
	s_and_saveexec_b32 s34, s13
	s_cbranch_execnz .LBB6_4161
	s_branch .LBB6_4162
.LBB6_5384:                             ;   in Loop: Header=BB6_3265 Depth=4
	s_mov_b32 s13, -1
	s_mov_b32 s36, exec_lo
                                        ; implicit-def: $sgpr34
	v_cmpx_eq_u16_e32 0x80, v27
; %bb.5385:                             ;   in Loop: Header=BB6_3265 Depth=4
	s_mov_b32 s34, 0x7f800001
	s_xor_b32 s13, exec_lo, -1
; %bb.5386:                             ;   in Loop: Header=BB6_3265 Depth=4
	s_or_b32 exec_lo, exec_lo, s36
	s_delay_alu instid0(SALU_CYCLE_1)
	s_and_b32 s13, s13, exec_lo
                                        ; implicit-def: $vgpr27
	s_or_saveexec_b32 s35, s35
	v_mov_b32_e32 v26, s34
	s_xor_b32 exec_lo, exec_lo, s35
	s_cbranch_execz .LBB6_4172
.LBB6_5387:                             ;   in Loop: Header=BB6_3265 Depth=4
	v_cmp_ne_u16_e32 vcc_lo, 0, v27
	v_mov_b32_e32 v26, 0
	s_and_not1_b32 s13, s13, exec_lo
	s_and_b32 vcc_lo, vcc_lo, exec_lo
	s_delay_alu instid0(SALU_CYCLE_1)
	s_or_b32 s13, s13, vcc_lo
	s_or_b32 exec_lo, exec_lo, s35
	s_and_saveexec_b32 s34, s13
	s_cbranch_execnz .LBB6_4173
	s_branch .LBB6_4174
.LBB6_5388:                             ;   in Loop: Header=BB6_3265 Depth=4
	s_mov_b32 s13, -1
	s_mov_b32 s36, exec_lo
                                        ; implicit-def: $sgpr34
	v_cmpx_eq_u16_e32 0x80, v36
; %bb.5389:                             ;   in Loop: Header=BB6_3265 Depth=4
	s_mov_b32 s34, 0x7f800001
	s_xor_b32 s13, exec_lo, -1
; %bb.5390:                             ;   in Loop: Header=BB6_3265 Depth=4
	s_or_b32 exec_lo, exec_lo, s36
	s_delay_alu instid0(SALU_CYCLE_1)
	s_and_b32 s13, s13, exec_lo
                                        ; implicit-def: $vgpr36
	s_or_saveexec_b32 s35, s35
	v_mov_b32_e32 v27, s34
	s_xor_b32 exec_lo, exec_lo, s35
	s_cbranch_execz .LBB6_4176
.LBB6_5391:                             ;   in Loop: Header=BB6_3265 Depth=4
	v_cmp_ne_u16_e32 vcc_lo, 0, v36
	v_mov_b32_e32 v27, 0
	s_and_not1_b32 s13, s13, exec_lo
	s_and_b32 vcc_lo, vcc_lo, exec_lo
	s_delay_alu instid0(SALU_CYCLE_1)
	s_or_b32 s13, s13, vcc_lo
	s_or_b32 exec_lo, exec_lo, s35
	s_and_saveexec_b32 s34, s13
	s_cbranch_execnz .LBB6_4177
	s_branch .LBB6_4178
.LBB6_5392:                             ;   in Loop: Header=BB6_3265 Depth=4
	s_mov_b32 s13, -1
	s_mov_b32 s36, exec_lo
                                        ; implicit-def: $sgpr34
	v_cmpx_eq_u16_e32 0x80, v27
; %bb.5393:                             ;   in Loop: Header=BB6_3265 Depth=4
	s_mov_b32 s34, 0x7f800001
	s_xor_b32 s13, exec_lo, -1
; %bb.5394:                             ;   in Loop: Header=BB6_3265 Depth=4
	s_or_b32 exec_lo, exec_lo, s36
	s_delay_alu instid0(SALU_CYCLE_1)
	s_and_b32 s13, s13, exec_lo
                                        ; implicit-def: $vgpr27
	s_or_saveexec_b32 s35, s35
	v_mov_b32_e32 v26, s34
	s_xor_b32 exec_lo, exec_lo, s35
	s_cbranch_execz .LBB6_4188
.LBB6_5395:                             ;   in Loop: Header=BB6_3265 Depth=4
	v_cmp_ne_u16_e32 vcc_lo, 0, v27
	v_mov_b32_e32 v26, 0
	s_and_not1_b32 s13, s13, exec_lo
	s_and_b32 vcc_lo, vcc_lo, exec_lo
	s_delay_alu instid0(SALU_CYCLE_1)
	s_or_b32 s13, s13, vcc_lo
	s_or_b32 exec_lo, exec_lo, s35
	s_and_saveexec_b32 s34, s13
	s_cbranch_execnz .LBB6_4189
	s_branch .LBB6_4190
.LBB6_5396:                             ;   in Loop: Header=BB6_3265 Depth=4
	s_mov_b32 s13, -1
	s_mov_b32 s36, exec_lo
                                        ; implicit-def: $sgpr34
	v_cmpx_eq_u16_e32 0x80, v27
; %bb.5397:                             ;   in Loop: Header=BB6_3265 Depth=4
	s_mov_b32 s34, 0x7f800001
	s_xor_b32 s13, exec_lo, -1
; %bb.5398:                             ;   in Loop: Header=BB6_3265 Depth=4
	s_or_b32 exec_lo, exec_lo, s36
	s_delay_alu instid0(SALU_CYCLE_1)
	s_and_b32 s13, s13, exec_lo
	s_or_saveexec_b32 s35, s35
	v_mov_b32_e32 v36, s34
	s_xor_b32 exec_lo, exec_lo, s35
	s_cbranch_execz .LBB6_4192
.LBB6_5399:                             ;   in Loop: Header=BB6_3265 Depth=4
	v_cmp_ne_u16_e32 vcc_lo, 0, v27
	v_mov_b32_e32 v36, 0
	s_and_not1_b32 s13, s13, exec_lo
	s_and_b32 vcc_lo, vcc_lo, exec_lo
	s_delay_alu instid0(SALU_CYCLE_1)
	s_or_b32 s13, s13, vcc_lo
	s_or_b32 exec_lo, exec_lo, s35
	s_and_saveexec_b32 s34, s13
	s_cbranch_execnz .LBB6_4193
	s_branch .LBB6_4194
.LBB6_5400:                             ;   in Loop: Header=BB6_3265 Depth=4
	s_mov_b32 s13, -1
	s_mov_b32 s36, exec_lo
                                        ; implicit-def: $sgpr34
	v_cmpx_eq_u16_e32 0x80, v27
; %bb.5401:                             ;   in Loop: Header=BB6_3265 Depth=4
	s_mov_b32 s34, 0x7f800001
	s_xor_b32 s13, exec_lo, -1
; %bb.5402:                             ;   in Loop: Header=BB6_3265 Depth=4
	s_or_b32 exec_lo, exec_lo, s36
	s_delay_alu instid0(SALU_CYCLE_1)
	s_and_b32 s13, s13, exec_lo
                                        ; implicit-def: $vgpr27
	s_or_saveexec_b32 s35, s35
	v_mov_b32_e32 v26, s34
	s_xor_b32 exec_lo, exec_lo, s35
	s_cbranch_execz .LBB6_4204
.LBB6_5403:                             ;   in Loop: Header=BB6_3265 Depth=4
	v_cmp_ne_u16_e32 vcc_lo, 0, v27
	v_mov_b32_e32 v26, 0
	s_and_not1_b32 s13, s13, exec_lo
	s_and_b32 vcc_lo, vcc_lo, exec_lo
	s_delay_alu instid0(SALU_CYCLE_1)
	s_or_b32 s13, s13, vcc_lo
	s_or_b32 exec_lo, exec_lo, s35
	s_and_saveexec_b32 s34, s13
	s_cbranch_execnz .LBB6_4205
	s_branch .LBB6_4206
.LBB6_5404:                             ;   in Loop: Header=BB6_3265 Depth=4
	s_mov_b32 s13, -1
	s_mov_b32 s36, exec_lo
                                        ; implicit-def: $sgpr34
	v_cmpx_eq_u16_e32 0x80, v37
; %bb.5405:                             ;   in Loop: Header=BB6_3265 Depth=4
	s_mov_b32 s34, 0x7f800001
	s_xor_b32 s13, exec_lo, -1
; %bb.5406:                             ;   in Loop: Header=BB6_3265 Depth=4
	s_or_b32 exec_lo, exec_lo, s36
	s_delay_alu instid0(SALU_CYCLE_1)
	s_and_b32 s13, s13, exec_lo
                                        ; implicit-def: $vgpr37
	s_or_saveexec_b32 s35, s35
	v_mov_b32_e32 v36, s34
	s_xor_b32 exec_lo, exec_lo, s35
	s_cbranch_execz .LBB6_4208
.LBB6_5407:                             ;   in Loop: Header=BB6_3265 Depth=4
	v_cmp_ne_u16_e32 vcc_lo, 0, v37
	v_mov_b32_e32 v36, 0
	s_and_not1_b32 s13, s13, exec_lo
	s_and_b32 vcc_lo, vcc_lo, exec_lo
	s_delay_alu instid0(SALU_CYCLE_1)
	s_or_b32 s13, s13, vcc_lo
	s_or_b32 exec_lo, exec_lo, s35
	s_and_saveexec_b32 s34, s13
	s_cbranch_execnz .LBB6_4209
	s_branch .LBB6_4210
.LBB6_5408:                             ;   in Loop: Header=BB6_3265 Depth=4
	s_mov_b32 s13, -1
	s_mov_b32 s36, exec_lo
                                        ; implicit-def: $sgpr34
	v_cmpx_eq_u16_e32 0x80, v27
; %bb.5409:                             ;   in Loop: Header=BB6_3265 Depth=4
	s_mov_b32 s34, 0x7f800001
	s_xor_b32 s13, exec_lo, -1
; %bb.5410:                             ;   in Loop: Header=BB6_3265 Depth=4
	s_or_b32 exec_lo, exec_lo, s36
	s_delay_alu instid0(SALU_CYCLE_1)
	s_and_b32 s13, s13, exec_lo
	s_or_saveexec_b32 s35, s35
	v_mov_b32_e32 v26, s34
	s_xor_b32 exec_lo, exec_lo, s35
	s_cbranch_execz .LBB6_4220
.LBB6_5411:                             ;   in Loop: Header=BB6_3265 Depth=4
	v_cmp_ne_u16_e32 vcc_lo, 0, v27
	v_mov_b32_e32 v26, 0
	s_and_not1_b32 s13, s13, exec_lo
	s_and_b32 vcc_lo, vcc_lo, exec_lo
	s_delay_alu instid0(SALU_CYCLE_1)
	s_or_b32 s13, s13, vcc_lo
	s_or_b32 exec_lo, exec_lo, s35
	s_and_saveexec_b32 s34, s13
	s_cbranch_execnz .LBB6_4221
	s_branch .LBB6_4222
.LBB6_5412:                             ;   in Loop: Header=BB6_3265 Depth=4
	s_mov_b32 s13, -1
	s_mov_b32 s36, exec_lo
                                        ; implicit-def: $sgpr34
	v_cmpx_eq_u16_e32 0x80, v27
; %bb.5413:                             ;   in Loop: Header=BB6_3265 Depth=4
	s_mov_b32 s34, 0x7f800001
	s_xor_b32 s13, exec_lo, -1
; %bb.5414:                             ;   in Loop: Header=BB6_3265 Depth=4
	s_or_b32 exec_lo, exec_lo, s36
	s_delay_alu instid0(SALU_CYCLE_1)
	s_and_b32 s13, s13, exec_lo
	s_or_saveexec_b32 s35, s35
	v_mov_b32_e32 v36, s34
	s_xor_b32 exec_lo, exec_lo, s35
	s_cbranch_execz .LBB6_4224
.LBB6_5415:                             ;   in Loop: Header=BB6_3265 Depth=4
	v_cmp_ne_u16_e32 vcc_lo, 0, v27
	v_mov_b32_e32 v36, 0
	s_and_not1_b32 s13, s13, exec_lo
	s_and_b32 vcc_lo, vcc_lo, exec_lo
	s_delay_alu instid0(SALU_CYCLE_1)
	s_or_b32 s13, s13, vcc_lo
	s_or_b32 exec_lo, exec_lo, s35
	s_and_saveexec_b32 s34, s13
	s_cbranch_execnz .LBB6_4225
	s_branch .LBB6_4226
.LBB6_5416:                             ;   in Loop: Header=BB6_3265 Depth=4
	s_mov_b32 s13, -1
	s_mov_b32 s36, exec_lo
                                        ; implicit-def: $sgpr34
	v_cmpx_eq_u16_e32 0x80, v36
; %bb.5417:                             ;   in Loop: Header=BB6_3265 Depth=4
	s_mov_b32 s34, 0x7f800001
	s_xor_b32 s13, exec_lo, -1
; %bb.5418:                             ;   in Loop: Header=BB6_3265 Depth=4
	s_or_b32 exec_lo, exec_lo, s36
	s_delay_alu instid0(SALU_CYCLE_1)
	s_and_b32 s13, s13, exec_lo
                                        ; implicit-def: $vgpr36
	s_or_saveexec_b32 s35, s35
	v_mov_b32_e32 v27, s34
	s_xor_b32 exec_lo, exec_lo, s35
	s_cbranch_execz .LBB6_4236
.LBB6_5419:                             ;   in Loop: Header=BB6_3265 Depth=4
	v_cmp_ne_u16_e32 vcc_lo, 0, v36
	v_mov_b32_e32 v27, 0
	s_and_not1_b32 s13, s13, exec_lo
	s_and_b32 vcc_lo, vcc_lo, exec_lo
	s_delay_alu instid0(SALU_CYCLE_1)
	s_or_b32 s13, s13, vcc_lo
	s_or_b32 exec_lo, exec_lo, s35
	s_and_saveexec_b32 s34, s13
	s_cbranch_execnz .LBB6_4237
	s_branch .LBB6_4238
.LBB6_5420:                             ;   in Loop: Header=BB6_3265 Depth=4
	s_mov_b32 s13, -1
	s_mov_b32 s36, exec_lo
                                        ; implicit-def: $sgpr34
	v_cmpx_eq_u16_e32 0x80, v37
; %bb.5421:                             ;   in Loop: Header=BB6_3265 Depth=4
	s_mov_b32 s34, 0x7f800001
	s_xor_b32 s13, exec_lo, -1
; %bb.5422:                             ;   in Loop: Header=BB6_3265 Depth=4
	s_or_b32 exec_lo, exec_lo, s36
	s_delay_alu instid0(SALU_CYCLE_1)
	s_and_b32 s13, s13, exec_lo
                                        ; implicit-def: $vgpr37
	s_or_saveexec_b32 s35, s35
	v_mov_b32_e32 v36, s34
	s_xor_b32 exec_lo, exec_lo, s35
	s_cbranch_execz .LBB6_4240
.LBB6_5423:                             ;   in Loop: Header=BB6_3265 Depth=4
	v_cmp_ne_u16_e32 vcc_lo, 0, v37
	v_mov_b32_e32 v36, 0
	s_and_not1_b32 s13, s13, exec_lo
	s_and_b32 vcc_lo, vcc_lo, exec_lo
	s_delay_alu instid0(SALU_CYCLE_1)
	s_or_b32 s13, s13, vcc_lo
	s_or_b32 exec_lo, exec_lo, s35
	s_and_saveexec_b32 s34, s13
	s_cbranch_execnz .LBB6_4241
	s_branch .LBB6_4242
.LBB6_5424:                             ;   in Loop: Header=BB6_3265 Depth=4
	s_mov_b32 s13, -1
	s_mov_b32 s36, exec_lo
                                        ; implicit-def: $sgpr34
	v_cmpx_eq_u16_e32 0x80, v36
; %bb.5425:                             ;   in Loop: Header=BB6_3265 Depth=4
	s_mov_b32 s34, 0x7f800001
	s_xor_b32 s13, exec_lo, -1
; %bb.5426:                             ;   in Loop: Header=BB6_3265 Depth=4
	s_or_b32 exec_lo, exec_lo, s36
	s_delay_alu instid0(SALU_CYCLE_1)
	s_and_b32 s13, s13, exec_lo
	s_or_saveexec_b32 s35, s35
	v_mov_b32_e32 v27, s34
	s_xor_b32 exec_lo, exec_lo, s35
	s_cbranch_execz .LBB6_4252
.LBB6_5427:                             ;   in Loop: Header=BB6_3265 Depth=4
	v_cmp_ne_u16_e32 vcc_lo, 0, v36
	v_mov_b32_e32 v27, 0
	s_and_not1_b32 s13, s13, exec_lo
	s_and_b32 vcc_lo, vcc_lo, exec_lo
	s_delay_alu instid0(SALU_CYCLE_1)
	s_or_b32 s13, s13, vcc_lo
	s_or_b32 exec_lo, exec_lo, s35
	s_and_saveexec_b32 s34, s13
	s_cbranch_execnz .LBB6_4253
	s_branch .LBB6_4254
.LBB6_5428:                             ;   in Loop: Header=BB6_3265 Depth=4
	s_mov_b32 s13, -1
	s_mov_b32 s36, exec_lo
                                        ; implicit-def: $sgpr34
	v_cmpx_eq_u16_e32 0x80, v36
; %bb.5429:                             ;   in Loop: Header=BB6_3265 Depth=4
	s_mov_b32 s34, 0x7f800001
	s_xor_b32 s13, exec_lo, -1
; %bb.5430:                             ;   in Loop: Header=BB6_3265 Depth=4
	s_or_b32 exec_lo, exec_lo, s36
	s_delay_alu instid0(SALU_CYCLE_1)
	s_and_b32 s13, s13, exec_lo
	s_or_saveexec_b32 s35, s35
	v_mov_b32_e32 v37, s34
	s_xor_b32 exec_lo, exec_lo, s35
	s_cbranch_execz .LBB6_4256
.LBB6_5431:                             ;   in Loop: Header=BB6_3265 Depth=4
	v_cmp_ne_u16_e32 vcc_lo, 0, v36
	v_mov_b32_e32 v37, 0
	s_and_not1_b32 s13, s13, exec_lo
	s_and_b32 vcc_lo, vcc_lo, exec_lo
	s_delay_alu instid0(SALU_CYCLE_1)
	s_or_b32 s13, s13, vcc_lo
	s_or_b32 exec_lo, exec_lo, s35
	s_and_saveexec_b32 s34, s13
	s_cbranch_execnz .LBB6_4257
	s_branch .LBB6_4258
.LBB6_5432:                             ;   in Loop: Header=BB6_3265 Depth=4
	s_mov_b32 s13, -1
	s_mov_b32 s36, exec_lo
                                        ; implicit-def: $sgpr34
	v_cmpx_eq_u16_e32 0x80, v37
; %bb.5433:                             ;   in Loop: Header=BB6_3265 Depth=4
	s_mov_b32 s34, 0x7f800001
	s_xor_b32 s13, exec_lo, -1
; %bb.5434:                             ;   in Loop: Header=BB6_3265 Depth=4
	s_or_b32 exec_lo, exec_lo, s36
	s_delay_alu instid0(SALU_CYCLE_1)
	s_and_b32 s13, s13, exec_lo
                                        ; implicit-def: $vgpr37
	s_or_saveexec_b32 s35, s35
	v_mov_b32_e32 v27, s34
	s_xor_b32 exec_lo, exec_lo, s35
	s_cbranch_execz .LBB6_4268
.LBB6_5435:                             ;   in Loop: Header=BB6_3265 Depth=4
	v_cmp_ne_u16_e32 vcc_lo, 0, v37
	v_mov_b32_e32 v27, 0
	s_and_not1_b32 s13, s13, exec_lo
	s_and_b32 vcc_lo, vcc_lo, exec_lo
	s_delay_alu instid0(SALU_CYCLE_1)
	s_or_b32 s13, s13, vcc_lo
	s_or_b32 exec_lo, exec_lo, s35
	v_lshl_or_b32 v26, v36, 16, v26
	s_and_saveexec_b32 s34, s13
	s_cbranch_execnz .LBB6_4269
	s_branch .LBB6_4270
.LBB6_5436:                             ;   in Loop: Header=BB6_3265 Depth=4
	s_mov_b32 s13, -1
	s_mov_b32 s36, exec_lo
                                        ; implicit-def: $sgpr34
	v_cmpx_eq_u16_e32 0x80, v38
; %bb.5437:                             ;   in Loop: Header=BB6_3265 Depth=4
	s_mov_b32 s34, 0x7f800001
	s_xor_b32 s13, exec_lo, -1
; %bb.5438:                             ;   in Loop: Header=BB6_3265 Depth=4
	s_or_b32 exec_lo, exec_lo, s36
	s_delay_alu instid0(SALU_CYCLE_1)
	s_and_b32 s13, s13, exec_lo
                                        ; implicit-def: $vgpr38
	s_or_saveexec_b32 s35, s35
	v_mov_b32_e32 v37, s34
	s_xor_b32 exec_lo, exec_lo, s35
	s_cbranch_execz .LBB6_4272
.LBB6_5439:                             ;   in Loop: Header=BB6_3265 Depth=4
	v_cmp_ne_u16_e32 vcc_lo, 0, v38
	v_mov_b32_e32 v37, 0
	s_and_not1_b32 s13, s13, exec_lo
	s_and_b32 vcc_lo, vcc_lo, exec_lo
	s_delay_alu instid0(SALU_CYCLE_1)
	s_or_b32 s13, s13, vcc_lo
	s_or_b32 exec_lo, exec_lo, s35
	s_and_saveexec_b32 s34, s13
	s_cbranch_execnz .LBB6_4273
	s_branch .LBB6_4274
.LBB6_5440:                             ;   in Loop: Header=BB6_3265 Depth=4
	s_mov_b32 s13, -1
	s_mov_b32 s36, exec_lo
                                        ; implicit-def: $sgpr34
	v_cmpx_eq_u16_e32 0x80, v36
; %bb.5441:                             ;   in Loop: Header=BB6_3265 Depth=4
	s_mov_b32 s34, 0x7f800001
	s_xor_b32 s13, exec_lo, -1
; %bb.5442:                             ;   in Loop: Header=BB6_3265 Depth=4
	s_or_b32 exec_lo, exec_lo, s36
	s_delay_alu instid0(SALU_CYCLE_1)
	s_and_b32 s13, s13, exec_lo
	s_or_saveexec_b32 s35, s35
	v_mov_b32_e32 v27, s34
	s_xor_b32 exec_lo, exec_lo, s35
	s_cbranch_execz .LBB6_4284
.LBB6_5443:                             ;   in Loop: Header=BB6_3265 Depth=4
	v_cmp_ne_u16_e32 vcc_lo, 0, v36
	v_mov_b32_e32 v27, 0
	s_and_not1_b32 s13, s13, exec_lo
	s_and_b32 vcc_lo, vcc_lo, exec_lo
	s_delay_alu instid0(SALU_CYCLE_1)
	s_or_b32 s13, s13, vcc_lo
	s_or_b32 exec_lo, exec_lo, s35
	s_and_saveexec_b32 s34, s13
	s_cbranch_execnz .LBB6_4285
	s_branch .LBB6_4286
.LBB6_5444:                             ;   in Loop: Header=BB6_3265 Depth=4
	s_mov_b32 s13, -1
	s_mov_b32 s36, exec_lo
                                        ; implicit-def: $sgpr34
	v_cmpx_eq_u16_e32 0x80, v26
; %bb.5445:                             ;   in Loop: Header=BB6_3265 Depth=4
	s_mov_b32 s34, 0x7f800001
	s_xor_b32 s13, exec_lo, -1
; %bb.5446:                             ;   in Loop: Header=BB6_3265 Depth=4
	s_or_b32 exec_lo, exec_lo, s36
	s_delay_alu instid0(SALU_CYCLE_1)
	s_and_b32 s13, s13, exec_lo
	s_or_saveexec_b32 s35, s35
	v_mov_b32_e32 v36, s34
	s_xor_b32 exec_lo, exec_lo, s35
	s_cbranch_execz .LBB6_4288
.LBB6_5447:                             ;   in Loop: Header=BB6_3265 Depth=4
	v_cmp_ne_u16_e32 vcc_lo, 0, v26
	v_mov_b32_e32 v36, 0
	s_and_not1_b32 s13, s13, exec_lo
	s_and_b32 vcc_lo, vcc_lo, exec_lo
	s_delay_alu instid0(SALU_CYCLE_1)
	s_or_b32 s13, s13, vcc_lo
	s_or_b32 exec_lo, exec_lo, s35
	s_and_saveexec_b32 s34, s13
	s_cbranch_execnz .LBB6_4289
	s_branch .LBB6_4290
.LBB6_5448:                             ;   in Loop: Header=BB6_3265 Depth=4
	s_mov_b32 s13, -1
	s_mov_b32 s36, exec_lo
                                        ; implicit-def: $sgpr34
	v_cmpx_eq_u16_e32 0x80, v27
; %bb.5449:                             ;   in Loop: Header=BB6_3265 Depth=4
	s_mov_b32 s34, 0x7f800001
	s_xor_b32 s13, exec_lo, -1
; %bb.5450:                             ;   in Loop: Header=BB6_3265 Depth=4
	s_or_b32 exec_lo, exec_lo, s36
	s_delay_alu instid0(SALU_CYCLE_1)
	s_and_b32 s13, s13, exec_lo
                                        ; implicit-def: $vgpr27
	s_or_saveexec_b32 s35, s35
	v_mov_b32_e32 v26, s34
	s_xor_b32 exec_lo, exec_lo, s35
	s_cbranch_execz .LBB6_4300
.LBB6_5451:                             ;   in Loop: Header=BB6_3265 Depth=4
	v_cmp_ne_u16_e32 vcc_lo, 0, v27
	v_mov_b32_e32 v26, 0
	s_and_not1_b32 s13, s13, exec_lo
	s_and_b32 vcc_lo, vcc_lo, exec_lo
	s_delay_alu instid0(SALU_CYCLE_1)
	s_or_b32 s13, s13, vcc_lo
	s_or_b32 exec_lo, exec_lo, s35
	s_and_saveexec_b32 s34, s13
	s_cbranch_execnz .LBB6_4301
	s_branch .LBB6_4302
.LBB6_5452:                             ;   in Loop: Header=BB6_3265 Depth=4
	s_mov_b32 s13, -1
	s_mov_b32 s36, exec_lo
                                        ; implicit-def: $sgpr34
	v_cmpx_eq_u16_e32 0x80, v36
; %bb.5453:                             ;   in Loop: Header=BB6_3265 Depth=4
	s_mov_b32 s34, 0x7f800001
	s_xor_b32 s13, exec_lo, -1
; %bb.5454:                             ;   in Loop: Header=BB6_3265 Depth=4
	s_or_b32 exec_lo, exec_lo, s36
	s_delay_alu instid0(SALU_CYCLE_1)
	s_and_b32 s13, s13, exec_lo
                                        ; implicit-def: $vgpr36
	s_or_saveexec_b32 s35, s35
	v_mov_b32_e32 v27, s34
	s_xor_b32 exec_lo, exec_lo, s35
	s_cbranch_execz .LBB6_4304
.LBB6_5455:                             ;   in Loop: Header=BB6_3265 Depth=4
	v_cmp_ne_u16_e32 vcc_lo, 0, v36
	v_mov_b32_e32 v27, 0
	s_and_not1_b32 s13, s13, exec_lo
	s_and_b32 vcc_lo, vcc_lo, exec_lo
	s_delay_alu instid0(SALU_CYCLE_1)
	s_or_b32 s13, s13, vcc_lo
	s_or_b32 exec_lo, exec_lo, s35
	s_and_saveexec_b32 s34, s13
	s_cbranch_execnz .LBB6_4305
	s_branch .LBB6_4306
.LBB6_5456:                             ;   in Loop: Header=BB6_3265 Depth=4
	s_mov_b32 s13, -1
	s_mov_b32 s36, exec_lo
                                        ; implicit-def: $sgpr34
	v_cmpx_eq_u16_e32 0x80, v27
; %bb.5457:                             ;   in Loop: Header=BB6_3265 Depth=4
	s_mov_b32 s34, 0x7f800001
	s_xor_b32 s13, exec_lo, -1
; %bb.5458:                             ;   in Loop: Header=BB6_3265 Depth=4
	s_or_b32 exec_lo, exec_lo, s36
	s_delay_alu instid0(SALU_CYCLE_1)
	s_and_b32 s13, s13, exec_lo
                                        ; implicit-def: $vgpr27
	s_or_saveexec_b32 s35, s35
	v_mov_b32_e32 v26, s34
	s_xor_b32 exec_lo, exec_lo, s35
	s_cbranch_execz .LBB6_4316
.LBB6_5459:                             ;   in Loop: Header=BB6_3265 Depth=4
	v_cmp_ne_u16_e32 vcc_lo, 0, v27
	v_mov_b32_e32 v26, 0
	s_and_not1_b32 s13, s13, exec_lo
	s_and_b32 vcc_lo, vcc_lo, exec_lo
	s_delay_alu instid0(SALU_CYCLE_1)
	s_or_b32 s13, s13, vcc_lo
	s_or_b32 exec_lo, exec_lo, s35
	s_and_saveexec_b32 s34, s13
	s_cbranch_execnz .LBB6_4317
	s_branch .LBB6_4318
.LBB6_5460:                             ;   in Loop: Header=BB6_3265 Depth=4
	s_mov_b32 s13, -1
	s_mov_b32 s36, exec_lo
                                        ; implicit-def: $sgpr34
	v_cmpx_eq_u16_e32 0x80, v27
; %bb.5461:                             ;   in Loop: Header=BB6_3265 Depth=4
	s_mov_b32 s34, 0x7f800001
	s_xor_b32 s13, exec_lo, -1
; %bb.5462:                             ;   in Loop: Header=BB6_3265 Depth=4
	s_or_b32 exec_lo, exec_lo, s36
	s_delay_alu instid0(SALU_CYCLE_1)
	s_and_b32 s13, s13, exec_lo
	s_or_saveexec_b32 s35, s35
	v_mov_b32_e32 v36, s34
	s_xor_b32 exec_lo, exec_lo, s35
	s_cbranch_execz .LBB6_4320
.LBB6_5463:                             ;   in Loop: Header=BB6_3265 Depth=4
	v_cmp_ne_u16_e32 vcc_lo, 0, v27
	v_mov_b32_e32 v36, 0
	s_and_not1_b32 s13, s13, exec_lo
	s_and_b32 vcc_lo, vcc_lo, exec_lo
	s_delay_alu instid0(SALU_CYCLE_1)
	s_or_b32 s13, s13, vcc_lo
	s_or_b32 exec_lo, exec_lo, s35
	s_and_saveexec_b32 s34, s13
	s_cbranch_execnz .LBB6_4321
	s_branch .LBB6_4322
.LBB6_5464:                             ;   in Loop: Header=BB6_3265 Depth=4
	s_mov_b32 s13, -1
	s_mov_b32 s36, exec_lo
                                        ; implicit-def: $sgpr34
	v_cmpx_eq_u16_e32 0x80, v27
; %bb.5465:                             ;   in Loop: Header=BB6_3265 Depth=4
	s_mov_b32 s34, 0x7f800001
	s_xor_b32 s13, exec_lo, -1
; %bb.5466:                             ;   in Loop: Header=BB6_3265 Depth=4
	s_or_b32 exec_lo, exec_lo, s36
	s_delay_alu instid0(SALU_CYCLE_1)
	s_and_b32 s13, s13, exec_lo
                                        ; implicit-def: $vgpr27
	s_or_saveexec_b32 s35, s35
	v_mov_b32_e32 v26, s34
	s_xor_b32 exec_lo, exec_lo, s35
	s_cbranch_execz .LBB6_4332
.LBB6_5467:                             ;   in Loop: Header=BB6_3265 Depth=4
	v_cmp_ne_u16_e32 vcc_lo, 0, v27
	v_mov_b32_e32 v26, 0
	s_and_not1_b32 s13, s13, exec_lo
	s_and_b32 vcc_lo, vcc_lo, exec_lo
	s_delay_alu instid0(SALU_CYCLE_1)
	s_or_b32 s13, s13, vcc_lo
	s_or_b32 exec_lo, exec_lo, s35
	s_and_saveexec_b32 s34, s13
	s_cbranch_execnz .LBB6_4333
	s_branch .LBB6_4334
.LBB6_5468:                             ;   in Loop: Header=BB6_3265 Depth=4
	s_mov_b32 s13, -1
	s_mov_b32 s36, exec_lo
                                        ; implicit-def: $sgpr34
	v_cmpx_eq_u16_e32 0x80, v37
; %bb.5469:                             ;   in Loop: Header=BB6_3265 Depth=4
	s_mov_b32 s34, 0x7f800001
	s_xor_b32 s13, exec_lo, -1
; %bb.5470:                             ;   in Loop: Header=BB6_3265 Depth=4
	s_or_b32 exec_lo, exec_lo, s36
	s_delay_alu instid0(SALU_CYCLE_1)
	s_and_b32 s13, s13, exec_lo
                                        ; implicit-def: $vgpr37
	s_or_saveexec_b32 s35, s35
	v_mov_b32_e32 v36, s34
	s_xor_b32 exec_lo, exec_lo, s35
	s_cbranch_execz .LBB6_4336
.LBB6_5471:                             ;   in Loop: Header=BB6_3265 Depth=4
	v_cmp_ne_u16_e32 vcc_lo, 0, v37
	v_mov_b32_e32 v36, 0
	s_and_not1_b32 s13, s13, exec_lo
	s_and_b32 vcc_lo, vcc_lo, exec_lo
	s_delay_alu instid0(SALU_CYCLE_1)
	s_or_b32 s13, s13, vcc_lo
	s_or_b32 exec_lo, exec_lo, s35
	s_and_saveexec_b32 s34, s13
	s_cbranch_execnz .LBB6_4337
	s_branch .LBB6_4338
.LBB6_5472:                             ;   in Loop: Header=BB6_3265 Depth=4
	s_mov_b32 s13, -1
	s_mov_b32 s36, exec_lo
                                        ; implicit-def: $sgpr34
	v_cmpx_eq_u16_e32 0x80, v27
; %bb.5473:                             ;   in Loop: Header=BB6_3265 Depth=4
	s_mov_b32 s34, 0x7f800001
	s_xor_b32 s13, exec_lo, -1
; %bb.5474:                             ;   in Loop: Header=BB6_3265 Depth=4
	s_or_b32 exec_lo, exec_lo, s36
	s_delay_alu instid0(SALU_CYCLE_1)
	s_and_b32 s13, s13, exec_lo
	s_or_saveexec_b32 s35, s35
	v_mov_b32_e32 v26, s34
	s_xor_b32 exec_lo, exec_lo, s35
	s_cbranch_execz .LBB6_4348
.LBB6_5475:                             ;   in Loop: Header=BB6_3265 Depth=4
	v_cmp_ne_u16_e32 vcc_lo, 0, v27
	v_mov_b32_e32 v26, 0
	s_and_not1_b32 s13, s13, exec_lo
	s_and_b32 vcc_lo, vcc_lo, exec_lo
	s_delay_alu instid0(SALU_CYCLE_1)
	s_or_b32 s13, s13, vcc_lo
	s_or_b32 exec_lo, exec_lo, s35
	s_and_saveexec_b32 s34, s13
	s_cbranch_execnz .LBB6_4349
	s_branch .LBB6_4350
.LBB6_5476:                             ;   in Loop: Header=BB6_3265 Depth=4
	s_mov_b32 s13, -1
	s_mov_b32 s36, exec_lo
                                        ; implicit-def: $sgpr34
	v_cmpx_eq_u16_e32 0x80, v27
; %bb.5477:                             ;   in Loop: Header=BB6_3265 Depth=4
	s_mov_b32 s34, 0x7f800001
	s_xor_b32 s13, exec_lo, -1
; %bb.5478:                             ;   in Loop: Header=BB6_3265 Depth=4
	s_or_b32 exec_lo, exec_lo, s36
	s_delay_alu instid0(SALU_CYCLE_1)
	s_and_b32 s13, s13, exec_lo
	s_or_saveexec_b32 s35, s35
	v_mov_b32_e32 v36, s34
	s_xor_b32 exec_lo, exec_lo, s35
	s_cbranch_execz .LBB6_4352
.LBB6_5479:                             ;   in Loop: Header=BB6_3265 Depth=4
	v_cmp_ne_u16_e32 vcc_lo, 0, v27
	v_mov_b32_e32 v36, 0
	s_and_not1_b32 s13, s13, exec_lo
	s_and_b32 vcc_lo, vcc_lo, exec_lo
	s_delay_alu instid0(SALU_CYCLE_1)
	s_or_b32 s13, s13, vcc_lo
	s_or_b32 exec_lo, exec_lo, s35
	s_and_saveexec_b32 s34, s13
	s_cbranch_execnz .LBB6_4353
	s_branch .LBB6_4354
.LBB6_5480:                             ;   in Loop: Header=BB6_3265 Depth=4
	s_mov_b32 s13, -1
	s_mov_b32 s36, exec_lo
                                        ; implicit-def: $sgpr34
	v_cmpx_eq_u16_e32 0x80, v36
; %bb.5481:                             ;   in Loop: Header=BB6_3265 Depth=4
	s_mov_b32 s34, 0x7f800001
	s_xor_b32 s13, exec_lo, -1
; %bb.5482:                             ;   in Loop: Header=BB6_3265 Depth=4
	s_or_b32 exec_lo, exec_lo, s36
	s_delay_alu instid0(SALU_CYCLE_1)
	s_and_b32 s13, s13, exec_lo
                                        ; implicit-def: $vgpr36
	s_or_saveexec_b32 s35, s35
	v_mov_b32_e32 v27, s34
	s_xor_b32 exec_lo, exec_lo, s35
	s_cbranch_execz .LBB6_4364
.LBB6_5483:                             ;   in Loop: Header=BB6_3265 Depth=4
	v_cmp_ne_u16_e32 vcc_lo, 0, v36
	v_mov_b32_e32 v27, 0
	s_and_not1_b32 s13, s13, exec_lo
	s_and_b32 vcc_lo, vcc_lo, exec_lo
	s_delay_alu instid0(SALU_CYCLE_1)
	s_or_b32 s13, s13, vcc_lo
	s_or_b32 exec_lo, exec_lo, s35
	s_and_saveexec_b32 s34, s13
	s_cbranch_execnz .LBB6_4365
	s_branch .LBB6_4366
.LBB6_5484:                             ;   in Loop: Header=BB6_3265 Depth=4
	s_mov_b32 s13, -1
	s_mov_b32 s36, exec_lo
                                        ; implicit-def: $sgpr34
	v_cmpx_eq_u16_e32 0x80, v37
; %bb.5485:                             ;   in Loop: Header=BB6_3265 Depth=4
	s_mov_b32 s34, 0x7f800001
	s_xor_b32 s13, exec_lo, -1
; %bb.5486:                             ;   in Loop: Header=BB6_3265 Depth=4
	s_or_b32 exec_lo, exec_lo, s36
	s_delay_alu instid0(SALU_CYCLE_1)
	s_and_b32 s13, s13, exec_lo
                                        ; implicit-def: $vgpr37
	s_or_saveexec_b32 s35, s35
	v_mov_b32_e32 v36, s34
	s_xor_b32 exec_lo, exec_lo, s35
	s_cbranch_execz .LBB6_4368
.LBB6_5487:                             ;   in Loop: Header=BB6_3265 Depth=4
	v_cmp_ne_u16_e32 vcc_lo, 0, v37
	v_mov_b32_e32 v36, 0
	s_and_not1_b32 s13, s13, exec_lo
	s_and_b32 vcc_lo, vcc_lo, exec_lo
	s_delay_alu instid0(SALU_CYCLE_1)
	s_or_b32 s13, s13, vcc_lo
	s_or_b32 exec_lo, exec_lo, s35
	s_and_saveexec_b32 s34, s13
	s_cbranch_execnz .LBB6_4369
	s_branch .LBB6_4370
.LBB6_5488:                             ;   in Loop: Header=BB6_3265 Depth=4
	s_mov_b32 s13, -1
	s_mov_b32 s36, exec_lo
                                        ; implicit-def: $sgpr34
	v_cmpx_eq_u16_e32 0x80, v36
; %bb.5489:                             ;   in Loop: Header=BB6_3265 Depth=4
	s_mov_b32 s34, 0x7f800001
	s_xor_b32 s13, exec_lo, -1
; %bb.5490:                             ;   in Loop: Header=BB6_3265 Depth=4
	s_or_b32 exec_lo, exec_lo, s36
	s_delay_alu instid0(SALU_CYCLE_1)
	s_and_b32 s13, s13, exec_lo
	s_or_saveexec_b32 s35, s35
	v_mov_b32_e32 v27, s34
	s_xor_b32 exec_lo, exec_lo, s35
	s_cbranch_execz .LBB6_4380
.LBB6_5491:                             ;   in Loop: Header=BB6_3265 Depth=4
	v_cmp_ne_u16_e32 vcc_lo, 0, v36
	v_mov_b32_e32 v27, 0
	s_and_not1_b32 s13, s13, exec_lo
	s_and_b32 vcc_lo, vcc_lo, exec_lo
	s_delay_alu instid0(SALU_CYCLE_1)
	s_or_b32 s13, s13, vcc_lo
	s_or_b32 exec_lo, exec_lo, s35
	s_and_saveexec_b32 s34, s13
	s_cbranch_execnz .LBB6_4381
	s_branch .LBB6_4382
.LBB6_5492:                             ;   in Loop: Header=BB6_3265 Depth=4
	s_mov_b32 s13, -1
	s_mov_b32 s36, exec_lo
                                        ; implicit-def: $sgpr34
	v_cmpx_eq_u16_e32 0x80, v36
; %bb.5493:                             ;   in Loop: Header=BB6_3265 Depth=4
	s_mov_b32 s34, 0x7f800001
	s_xor_b32 s13, exec_lo, -1
; %bb.5494:                             ;   in Loop: Header=BB6_3265 Depth=4
	s_or_b32 exec_lo, exec_lo, s36
	s_delay_alu instid0(SALU_CYCLE_1)
	s_and_b32 s13, s13, exec_lo
	s_or_saveexec_b32 s35, s35
	v_mov_b32_e32 v37, s34
	s_xor_b32 exec_lo, exec_lo, s35
	s_cbranch_execz .LBB6_4384
.LBB6_5495:                             ;   in Loop: Header=BB6_3265 Depth=4
	v_cmp_ne_u16_e32 vcc_lo, 0, v36
	v_mov_b32_e32 v37, 0
	s_and_not1_b32 s13, s13, exec_lo
	s_and_b32 vcc_lo, vcc_lo, exec_lo
	s_delay_alu instid0(SALU_CYCLE_1)
	s_or_b32 s13, s13, vcc_lo
	s_or_b32 exec_lo, exec_lo, s35
	s_and_saveexec_b32 s34, s13
	s_cbranch_execnz .LBB6_4385
	s_branch .LBB6_4386
.LBB6_5496:                             ;   in Loop: Header=BB6_3265 Depth=4
	s_mov_b32 s13, -1
	s_mov_b32 s36, exec_lo
                                        ; implicit-def: $sgpr34
	v_cmpx_eq_u16_e32 0x80, v37
; %bb.5497:                             ;   in Loop: Header=BB6_3265 Depth=4
	s_mov_b32 s34, 0x7f800001
	s_xor_b32 s13, exec_lo, -1
; %bb.5498:                             ;   in Loop: Header=BB6_3265 Depth=4
	s_or_b32 exec_lo, exec_lo, s36
	s_delay_alu instid0(SALU_CYCLE_1)
	s_and_b32 s13, s13, exec_lo
                                        ; implicit-def: $vgpr37
	s_or_saveexec_b32 s35, s35
	v_mov_b32_e32 v27, s34
	s_xor_b32 exec_lo, exec_lo, s35
	s_cbranch_execz .LBB6_4396
.LBB6_5499:                             ;   in Loop: Header=BB6_3265 Depth=4
	v_cmp_ne_u16_e32 vcc_lo, 0, v37
	v_mov_b32_e32 v27, 0
	s_and_not1_b32 s13, s13, exec_lo
	s_and_b32 vcc_lo, vcc_lo, exec_lo
	s_delay_alu instid0(SALU_CYCLE_1)
	s_or_b32 s13, s13, vcc_lo
	s_or_b32 exec_lo, exec_lo, s35
	v_lshl_or_b32 v26, v36, 16, v26
	s_and_saveexec_b32 s34, s13
	s_cbranch_execnz .LBB6_4397
	s_branch .LBB6_4398
.LBB6_5500:                             ;   in Loop: Header=BB6_3265 Depth=4
	s_mov_b32 s13, -1
	s_mov_b32 s36, exec_lo
                                        ; implicit-def: $sgpr34
	v_cmpx_eq_u16_e32 0x80, v38
; %bb.5501:                             ;   in Loop: Header=BB6_3265 Depth=4
	s_mov_b32 s34, 0x7f800001
	s_xor_b32 s13, exec_lo, -1
; %bb.5502:                             ;   in Loop: Header=BB6_3265 Depth=4
	s_or_b32 exec_lo, exec_lo, s36
	s_delay_alu instid0(SALU_CYCLE_1)
	s_and_b32 s13, s13, exec_lo
                                        ; implicit-def: $vgpr38
	s_or_saveexec_b32 s35, s35
	v_mov_b32_e32 v37, s34
	s_xor_b32 exec_lo, exec_lo, s35
	s_cbranch_execz .LBB6_4400
.LBB6_5503:                             ;   in Loop: Header=BB6_3265 Depth=4
	v_cmp_ne_u16_e32 vcc_lo, 0, v38
	v_mov_b32_e32 v37, 0
	s_and_not1_b32 s13, s13, exec_lo
	s_and_b32 vcc_lo, vcc_lo, exec_lo
	s_delay_alu instid0(SALU_CYCLE_1)
	s_or_b32 s13, s13, vcc_lo
	s_or_b32 exec_lo, exec_lo, s35
	s_and_saveexec_b32 s34, s13
	s_cbranch_execnz .LBB6_4401
	s_branch .LBB6_4402
.LBB6_5504:                             ;   in Loop: Header=BB6_3265 Depth=4
	s_mov_b32 s13, -1
	s_mov_b32 s36, exec_lo
                                        ; implicit-def: $sgpr34
	v_cmpx_eq_u16_e32 0x80, v36
; %bb.5505:                             ;   in Loop: Header=BB6_3265 Depth=4
	s_mov_b32 s34, 0x7f800001
	s_xor_b32 s13, exec_lo, -1
; %bb.5506:                             ;   in Loop: Header=BB6_3265 Depth=4
	s_or_b32 exec_lo, exec_lo, s36
	s_delay_alu instid0(SALU_CYCLE_1)
	s_and_b32 s13, s13, exec_lo
	s_or_saveexec_b32 s35, s35
	v_mov_b32_e32 v27, s34
	s_xor_b32 exec_lo, exec_lo, s35
	s_cbranch_execz .LBB6_4412
.LBB6_5507:                             ;   in Loop: Header=BB6_3265 Depth=4
	v_cmp_ne_u16_e32 vcc_lo, 0, v36
	v_mov_b32_e32 v27, 0
	s_and_not1_b32 s13, s13, exec_lo
	s_and_b32 vcc_lo, vcc_lo, exec_lo
	s_delay_alu instid0(SALU_CYCLE_1)
	s_or_b32 s13, s13, vcc_lo
	s_or_b32 exec_lo, exec_lo, s35
	s_and_saveexec_b32 s34, s13
	s_cbranch_execnz .LBB6_4413
	s_branch .LBB6_4414
.LBB6_5508:                             ;   in Loop: Header=BB6_3265 Depth=4
	s_mov_b32 s13, -1
	s_mov_b32 s36, exec_lo
                                        ; implicit-def: $sgpr34
	v_cmpx_eq_u16_e32 0x80, v26
; %bb.5509:                             ;   in Loop: Header=BB6_3265 Depth=4
	s_mov_b32 s34, 0x7f800001
	s_xor_b32 s13, exec_lo, -1
; %bb.5510:                             ;   in Loop: Header=BB6_3265 Depth=4
	s_or_b32 exec_lo, exec_lo, s36
	s_delay_alu instid0(SALU_CYCLE_1)
	s_and_b32 s13, s13, exec_lo
	s_or_saveexec_b32 s35, s35
	v_mov_b32_e32 v36, s34
	s_xor_b32 exec_lo, exec_lo, s35
	s_cbranch_execz .LBB6_4416
.LBB6_5511:                             ;   in Loop: Header=BB6_3265 Depth=4
	v_cmp_ne_u16_e32 vcc_lo, 0, v26
	v_mov_b32_e32 v36, 0
	s_and_not1_b32 s13, s13, exec_lo
	s_and_b32 vcc_lo, vcc_lo, exec_lo
	s_delay_alu instid0(SALU_CYCLE_1)
	s_or_b32 s13, s13, vcc_lo
	s_or_b32 exec_lo, exec_lo, s35
	s_and_saveexec_b32 s34, s13
	s_cbranch_execnz .LBB6_4417
	s_branch .LBB6_4418
.LBB6_5512:                             ;   in Loop: Header=BB6_3265 Depth=4
	s_mov_b32 s13, -1
	s_mov_b32 s36, exec_lo
                                        ; implicit-def: $sgpr34
	v_cmpx_eq_u16_e32 0x80, v27
; %bb.5513:                             ;   in Loop: Header=BB6_3265 Depth=4
	s_mov_b32 s34, 0x7f800001
	s_xor_b32 s13, exec_lo, -1
; %bb.5514:                             ;   in Loop: Header=BB6_3265 Depth=4
	s_or_b32 exec_lo, exec_lo, s36
	s_delay_alu instid0(SALU_CYCLE_1)
	s_and_b32 s13, s13, exec_lo
                                        ; implicit-def: $vgpr27
	s_or_saveexec_b32 s35, s35
	v_mov_b32_e32 v26, s34
	s_xor_b32 exec_lo, exec_lo, s35
	s_cbranch_execz .LBB6_4428
.LBB6_5515:                             ;   in Loop: Header=BB6_3265 Depth=4
	v_cmp_ne_u16_e32 vcc_lo, 0, v27
	v_mov_b32_e32 v26, 0
	s_and_not1_b32 s13, s13, exec_lo
	s_and_b32 vcc_lo, vcc_lo, exec_lo
	s_delay_alu instid0(SALU_CYCLE_1)
	s_or_b32 s13, s13, vcc_lo
	s_or_b32 exec_lo, exec_lo, s35
	s_and_saveexec_b32 s34, s13
	s_cbranch_execnz .LBB6_4429
	s_branch .LBB6_4430
.LBB6_5516:                             ;   in Loop: Header=BB6_3265 Depth=4
	s_mov_b32 s13, -1
	s_mov_b32 s36, exec_lo
                                        ; implicit-def: $sgpr34
	v_cmpx_eq_u16_e32 0x80, v36
; %bb.5517:                             ;   in Loop: Header=BB6_3265 Depth=4
	s_mov_b32 s34, 0x7f800001
	s_xor_b32 s13, exec_lo, -1
; %bb.5518:                             ;   in Loop: Header=BB6_3265 Depth=4
	s_or_b32 exec_lo, exec_lo, s36
	s_delay_alu instid0(SALU_CYCLE_1)
	s_and_b32 s13, s13, exec_lo
                                        ; implicit-def: $vgpr36
	s_or_saveexec_b32 s35, s35
	v_mov_b32_e32 v27, s34
	s_xor_b32 exec_lo, exec_lo, s35
	s_cbranch_execz .LBB6_4432
.LBB6_5519:                             ;   in Loop: Header=BB6_3265 Depth=4
	v_cmp_ne_u16_e32 vcc_lo, 0, v36
	v_mov_b32_e32 v27, 0
	s_and_not1_b32 s13, s13, exec_lo
	s_and_b32 vcc_lo, vcc_lo, exec_lo
	s_delay_alu instid0(SALU_CYCLE_1)
	s_or_b32 s13, s13, vcc_lo
	s_or_b32 exec_lo, exec_lo, s35
	s_and_saveexec_b32 s34, s13
	s_cbranch_execnz .LBB6_4433
	s_branch .LBB6_4434
.LBB6_5520:                             ;   in Loop: Header=BB6_3265 Depth=4
	s_mov_b32 s13, -1
	s_mov_b32 s36, exec_lo
                                        ; implicit-def: $sgpr34
	v_cmpx_eq_u16_e32 0x80, v27
; %bb.5521:                             ;   in Loop: Header=BB6_3265 Depth=4
	s_mov_b32 s34, 0x7f800001
	s_xor_b32 s13, exec_lo, -1
; %bb.5522:                             ;   in Loop: Header=BB6_3265 Depth=4
	s_or_b32 exec_lo, exec_lo, s36
	s_delay_alu instid0(SALU_CYCLE_1)
	s_and_b32 s13, s13, exec_lo
                                        ; implicit-def: $vgpr27
	s_or_saveexec_b32 s35, s35
	v_mov_b32_e32 v26, s34
	s_xor_b32 exec_lo, exec_lo, s35
	s_cbranch_execz .LBB6_4444
.LBB6_5523:                             ;   in Loop: Header=BB6_3265 Depth=4
	v_cmp_ne_u16_e32 vcc_lo, 0, v27
	v_mov_b32_e32 v26, 0
	s_and_not1_b32 s13, s13, exec_lo
	s_and_b32 vcc_lo, vcc_lo, exec_lo
	s_delay_alu instid0(SALU_CYCLE_1)
	s_or_b32 s13, s13, vcc_lo
	s_or_b32 exec_lo, exec_lo, s35
	s_and_saveexec_b32 s34, s13
	s_cbranch_execnz .LBB6_4445
	s_branch .LBB6_4446
.LBB6_5524:                             ;   in Loop: Header=BB6_3265 Depth=4
	s_mov_b32 s13, -1
	s_mov_b32 s36, exec_lo
                                        ; implicit-def: $sgpr34
	v_cmpx_eq_u16_e32 0x80, v27
; %bb.5525:                             ;   in Loop: Header=BB6_3265 Depth=4
	s_mov_b32 s34, 0x7f800001
	s_xor_b32 s13, exec_lo, -1
; %bb.5526:                             ;   in Loop: Header=BB6_3265 Depth=4
	s_or_b32 exec_lo, exec_lo, s36
	s_delay_alu instid0(SALU_CYCLE_1)
	s_and_b32 s13, s13, exec_lo
	s_or_saveexec_b32 s35, s35
	v_mov_b32_e32 v36, s34
	s_xor_b32 exec_lo, exec_lo, s35
	s_cbranch_execz .LBB6_4448
.LBB6_5527:                             ;   in Loop: Header=BB6_3265 Depth=4
	v_cmp_ne_u16_e32 vcc_lo, 0, v27
	v_mov_b32_e32 v36, 0
	s_and_not1_b32 s13, s13, exec_lo
	s_and_b32 vcc_lo, vcc_lo, exec_lo
	s_delay_alu instid0(SALU_CYCLE_1)
	s_or_b32 s13, s13, vcc_lo
	s_or_b32 exec_lo, exec_lo, s35
	s_and_saveexec_b32 s34, s13
	s_cbranch_execnz .LBB6_4449
	s_branch .LBB6_4450
.LBB6_5528:                             ;   in Loop: Header=BB6_3265 Depth=4
	s_mov_b32 s13, -1
	s_mov_b32 s36, exec_lo
                                        ; implicit-def: $sgpr34
	v_cmpx_eq_u16_e32 0x80, v27
; %bb.5529:                             ;   in Loop: Header=BB6_3265 Depth=4
	s_mov_b32 s34, 0x7f800001
	s_xor_b32 s13, exec_lo, -1
; %bb.5530:                             ;   in Loop: Header=BB6_3265 Depth=4
	s_or_b32 exec_lo, exec_lo, s36
	s_delay_alu instid0(SALU_CYCLE_1)
	s_and_b32 s13, s13, exec_lo
                                        ; implicit-def: $vgpr27
	s_or_saveexec_b32 s35, s35
	v_mov_b32_e32 v26, s34
	s_xor_b32 exec_lo, exec_lo, s35
	s_cbranch_execz .LBB6_4460
.LBB6_5531:                             ;   in Loop: Header=BB6_3265 Depth=4
	v_cmp_ne_u16_e32 vcc_lo, 0, v27
	v_mov_b32_e32 v26, 0
	s_and_not1_b32 s13, s13, exec_lo
	s_and_b32 vcc_lo, vcc_lo, exec_lo
	s_delay_alu instid0(SALU_CYCLE_1)
	s_or_b32 s13, s13, vcc_lo
	s_or_b32 exec_lo, exec_lo, s35
	s_and_saveexec_b32 s34, s13
	s_cbranch_execnz .LBB6_4461
	s_branch .LBB6_4462
.LBB6_5532:                             ;   in Loop: Header=BB6_3265 Depth=4
	s_mov_b32 s13, -1
	s_mov_b32 s36, exec_lo
                                        ; implicit-def: $sgpr34
	v_cmpx_eq_u16_e32 0x80, v37
; %bb.5533:                             ;   in Loop: Header=BB6_3265 Depth=4
	s_mov_b32 s34, 0x7f800001
	s_xor_b32 s13, exec_lo, -1
; %bb.5534:                             ;   in Loop: Header=BB6_3265 Depth=4
	s_or_b32 exec_lo, exec_lo, s36
	s_delay_alu instid0(SALU_CYCLE_1)
	s_and_b32 s13, s13, exec_lo
                                        ; implicit-def: $vgpr37
	s_or_saveexec_b32 s35, s35
	v_mov_b32_e32 v36, s34
	s_xor_b32 exec_lo, exec_lo, s35
	s_cbranch_execz .LBB6_4464
.LBB6_5535:                             ;   in Loop: Header=BB6_3265 Depth=4
	v_cmp_ne_u16_e32 vcc_lo, 0, v37
	v_mov_b32_e32 v36, 0
	s_and_not1_b32 s13, s13, exec_lo
	s_and_b32 vcc_lo, vcc_lo, exec_lo
	s_delay_alu instid0(SALU_CYCLE_1)
	s_or_b32 s13, s13, vcc_lo
	s_or_b32 exec_lo, exec_lo, s35
	s_and_saveexec_b32 s34, s13
	s_cbranch_execnz .LBB6_4465
	s_branch .LBB6_4466
.LBB6_5536:                             ;   in Loop: Header=BB6_3265 Depth=4
	s_mov_b32 s13, -1
	s_mov_b32 s36, exec_lo
                                        ; implicit-def: $sgpr34
	v_cmpx_eq_u16_e32 0x80, v27
; %bb.5537:                             ;   in Loop: Header=BB6_3265 Depth=4
	s_mov_b32 s34, 0x7f800001
	s_xor_b32 s13, exec_lo, -1
; %bb.5538:                             ;   in Loop: Header=BB6_3265 Depth=4
	s_or_b32 exec_lo, exec_lo, s36
	s_delay_alu instid0(SALU_CYCLE_1)
	s_and_b32 s13, s13, exec_lo
	s_or_saveexec_b32 s35, s35
	v_mov_b32_e32 v26, s34
	s_xor_b32 exec_lo, exec_lo, s35
	s_cbranch_execz .LBB6_4476
.LBB6_5539:                             ;   in Loop: Header=BB6_3265 Depth=4
	v_cmp_ne_u16_e32 vcc_lo, 0, v27
	v_mov_b32_e32 v26, 0
	s_and_not1_b32 s13, s13, exec_lo
	s_and_b32 vcc_lo, vcc_lo, exec_lo
	s_delay_alu instid0(SALU_CYCLE_1)
	s_or_b32 s13, s13, vcc_lo
	s_or_b32 exec_lo, exec_lo, s35
	s_and_saveexec_b32 s34, s13
	s_cbranch_execnz .LBB6_4477
	s_branch .LBB6_4478
.LBB6_5540:                             ;   in Loop: Header=BB6_3265 Depth=4
	s_mov_b32 s13, -1
	s_mov_b32 s36, exec_lo
                                        ; implicit-def: $sgpr34
	v_cmpx_eq_u16_e32 0x80, v27
; %bb.5541:                             ;   in Loop: Header=BB6_3265 Depth=4
	s_mov_b32 s34, 0x7f800001
	s_xor_b32 s13, exec_lo, -1
; %bb.5542:                             ;   in Loop: Header=BB6_3265 Depth=4
	s_or_b32 exec_lo, exec_lo, s36
	s_delay_alu instid0(SALU_CYCLE_1)
	s_and_b32 s13, s13, exec_lo
	s_or_saveexec_b32 s35, s35
	v_mov_b32_e32 v36, s34
	s_xor_b32 exec_lo, exec_lo, s35
	s_cbranch_execz .LBB6_4480
.LBB6_5543:                             ;   in Loop: Header=BB6_3265 Depth=4
	v_cmp_ne_u16_e32 vcc_lo, 0, v27
	v_mov_b32_e32 v36, 0
	s_and_not1_b32 s13, s13, exec_lo
	s_and_b32 vcc_lo, vcc_lo, exec_lo
	s_delay_alu instid0(SALU_CYCLE_1)
	s_or_b32 s13, s13, vcc_lo
	s_or_b32 exec_lo, exec_lo, s35
	s_and_saveexec_b32 s34, s13
	s_cbranch_execnz .LBB6_4481
	s_branch .LBB6_4482
.LBB6_5544:                             ;   in Loop: Header=BB6_3265 Depth=4
	s_mov_b32 s13, -1
	s_mov_b32 s36, exec_lo
                                        ; implicit-def: $sgpr34
	v_cmpx_eq_u16_e32 0x80, v36
; %bb.5545:                             ;   in Loop: Header=BB6_3265 Depth=4
	s_mov_b32 s34, 0x7f800001
	s_xor_b32 s13, exec_lo, -1
; %bb.5546:                             ;   in Loop: Header=BB6_3265 Depth=4
	s_or_b32 exec_lo, exec_lo, s36
	s_delay_alu instid0(SALU_CYCLE_1)
	s_and_b32 s13, s13, exec_lo
                                        ; implicit-def: $vgpr36
	s_or_saveexec_b32 s35, s35
	v_mov_b32_e32 v27, s34
	s_xor_b32 exec_lo, exec_lo, s35
	s_cbranch_execz .LBB6_4492
.LBB6_5547:                             ;   in Loop: Header=BB6_3265 Depth=4
	v_cmp_ne_u16_e32 vcc_lo, 0, v36
	v_mov_b32_e32 v27, 0
	s_and_not1_b32 s13, s13, exec_lo
	s_and_b32 vcc_lo, vcc_lo, exec_lo
	s_delay_alu instid0(SALU_CYCLE_1)
	s_or_b32 s13, s13, vcc_lo
	s_or_b32 exec_lo, exec_lo, s35
	s_and_saveexec_b32 s34, s13
	s_cbranch_execnz .LBB6_4493
	s_branch .LBB6_4494
.LBB6_5548:                             ;   in Loop: Header=BB6_3265 Depth=4
	s_mov_b32 s13, -1
	s_mov_b32 s36, exec_lo
                                        ; implicit-def: $sgpr34
	v_cmpx_eq_u16_e32 0x80, v37
; %bb.5549:                             ;   in Loop: Header=BB6_3265 Depth=4
	s_mov_b32 s34, 0x7f800001
	s_xor_b32 s13, exec_lo, -1
; %bb.5550:                             ;   in Loop: Header=BB6_3265 Depth=4
	s_or_b32 exec_lo, exec_lo, s36
	s_delay_alu instid0(SALU_CYCLE_1)
	s_and_b32 s13, s13, exec_lo
                                        ; implicit-def: $vgpr37
	s_or_saveexec_b32 s35, s35
	v_mov_b32_e32 v36, s34
	s_xor_b32 exec_lo, exec_lo, s35
	s_cbranch_execz .LBB6_4496
.LBB6_5551:                             ;   in Loop: Header=BB6_3265 Depth=4
	v_cmp_ne_u16_e32 vcc_lo, 0, v37
	v_mov_b32_e32 v36, 0
	s_and_not1_b32 s13, s13, exec_lo
	s_and_b32 vcc_lo, vcc_lo, exec_lo
	s_delay_alu instid0(SALU_CYCLE_1)
	s_or_b32 s13, s13, vcc_lo
	s_or_b32 exec_lo, exec_lo, s35
	s_and_saveexec_b32 s34, s13
	s_cbranch_execnz .LBB6_4497
	s_branch .LBB6_4498
.LBB6_5552:                             ;   in Loop: Header=BB6_3265 Depth=4
	s_mov_b32 s13, -1
	s_mov_b32 s36, exec_lo
                                        ; implicit-def: $sgpr34
	v_cmpx_eq_u16_e32 0x80, v36
; %bb.5553:                             ;   in Loop: Header=BB6_3265 Depth=4
	s_mov_b32 s34, 0x7f800001
	s_xor_b32 s13, exec_lo, -1
; %bb.5554:                             ;   in Loop: Header=BB6_3265 Depth=4
	s_or_b32 exec_lo, exec_lo, s36
	s_delay_alu instid0(SALU_CYCLE_1)
	s_and_b32 s13, s13, exec_lo
	s_or_saveexec_b32 s35, s35
	v_mov_b32_e32 v27, s34
	s_xor_b32 exec_lo, exec_lo, s35
	s_cbranch_execz .LBB6_4508
.LBB6_5555:                             ;   in Loop: Header=BB6_3265 Depth=4
	v_cmp_ne_u16_e32 vcc_lo, 0, v36
	v_mov_b32_e32 v27, 0
	s_and_not1_b32 s13, s13, exec_lo
	s_and_b32 vcc_lo, vcc_lo, exec_lo
	s_delay_alu instid0(SALU_CYCLE_1)
	s_or_b32 s13, s13, vcc_lo
	s_or_b32 exec_lo, exec_lo, s35
	s_and_saveexec_b32 s34, s13
	s_cbranch_execnz .LBB6_4509
	s_branch .LBB6_4510
.LBB6_5556:                             ;   in Loop: Header=BB6_3265 Depth=4
	s_mov_b32 s13, -1
	s_mov_b32 s36, exec_lo
                                        ; implicit-def: $sgpr34
	v_cmpx_eq_u16_e32 0x80, v36
; %bb.5557:                             ;   in Loop: Header=BB6_3265 Depth=4
	s_mov_b32 s34, 0x7f800001
	s_xor_b32 s13, exec_lo, -1
; %bb.5558:                             ;   in Loop: Header=BB6_3265 Depth=4
	s_or_b32 exec_lo, exec_lo, s36
	s_delay_alu instid0(SALU_CYCLE_1)
	s_and_b32 s13, s13, exec_lo
	s_or_saveexec_b32 s35, s35
	v_mov_b32_e32 v37, s34
	s_xor_b32 exec_lo, exec_lo, s35
	s_cbranch_execz .LBB6_4512
.LBB6_5559:                             ;   in Loop: Header=BB6_3265 Depth=4
	v_cmp_ne_u16_e32 vcc_lo, 0, v36
	v_mov_b32_e32 v37, 0
	s_and_not1_b32 s13, s13, exec_lo
	s_and_b32 vcc_lo, vcc_lo, exec_lo
	s_delay_alu instid0(SALU_CYCLE_1)
	s_or_b32 s13, s13, vcc_lo
	s_or_b32 exec_lo, exec_lo, s35
	s_and_saveexec_b32 s34, s13
	s_cbranch_execnz .LBB6_4513
	s_branch .LBB6_4514
.LBB6_5560:                             ;   in Loop: Header=BB6_3265 Depth=4
	s_mov_b32 s13, -1
	s_mov_b32 s36, exec_lo
                                        ; implicit-def: $sgpr34
	v_cmpx_eq_u16_e32 0x80, v37
; %bb.5561:                             ;   in Loop: Header=BB6_3265 Depth=4
	s_mov_b32 s34, 0x7f800001
	s_xor_b32 s13, exec_lo, -1
; %bb.5562:                             ;   in Loop: Header=BB6_3265 Depth=4
	s_or_b32 exec_lo, exec_lo, s36
	s_delay_alu instid0(SALU_CYCLE_1)
	s_and_b32 s13, s13, exec_lo
                                        ; implicit-def: $vgpr37
	s_or_saveexec_b32 s35, s35
	v_mov_b32_e32 v27, s34
	s_xor_b32 exec_lo, exec_lo, s35
	s_cbranch_execz .LBB6_4524
.LBB6_5563:                             ;   in Loop: Header=BB6_3265 Depth=4
	v_cmp_ne_u16_e32 vcc_lo, 0, v37
	v_mov_b32_e32 v27, 0
	s_and_not1_b32 s13, s13, exec_lo
	s_and_b32 vcc_lo, vcc_lo, exec_lo
	s_delay_alu instid0(SALU_CYCLE_1)
	s_or_b32 s13, s13, vcc_lo
	s_or_b32 exec_lo, exec_lo, s35
	v_lshl_or_b32 v26, v36, 16, v26
	s_and_saveexec_b32 s34, s13
	s_cbranch_execnz .LBB6_4525
	s_branch .LBB6_4526
.LBB6_5564:                             ;   in Loop: Header=BB6_3265 Depth=4
	s_mov_b32 s13, -1
	s_mov_b32 s36, exec_lo
                                        ; implicit-def: $sgpr34
	v_cmpx_eq_u16_e32 0x80, v38
; %bb.5565:                             ;   in Loop: Header=BB6_3265 Depth=4
	s_mov_b32 s34, 0x7f800001
	s_xor_b32 s13, exec_lo, -1
; %bb.5566:                             ;   in Loop: Header=BB6_3265 Depth=4
	s_or_b32 exec_lo, exec_lo, s36
	s_delay_alu instid0(SALU_CYCLE_1)
	s_and_b32 s13, s13, exec_lo
                                        ; implicit-def: $vgpr38
	s_or_saveexec_b32 s35, s35
	v_mov_b32_e32 v37, s34
	s_xor_b32 exec_lo, exec_lo, s35
	s_cbranch_execz .LBB6_4528
.LBB6_5567:                             ;   in Loop: Header=BB6_3265 Depth=4
	v_cmp_ne_u16_e32 vcc_lo, 0, v38
	v_mov_b32_e32 v37, 0
	s_and_not1_b32 s13, s13, exec_lo
	s_and_b32 vcc_lo, vcc_lo, exec_lo
	s_delay_alu instid0(SALU_CYCLE_1)
	s_or_b32 s13, s13, vcc_lo
	s_or_b32 exec_lo, exec_lo, s35
	s_and_saveexec_b32 s34, s13
	s_cbranch_execnz .LBB6_4529
	s_branch .LBB6_4530
.LBB6_5568:                             ;   in Loop: Header=BB6_3265 Depth=4
	s_mov_b32 s13, -1
	s_mov_b32 s36, exec_lo
                                        ; implicit-def: $sgpr34
	v_cmpx_eq_u16_e32 0x80, v36
; %bb.5569:                             ;   in Loop: Header=BB6_3265 Depth=4
	s_mov_b32 s34, 0x7f800001
	s_xor_b32 s13, exec_lo, -1
; %bb.5570:                             ;   in Loop: Header=BB6_3265 Depth=4
	s_or_b32 exec_lo, exec_lo, s36
	s_delay_alu instid0(SALU_CYCLE_1)
	s_and_b32 s13, s13, exec_lo
	s_or_saveexec_b32 s35, s35
	v_mov_b32_e32 v27, s34
	s_xor_b32 exec_lo, exec_lo, s35
	s_cbranch_execz .LBB6_4540
.LBB6_5571:                             ;   in Loop: Header=BB6_3265 Depth=4
	v_cmp_ne_u16_e32 vcc_lo, 0, v36
	v_mov_b32_e32 v27, 0
	s_and_not1_b32 s13, s13, exec_lo
	s_and_b32 vcc_lo, vcc_lo, exec_lo
	s_delay_alu instid0(SALU_CYCLE_1)
	s_or_b32 s13, s13, vcc_lo
	s_or_b32 exec_lo, exec_lo, s35
	s_and_saveexec_b32 s34, s13
	s_cbranch_execnz .LBB6_4541
	s_branch .LBB6_4542
.LBB6_5572:                             ;   in Loop: Header=BB6_3265 Depth=4
	s_mov_b32 s13, -1
	s_mov_b32 s36, exec_lo
                                        ; implicit-def: $sgpr34
	v_cmpx_eq_u16_e32 0x80, v26
; %bb.5573:                             ;   in Loop: Header=BB6_3265 Depth=4
	s_mov_b32 s34, 0x7f800001
	s_xor_b32 s13, exec_lo, -1
; %bb.5574:                             ;   in Loop: Header=BB6_3265 Depth=4
	s_or_b32 exec_lo, exec_lo, s36
	s_delay_alu instid0(SALU_CYCLE_1)
	s_and_b32 s13, s13, exec_lo
	s_or_saveexec_b32 s35, s35
	v_mov_b32_e32 v36, s34
	s_xor_b32 exec_lo, exec_lo, s35
	s_cbranch_execz .LBB6_4544
.LBB6_5575:                             ;   in Loop: Header=BB6_3265 Depth=4
	v_cmp_ne_u16_e32 vcc_lo, 0, v26
	v_mov_b32_e32 v36, 0
	s_and_not1_b32 s13, s13, exec_lo
	s_and_b32 vcc_lo, vcc_lo, exec_lo
	s_delay_alu instid0(SALU_CYCLE_1)
	s_or_b32 s13, s13, vcc_lo
	s_or_b32 exec_lo, exec_lo, s35
	s_and_saveexec_b32 s34, s13
	s_cbranch_execnz .LBB6_4545
	s_branch .LBB6_4546
.LBB6_5576:                             ;   in Loop: Header=BB6_3265 Depth=4
	s_mov_b32 s13, -1
	s_mov_b32 s36, exec_lo
                                        ; implicit-def: $sgpr34
	v_cmpx_eq_u16_e32 0x80, v27
; %bb.5577:                             ;   in Loop: Header=BB6_3265 Depth=4
	s_mov_b32 s34, 0x7f800001
	s_xor_b32 s13, exec_lo, -1
; %bb.5578:                             ;   in Loop: Header=BB6_3265 Depth=4
	s_or_b32 exec_lo, exec_lo, s36
	s_delay_alu instid0(SALU_CYCLE_1)
	s_and_b32 s13, s13, exec_lo
                                        ; implicit-def: $vgpr27
	s_or_saveexec_b32 s35, s35
	v_mov_b32_e32 v26, s34
	s_xor_b32 exec_lo, exec_lo, s35
	s_cbranch_execz .LBB6_4556
.LBB6_5579:                             ;   in Loop: Header=BB6_3265 Depth=4
	v_cmp_ne_u16_e32 vcc_lo, 0, v27
	v_mov_b32_e32 v26, 0
	s_and_not1_b32 s13, s13, exec_lo
	s_and_b32 vcc_lo, vcc_lo, exec_lo
	s_delay_alu instid0(SALU_CYCLE_1)
	s_or_b32 s13, s13, vcc_lo
	s_or_b32 exec_lo, exec_lo, s35
	s_and_saveexec_b32 s34, s13
	s_cbranch_execnz .LBB6_4557
	s_branch .LBB6_4558
.LBB6_5580:                             ;   in Loop: Header=BB6_3265 Depth=4
	s_mov_b32 s13, -1
	s_mov_b32 s36, exec_lo
                                        ; implicit-def: $sgpr34
	v_cmpx_eq_u16_e32 0x80, v36
; %bb.5581:                             ;   in Loop: Header=BB6_3265 Depth=4
	s_mov_b32 s34, 0x7f800001
	s_xor_b32 s13, exec_lo, -1
; %bb.5582:                             ;   in Loop: Header=BB6_3265 Depth=4
	s_or_b32 exec_lo, exec_lo, s36
	s_delay_alu instid0(SALU_CYCLE_1)
	s_and_b32 s13, s13, exec_lo
                                        ; implicit-def: $vgpr36
	s_or_saveexec_b32 s35, s35
	v_mov_b32_e32 v27, s34
	s_xor_b32 exec_lo, exec_lo, s35
	s_cbranch_execz .LBB6_4560
.LBB6_5583:                             ;   in Loop: Header=BB6_3265 Depth=4
	v_cmp_ne_u16_e32 vcc_lo, 0, v36
	v_mov_b32_e32 v27, 0
	s_and_not1_b32 s13, s13, exec_lo
	s_and_b32 vcc_lo, vcc_lo, exec_lo
	s_delay_alu instid0(SALU_CYCLE_1)
	s_or_b32 s13, s13, vcc_lo
	s_or_b32 exec_lo, exec_lo, s35
	s_and_saveexec_b32 s34, s13
	s_cbranch_execnz .LBB6_4561
	s_branch .LBB6_4562
.LBB6_5584:                             ;   in Loop: Header=BB6_3265 Depth=4
	s_mov_b32 s13, -1
	s_mov_b32 s36, exec_lo
                                        ; implicit-def: $sgpr34
	v_cmpx_eq_u16_e32 0x80, v27
; %bb.5585:                             ;   in Loop: Header=BB6_3265 Depth=4
	s_mov_b32 s34, 0x7f800001
	s_xor_b32 s13, exec_lo, -1
; %bb.5586:                             ;   in Loop: Header=BB6_3265 Depth=4
	s_or_b32 exec_lo, exec_lo, s36
	s_delay_alu instid0(SALU_CYCLE_1)
	s_and_b32 s13, s13, exec_lo
                                        ; implicit-def: $vgpr27
	s_or_saveexec_b32 s35, s35
	v_mov_b32_e32 v26, s34
	s_xor_b32 exec_lo, exec_lo, s35
	s_cbranch_execz .LBB6_4572
.LBB6_5587:                             ;   in Loop: Header=BB6_3265 Depth=4
	v_cmp_ne_u16_e32 vcc_lo, 0, v27
	v_mov_b32_e32 v26, 0
	s_and_not1_b32 s13, s13, exec_lo
	s_and_b32 vcc_lo, vcc_lo, exec_lo
	s_delay_alu instid0(SALU_CYCLE_1)
	s_or_b32 s13, s13, vcc_lo
	s_or_b32 exec_lo, exec_lo, s35
	s_and_saveexec_b32 s34, s13
	s_cbranch_execnz .LBB6_4573
	s_branch .LBB6_4574
.LBB6_5588:                             ;   in Loop: Header=BB6_3265 Depth=4
	s_mov_b32 s13, -1
	s_mov_b32 s36, exec_lo
                                        ; implicit-def: $sgpr34
	v_cmpx_eq_u16_e32 0x80, v27
; %bb.5589:                             ;   in Loop: Header=BB6_3265 Depth=4
	s_mov_b32 s34, 0x7f800001
	s_xor_b32 s13, exec_lo, -1
; %bb.5590:                             ;   in Loop: Header=BB6_3265 Depth=4
	s_or_b32 exec_lo, exec_lo, s36
	s_delay_alu instid0(SALU_CYCLE_1)
	s_and_b32 s13, s13, exec_lo
	s_or_saveexec_b32 s35, s35
	v_mov_b32_e32 v36, s34
	s_xor_b32 exec_lo, exec_lo, s35
	s_cbranch_execz .LBB6_4576
.LBB6_5591:                             ;   in Loop: Header=BB6_3265 Depth=4
	v_cmp_ne_u16_e32 vcc_lo, 0, v27
	v_mov_b32_e32 v36, 0
	s_and_not1_b32 s13, s13, exec_lo
	s_and_b32 vcc_lo, vcc_lo, exec_lo
	s_delay_alu instid0(SALU_CYCLE_1)
	s_or_b32 s13, s13, vcc_lo
	s_or_b32 exec_lo, exec_lo, s35
	s_and_saveexec_b32 s34, s13
	s_cbranch_execnz .LBB6_4577
	s_branch .LBB6_4578
.LBB6_5592:                             ;   in Loop: Header=BB6_3265 Depth=4
	s_mov_b32 s13, -1
	s_mov_b32 s36, exec_lo
                                        ; implicit-def: $sgpr34
	v_cmpx_eq_u16_e32 0x80, v27
; %bb.5593:                             ;   in Loop: Header=BB6_3265 Depth=4
	s_mov_b32 s34, 0x7f800001
	s_xor_b32 s13, exec_lo, -1
; %bb.5594:                             ;   in Loop: Header=BB6_3265 Depth=4
	s_or_b32 exec_lo, exec_lo, s36
	s_delay_alu instid0(SALU_CYCLE_1)
	s_and_b32 s13, s13, exec_lo
                                        ; implicit-def: $vgpr27
	s_or_saveexec_b32 s35, s35
	v_mov_b32_e32 v26, s34
	s_xor_b32 exec_lo, exec_lo, s35
	s_cbranch_execz .LBB6_4588
.LBB6_5595:                             ;   in Loop: Header=BB6_3265 Depth=4
	v_cmp_ne_u16_e32 vcc_lo, 0, v27
	v_mov_b32_e32 v26, 0
	s_and_not1_b32 s13, s13, exec_lo
	s_and_b32 vcc_lo, vcc_lo, exec_lo
	s_delay_alu instid0(SALU_CYCLE_1)
	s_or_b32 s13, s13, vcc_lo
	s_or_b32 exec_lo, exec_lo, s35
	s_and_saveexec_b32 s34, s13
	s_cbranch_execnz .LBB6_4589
	s_branch .LBB6_4590
.LBB6_5596:                             ;   in Loop: Header=BB6_3265 Depth=4
	s_mov_b32 s13, -1
	s_mov_b32 s36, exec_lo
                                        ; implicit-def: $sgpr34
	v_cmpx_eq_u16_e32 0x80, v37
; %bb.5597:                             ;   in Loop: Header=BB6_3265 Depth=4
	s_mov_b32 s34, 0x7f800001
	s_xor_b32 s13, exec_lo, -1
; %bb.5598:                             ;   in Loop: Header=BB6_3265 Depth=4
	s_or_b32 exec_lo, exec_lo, s36
	s_delay_alu instid0(SALU_CYCLE_1)
	s_and_b32 s13, s13, exec_lo
                                        ; implicit-def: $vgpr37
	s_or_saveexec_b32 s35, s35
	v_mov_b32_e32 v36, s34
	s_xor_b32 exec_lo, exec_lo, s35
	s_cbranch_execz .LBB6_4592
.LBB6_5599:                             ;   in Loop: Header=BB6_3265 Depth=4
	v_cmp_ne_u16_e32 vcc_lo, 0, v37
	v_mov_b32_e32 v36, 0
	s_and_not1_b32 s13, s13, exec_lo
	s_and_b32 vcc_lo, vcc_lo, exec_lo
	s_delay_alu instid0(SALU_CYCLE_1)
	s_or_b32 s13, s13, vcc_lo
	s_or_b32 exec_lo, exec_lo, s35
	s_and_saveexec_b32 s34, s13
	s_cbranch_execnz .LBB6_4593
	s_branch .LBB6_4594
.LBB6_5600:                             ;   in Loop: Header=BB6_3265 Depth=4
	s_mov_b32 s13, -1
	s_mov_b32 s36, exec_lo
                                        ; implicit-def: $sgpr34
	v_cmpx_eq_u16_e32 0x80, v27
; %bb.5601:                             ;   in Loop: Header=BB6_3265 Depth=4
	s_mov_b32 s34, 0x7f800001
	s_xor_b32 s13, exec_lo, -1
; %bb.5602:                             ;   in Loop: Header=BB6_3265 Depth=4
	s_or_b32 exec_lo, exec_lo, s36
	s_delay_alu instid0(SALU_CYCLE_1)
	s_and_b32 s13, s13, exec_lo
	s_or_saveexec_b32 s35, s35
	v_mov_b32_e32 v26, s34
	s_xor_b32 exec_lo, exec_lo, s35
	s_cbranch_execz .LBB6_4604
.LBB6_5603:                             ;   in Loop: Header=BB6_3265 Depth=4
	v_cmp_ne_u16_e32 vcc_lo, 0, v27
	v_mov_b32_e32 v26, 0
	s_and_not1_b32 s13, s13, exec_lo
	s_and_b32 vcc_lo, vcc_lo, exec_lo
	s_delay_alu instid0(SALU_CYCLE_1)
	s_or_b32 s13, s13, vcc_lo
	s_or_b32 exec_lo, exec_lo, s35
	s_and_saveexec_b32 s34, s13
	s_cbranch_execnz .LBB6_4605
	s_branch .LBB6_4606
.LBB6_5604:                             ;   in Loop: Header=BB6_3265 Depth=4
	s_mov_b32 s13, -1
	s_mov_b32 s36, exec_lo
                                        ; implicit-def: $sgpr34
	v_cmpx_eq_u16_e32 0x80, v27
; %bb.5605:                             ;   in Loop: Header=BB6_3265 Depth=4
	s_mov_b32 s34, 0x7f800001
	s_xor_b32 s13, exec_lo, -1
; %bb.5606:                             ;   in Loop: Header=BB6_3265 Depth=4
	s_or_b32 exec_lo, exec_lo, s36
	s_delay_alu instid0(SALU_CYCLE_1)
	s_and_b32 s13, s13, exec_lo
	s_or_saveexec_b32 s35, s35
	v_mov_b32_e32 v36, s34
	s_xor_b32 exec_lo, exec_lo, s35
	s_cbranch_execz .LBB6_4608
.LBB6_5607:                             ;   in Loop: Header=BB6_3265 Depth=4
	v_cmp_ne_u16_e32 vcc_lo, 0, v27
	v_mov_b32_e32 v36, 0
	s_and_not1_b32 s13, s13, exec_lo
	s_and_b32 vcc_lo, vcc_lo, exec_lo
	s_delay_alu instid0(SALU_CYCLE_1)
	s_or_b32 s13, s13, vcc_lo
	s_or_b32 exec_lo, exec_lo, s35
	s_and_saveexec_b32 s34, s13
	s_cbranch_execnz .LBB6_4609
	s_branch .LBB6_4610
.LBB6_5608:                             ;   in Loop: Header=BB6_3265 Depth=4
	s_mov_b32 s13, -1
	s_mov_b32 s36, exec_lo
                                        ; implicit-def: $sgpr34
	v_cmpx_eq_u16_e32 0x80, v36
; %bb.5609:                             ;   in Loop: Header=BB6_3265 Depth=4
	s_mov_b32 s34, 0x7f800001
	s_xor_b32 s13, exec_lo, -1
; %bb.5610:                             ;   in Loop: Header=BB6_3265 Depth=4
	s_or_b32 exec_lo, exec_lo, s36
	s_delay_alu instid0(SALU_CYCLE_1)
	s_and_b32 s13, s13, exec_lo
                                        ; implicit-def: $vgpr36
	s_or_saveexec_b32 s35, s35
	v_mov_b32_e32 v27, s34
	s_xor_b32 exec_lo, exec_lo, s35
	s_cbranch_execz .LBB6_4620
.LBB6_5611:                             ;   in Loop: Header=BB6_3265 Depth=4
	v_cmp_ne_u16_e32 vcc_lo, 0, v36
	v_mov_b32_e32 v27, 0
	s_and_not1_b32 s13, s13, exec_lo
	s_and_b32 vcc_lo, vcc_lo, exec_lo
	s_delay_alu instid0(SALU_CYCLE_1)
	s_or_b32 s13, s13, vcc_lo
	s_or_b32 exec_lo, exec_lo, s35
	s_and_saveexec_b32 s34, s13
	s_cbranch_execnz .LBB6_4621
	s_branch .LBB6_4622
.LBB6_5612:                             ;   in Loop: Header=BB6_3265 Depth=4
	s_mov_b32 s13, -1
	s_mov_b32 s36, exec_lo
                                        ; implicit-def: $sgpr34
	v_cmpx_eq_u16_e32 0x80, v37
; %bb.5613:                             ;   in Loop: Header=BB6_3265 Depth=4
	s_mov_b32 s34, 0x7f800001
	s_xor_b32 s13, exec_lo, -1
; %bb.5614:                             ;   in Loop: Header=BB6_3265 Depth=4
	s_or_b32 exec_lo, exec_lo, s36
	s_delay_alu instid0(SALU_CYCLE_1)
	s_and_b32 s13, s13, exec_lo
                                        ; implicit-def: $vgpr37
	s_or_saveexec_b32 s35, s35
	v_mov_b32_e32 v36, s34
	s_xor_b32 exec_lo, exec_lo, s35
	s_cbranch_execz .LBB6_4624
.LBB6_5615:                             ;   in Loop: Header=BB6_3265 Depth=4
	v_cmp_ne_u16_e32 vcc_lo, 0, v37
	v_mov_b32_e32 v36, 0
	s_and_not1_b32 s13, s13, exec_lo
	s_and_b32 vcc_lo, vcc_lo, exec_lo
	s_delay_alu instid0(SALU_CYCLE_1)
	s_or_b32 s13, s13, vcc_lo
	s_or_b32 exec_lo, exec_lo, s35
	s_and_saveexec_b32 s34, s13
	s_cbranch_execnz .LBB6_4625
	s_branch .LBB6_4626
.LBB6_5616:                             ;   in Loop: Header=BB6_3265 Depth=4
	s_mov_b32 s13, -1
	s_mov_b32 s36, exec_lo
                                        ; implicit-def: $sgpr34
	v_cmpx_eq_u16_e32 0x80, v36
; %bb.5617:                             ;   in Loop: Header=BB6_3265 Depth=4
	s_mov_b32 s34, 0x7f800001
	s_xor_b32 s13, exec_lo, -1
; %bb.5618:                             ;   in Loop: Header=BB6_3265 Depth=4
	s_or_b32 exec_lo, exec_lo, s36
	s_delay_alu instid0(SALU_CYCLE_1)
	s_and_b32 s13, s13, exec_lo
	s_or_saveexec_b32 s35, s35
	v_mov_b32_e32 v27, s34
	s_xor_b32 exec_lo, exec_lo, s35
	s_cbranch_execz .LBB6_4636
.LBB6_5619:                             ;   in Loop: Header=BB6_3265 Depth=4
	v_cmp_ne_u16_e32 vcc_lo, 0, v36
	v_mov_b32_e32 v27, 0
	s_and_not1_b32 s13, s13, exec_lo
	s_and_b32 vcc_lo, vcc_lo, exec_lo
	s_delay_alu instid0(SALU_CYCLE_1)
	s_or_b32 s13, s13, vcc_lo
	s_or_b32 exec_lo, exec_lo, s35
	s_and_saveexec_b32 s34, s13
	s_cbranch_execnz .LBB6_4637
	s_branch .LBB6_4638
.LBB6_5620:                             ;   in Loop: Header=BB6_3265 Depth=4
	s_mov_b32 s13, -1
	s_mov_b32 s36, exec_lo
                                        ; implicit-def: $sgpr34
	v_cmpx_eq_u16_e32 0x80, v36
; %bb.5621:                             ;   in Loop: Header=BB6_3265 Depth=4
	s_mov_b32 s34, 0x7f800001
	s_xor_b32 s13, exec_lo, -1
; %bb.5622:                             ;   in Loop: Header=BB6_3265 Depth=4
	s_or_b32 exec_lo, exec_lo, s36
	s_delay_alu instid0(SALU_CYCLE_1)
	s_and_b32 s13, s13, exec_lo
	s_or_saveexec_b32 s35, s35
	v_mov_b32_e32 v37, s34
	s_xor_b32 exec_lo, exec_lo, s35
	s_cbranch_execz .LBB6_4640
.LBB6_5623:                             ;   in Loop: Header=BB6_3265 Depth=4
	v_cmp_ne_u16_e32 vcc_lo, 0, v36
	v_mov_b32_e32 v37, 0
	s_and_not1_b32 s13, s13, exec_lo
	s_and_b32 vcc_lo, vcc_lo, exec_lo
	s_delay_alu instid0(SALU_CYCLE_1)
	s_or_b32 s13, s13, vcc_lo
	s_or_b32 exec_lo, exec_lo, s35
	s_and_saveexec_b32 s34, s13
	s_cbranch_execnz .LBB6_4641
	s_branch .LBB6_4642
.LBB6_5624:                             ;   in Loop: Header=BB6_3265 Depth=4
	s_mov_b32 s13, -1
	s_mov_b32 s36, exec_lo
                                        ; implicit-def: $sgpr34
	v_cmpx_eq_u16_e32 0x80, v37
; %bb.5625:                             ;   in Loop: Header=BB6_3265 Depth=4
	s_mov_b32 s34, 0x7f800001
	s_xor_b32 s13, exec_lo, -1
; %bb.5626:                             ;   in Loop: Header=BB6_3265 Depth=4
	s_or_b32 exec_lo, exec_lo, s36
	s_delay_alu instid0(SALU_CYCLE_1)
	s_and_b32 s13, s13, exec_lo
                                        ; implicit-def: $vgpr37
	s_or_saveexec_b32 s35, s35
	v_mov_b32_e32 v27, s34
	s_xor_b32 exec_lo, exec_lo, s35
	s_cbranch_execz .LBB6_4652
.LBB6_5627:                             ;   in Loop: Header=BB6_3265 Depth=4
	v_cmp_ne_u16_e32 vcc_lo, 0, v37
	v_mov_b32_e32 v27, 0
	s_and_not1_b32 s13, s13, exec_lo
	s_and_b32 vcc_lo, vcc_lo, exec_lo
	s_delay_alu instid0(SALU_CYCLE_1)
	s_or_b32 s13, s13, vcc_lo
	s_or_b32 exec_lo, exec_lo, s35
	v_lshl_or_b32 v26, v36, 16, v26
	s_and_saveexec_b32 s34, s13
	s_cbranch_execnz .LBB6_4653
	s_branch .LBB6_4654
.LBB6_5628:                             ;   in Loop: Header=BB6_3265 Depth=4
	s_mov_b32 s13, -1
	s_mov_b32 s36, exec_lo
                                        ; implicit-def: $sgpr34
	v_cmpx_eq_u16_e32 0x80, v38
; %bb.5629:                             ;   in Loop: Header=BB6_3265 Depth=4
	s_mov_b32 s34, 0x7f800001
	s_xor_b32 s13, exec_lo, -1
; %bb.5630:                             ;   in Loop: Header=BB6_3265 Depth=4
	s_or_b32 exec_lo, exec_lo, s36
	s_delay_alu instid0(SALU_CYCLE_1)
	s_and_b32 s13, s13, exec_lo
                                        ; implicit-def: $vgpr38
	s_or_saveexec_b32 s35, s35
	v_mov_b32_e32 v37, s34
	s_xor_b32 exec_lo, exec_lo, s35
	s_cbranch_execz .LBB6_4656
.LBB6_5631:                             ;   in Loop: Header=BB6_3265 Depth=4
	v_cmp_ne_u16_e32 vcc_lo, 0, v38
	v_mov_b32_e32 v37, 0
	s_and_not1_b32 s13, s13, exec_lo
	s_and_b32 vcc_lo, vcc_lo, exec_lo
	s_delay_alu instid0(SALU_CYCLE_1)
	s_or_b32 s13, s13, vcc_lo
	s_or_b32 exec_lo, exec_lo, s35
	s_and_saveexec_b32 s34, s13
	s_cbranch_execnz .LBB6_4657
	s_branch .LBB6_4658
.LBB6_5632:                             ;   in Loop: Header=BB6_3265 Depth=4
	s_mov_b32 s13, -1
	s_mov_b32 s36, exec_lo
                                        ; implicit-def: $sgpr34
	v_cmpx_eq_u16_e32 0x80, v36
; %bb.5633:                             ;   in Loop: Header=BB6_3265 Depth=4
	s_mov_b32 s34, 0x7f800001
	s_xor_b32 s13, exec_lo, -1
; %bb.5634:                             ;   in Loop: Header=BB6_3265 Depth=4
	s_or_b32 exec_lo, exec_lo, s36
	s_delay_alu instid0(SALU_CYCLE_1)
	s_and_b32 s13, s13, exec_lo
	s_or_saveexec_b32 s35, s35
	v_mov_b32_e32 v27, s34
	s_xor_b32 exec_lo, exec_lo, s35
	s_cbranch_execz .LBB6_4668
.LBB6_5635:                             ;   in Loop: Header=BB6_3265 Depth=4
	v_cmp_ne_u16_e32 vcc_lo, 0, v36
	v_mov_b32_e32 v27, 0
	s_and_not1_b32 s13, s13, exec_lo
	s_and_b32 vcc_lo, vcc_lo, exec_lo
	s_delay_alu instid0(SALU_CYCLE_1)
	s_or_b32 s13, s13, vcc_lo
	s_or_b32 exec_lo, exec_lo, s35
	s_and_saveexec_b32 s34, s13
	s_cbranch_execnz .LBB6_4669
	s_branch .LBB6_4670
.LBB6_5636:                             ;   in Loop: Header=BB6_3265 Depth=4
	s_mov_b32 s13, -1
	s_mov_b32 s36, exec_lo
                                        ; implicit-def: $sgpr34
	v_cmpx_eq_u16_e32 0x80, v26
; %bb.5637:                             ;   in Loop: Header=BB6_3265 Depth=4
	s_mov_b32 s34, 0x7f800001
	s_xor_b32 s13, exec_lo, -1
; %bb.5638:                             ;   in Loop: Header=BB6_3265 Depth=4
	s_or_b32 exec_lo, exec_lo, s36
	s_delay_alu instid0(SALU_CYCLE_1)
	s_and_b32 s13, s13, exec_lo
	s_or_saveexec_b32 s35, s35
	v_mov_b32_e32 v36, s34
	s_xor_b32 exec_lo, exec_lo, s35
	s_cbranch_execz .LBB6_4672
.LBB6_5639:                             ;   in Loop: Header=BB6_3265 Depth=4
	v_cmp_ne_u16_e32 vcc_lo, 0, v26
	v_mov_b32_e32 v36, 0
	s_and_not1_b32 s13, s13, exec_lo
	s_and_b32 vcc_lo, vcc_lo, exec_lo
	s_delay_alu instid0(SALU_CYCLE_1)
	s_or_b32 s13, s13, vcc_lo
	s_or_b32 exec_lo, exec_lo, s35
	s_and_saveexec_b32 s34, s13
	s_cbranch_execnz .LBB6_4673
	s_branch .LBB6_4674
.LBB6_5640:                             ;   in Loop: Header=BB6_3265 Depth=4
	s_mov_b32 s13, -1
	s_mov_b32 s36, exec_lo
                                        ; implicit-def: $sgpr34
	v_cmpx_eq_u16_e32 0x80, v27
; %bb.5641:                             ;   in Loop: Header=BB6_3265 Depth=4
	s_mov_b32 s34, 0x7f800001
	s_xor_b32 s13, exec_lo, -1
; %bb.5642:                             ;   in Loop: Header=BB6_3265 Depth=4
	s_or_b32 exec_lo, exec_lo, s36
	s_delay_alu instid0(SALU_CYCLE_1)
	s_and_b32 s13, s13, exec_lo
                                        ; implicit-def: $vgpr27
	s_or_saveexec_b32 s35, s35
	v_mov_b32_e32 v26, s34
	s_xor_b32 exec_lo, exec_lo, s35
	s_cbranch_execz .LBB6_4684
.LBB6_5643:                             ;   in Loop: Header=BB6_3265 Depth=4
	v_cmp_ne_u16_e32 vcc_lo, 0, v27
	v_mov_b32_e32 v26, 0
	s_and_not1_b32 s13, s13, exec_lo
	s_and_b32 vcc_lo, vcc_lo, exec_lo
	s_delay_alu instid0(SALU_CYCLE_1)
	s_or_b32 s13, s13, vcc_lo
	s_or_b32 exec_lo, exec_lo, s35
	s_and_saveexec_b32 s34, s13
	s_cbranch_execnz .LBB6_4685
	s_branch .LBB6_4686
.LBB6_5644:                             ;   in Loop: Header=BB6_3265 Depth=4
	s_mov_b32 s13, -1
	s_mov_b32 s36, exec_lo
                                        ; implicit-def: $sgpr34
	v_cmpx_eq_u16_e32 0x80, v36
; %bb.5645:                             ;   in Loop: Header=BB6_3265 Depth=4
	s_mov_b32 s34, 0x7f800001
	s_xor_b32 s13, exec_lo, -1
; %bb.5646:                             ;   in Loop: Header=BB6_3265 Depth=4
	s_or_b32 exec_lo, exec_lo, s36
	s_delay_alu instid0(SALU_CYCLE_1)
	s_and_b32 s13, s13, exec_lo
                                        ; implicit-def: $vgpr36
	s_or_saveexec_b32 s35, s35
	v_mov_b32_e32 v27, s34
	s_xor_b32 exec_lo, exec_lo, s35
	s_cbranch_execz .LBB6_4688
.LBB6_5647:                             ;   in Loop: Header=BB6_3265 Depth=4
	v_cmp_ne_u16_e32 vcc_lo, 0, v36
	v_mov_b32_e32 v27, 0
	s_and_not1_b32 s13, s13, exec_lo
	s_and_b32 vcc_lo, vcc_lo, exec_lo
	s_delay_alu instid0(SALU_CYCLE_1)
	s_or_b32 s13, s13, vcc_lo
	s_or_b32 exec_lo, exec_lo, s35
	s_and_saveexec_b32 s34, s13
	s_cbranch_execnz .LBB6_4689
	s_branch .LBB6_4690
.LBB6_5648:                             ;   in Loop: Header=BB6_3265 Depth=4
	s_mov_b32 s13, -1
	s_mov_b32 s36, exec_lo
                                        ; implicit-def: $sgpr34
	v_cmpx_eq_u16_e32 0x80, v27
; %bb.5649:                             ;   in Loop: Header=BB6_3265 Depth=4
	s_mov_b32 s34, 0x7f800001
	s_xor_b32 s13, exec_lo, -1
; %bb.5650:                             ;   in Loop: Header=BB6_3265 Depth=4
	s_or_b32 exec_lo, exec_lo, s36
	s_delay_alu instid0(SALU_CYCLE_1)
	s_and_b32 s13, s13, exec_lo
                                        ; implicit-def: $vgpr27
	s_or_saveexec_b32 s35, s35
	v_mov_b32_e32 v26, s34
	s_xor_b32 exec_lo, exec_lo, s35
	s_cbranch_execz .LBB6_4700
.LBB6_5651:                             ;   in Loop: Header=BB6_3265 Depth=4
	v_cmp_ne_u16_e32 vcc_lo, 0, v27
	v_mov_b32_e32 v26, 0
	s_and_not1_b32 s13, s13, exec_lo
	s_and_b32 vcc_lo, vcc_lo, exec_lo
	s_delay_alu instid0(SALU_CYCLE_1)
	s_or_b32 s13, s13, vcc_lo
	s_or_b32 exec_lo, exec_lo, s35
	s_and_saveexec_b32 s34, s13
	s_cbranch_execnz .LBB6_4701
	s_branch .LBB6_4702
.LBB6_5652:                             ;   in Loop: Header=BB6_3265 Depth=4
	s_mov_b32 s13, -1
	s_mov_b32 s36, exec_lo
                                        ; implicit-def: $sgpr34
	v_cmpx_eq_u16_e32 0x80, v27
; %bb.5653:                             ;   in Loop: Header=BB6_3265 Depth=4
	s_mov_b32 s34, 0x7f800001
	s_xor_b32 s13, exec_lo, -1
; %bb.5654:                             ;   in Loop: Header=BB6_3265 Depth=4
	s_or_b32 exec_lo, exec_lo, s36
	s_delay_alu instid0(SALU_CYCLE_1)
	s_and_b32 s13, s13, exec_lo
	s_or_saveexec_b32 s35, s35
	v_mov_b32_e32 v36, s34
	s_xor_b32 exec_lo, exec_lo, s35
	s_cbranch_execz .LBB6_4704
.LBB6_5655:                             ;   in Loop: Header=BB6_3265 Depth=4
	v_cmp_ne_u16_e32 vcc_lo, 0, v27
	v_mov_b32_e32 v36, 0
	s_and_not1_b32 s13, s13, exec_lo
	s_and_b32 vcc_lo, vcc_lo, exec_lo
	s_delay_alu instid0(SALU_CYCLE_1)
	s_or_b32 s13, s13, vcc_lo
	s_or_b32 exec_lo, exec_lo, s35
	s_and_saveexec_b32 s34, s13
	s_cbranch_execnz .LBB6_4705
	s_branch .LBB6_4706
.LBB6_5656:                             ;   in Loop: Header=BB6_3265 Depth=4
	s_mov_b32 s13, -1
	s_mov_b32 s36, exec_lo
                                        ; implicit-def: $sgpr34
	v_cmpx_eq_u16_e32 0x80, v27
; %bb.5657:                             ;   in Loop: Header=BB6_3265 Depth=4
	s_mov_b32 s34, 0x7f800001
	s_xor_b32 s13, exec_lo, -1
; %bb.5658:                             ;   in Loop: Header=BB6_3265 Depth=4
	s_or_b32 exec_lo, exec_lo, s36
	s_delay_alu instid0(SALU_CYCLE_1)
	s_and_b32 s13, s13, exec_lo
                                        ; implicit-def: $vgpr27
	s_or_saveexec_b32 s35, s35
	v_mov_b32_e32 v26, s34
	s_xor_b32 exec_lo, exec_lo, s35
	s_cbranch_execz .LBB6_4716
.LBB6_5659:                             ;   in Loop: Header=BB6_3265 Depth=4
	v_cmp_ne_u16_e32 vcc_lo, 0, v27
	v_mov_b32_e32 v26, 0
	s_and_not1_b32 s13, s13, exec_lo
	s_and_b32 vcc_lo, vcc_lo, exec_lo
	s_delay_alu instid0(SALU_CYCLE_1)
	s_or_b32 s13, s13, vcc_lo
	s_or_b32 exec_lo, exec_lo, s35
	s_and_saveexec_b32 s34, s13
	s_cbranch_execnz .LBB6_4717
	s_branch .LBB6_4718
.LBB6_5660:                             ;   in Loop: Header=BB6_3265 Depth=4
	s_mov_b32 s13, -1
	s_mov_b32 s36, exec_lo
                                        ; implicit-def: $sgpr34
	v_cmpx_eq_u16_e32 0x80, v37
; %bb.5661:                             ;   in Loop: Header=BB6_3265 Depth=4
	s_mov_b32 s34, 0x7f800001
	s_xor_b32 s13, exec_lo, -1
; %bb.5662:                             ;   in Loop: Header=BB6_3265 Depth=4
	s_or_b32 exec_lo, exec_lo, s36
	s_delay_alu instid0(SALU_CYCLE_1)
	s_and_b32 s13, s13, exec_lo
                                        ; implicit-def: $vgpr37
	s_or_saveexec_b32 s35, s35
	v_mov_b32_e32 v36, s34
	s_xor_b32 exec_lo, exec_lo, s35
	s_cbranch_execz .LBB6_4720
.LBB6_5663:                             ;   in Loop: Header=BB6_3265 Depth=4
	v_cmp_ne_u16_e32 vcc_lo, 0, v37
	v_mov_b32_e32 v36, 0
	s_and_not1_b32 s13, s13, exec_lo
	s_and_b32 vcc_lo, vcc_lo, exec_lo
	s_delay_alu instid0(SALU_CYCLE_1)
	s_or_b32 s13, s13, vcc_lo
	s_or_b32 exec_lo, exec_lo, s35
	s_and_saveexec_b32 s34, s13
	s_cbranch_execnz .LBB6_4721
	s_branch .LBB6_4722
.LBB6_5664:                             ;   in Loop: Header=BB6_3265 Depth=4
	s_mov_b32 s13, -1
	s_mov_b32 s36, exec_lo
                                        ; implicit-def: $sgpr34
	v_cmpx_eq_u16_e32 0x80, v27
; %bb.5665:                             ;   in Loop: Header=BB6_3265 Depth=4
	s_mov_b32 s34, 0x7f800001
	s_xor_b32 s13, exec_lo, -1
; %bb.5666:                             ;   in Loop: Header=BB6_3265 Depth=4
	s_or_b32 exec_lo, exec_lo, s36
	s_delay_alu instid0(SALU_CYCLE_1)
	s_and_b32 s13, s13, exec_lo
	s_or_saveexec_b32 s35, s35
	v_mov_b32_e32 v26, s34
	s_xor_b32 exec_lo, exec_lo, s35
	s_cbranch_execz .LBB6_4732
.LBB6_5667:                             ;   in Loop: Header=BB6_3265 Depth=4
	v_cmp_ne_u16_e32 vcc_lo, 0, v27
	v_mov_b32_e32 v26, 0
	s_and_not1_b32 s13, s13, exec_lo
	s_and_b32 vcc_lo, vcc_lo, exec_lo
	s_delay_alu instid0(SALU_CYCLE_1)
	s_or_b32 s13, s13, vcc_lo
	s_or_b32 exec_lo, exec_lo, s35
	s_and_saveexec_b32 s34, s13
	s_cbranch_execnz .LBB6_4733
	s_branch .LBB6_4734
.LBB6_5668:                             ;   in Loop: Header=BB6_3265 Depth=4
	s_mov_b32 s13, -1
	s_mov_b32 s36, exec_lo
                                        ; implicit-def: $sgpr34
	v_cmpx_eq_u16_e32 0x80, v27
; %bb.5669:                             ;   in Loop: Header=BB6_3265 Depth=4
	s_mov_b32 s34, 0x7f800001
	s_xor_b32 s13, exec_lo, -1
; %bb.5670:                             ;   in Loop: Header=BB6_3265 Depth=4
	s_or_b32 exec_lo, exec_lo, s36
	s_delay_alu instid0(SALU_CYCLE_1)
	s_and_b32 s13, s13, exec_lo
	s_or_saveexec_b32 s35, s35
	v_mov_b32_e32 v36, s34
	s_xor_b32 exec_lo, exec_lo, s35
	s_cbranch_execz .LBB6_4736
.LBB6_5671:                             ;   in Loop: Header=BB6_3265 Depth=4
	v_cmp_ne_u16_e32 vcc_lo, 0, v27
	v_mov_b32_e32 v36, 0
	s_and_not1_b32 s13, s13, exec_lo
	s_and_b32 vcc_lo, vcc_lo, exec_lo
	s_delay_alu instid0(SALU_CYCLE_1)
	s_or_b32 s13, s13, vcc_lo
	s_or_b32 exec_lo, exec_lo, s35
	s_and_saveexec_b32 s34, s13
	s_cbranch_execnz .LBB6_4737
	s_branch .LBB6_4738
.LBB6_5672:                             ;   in Loop: Header=BB6_3265 Depth=4
	s_mov_b32 s13, -1
	s_mov_b32 s36, exec_lo
                                        ; implicit-def: $sgpr34
	v_cmpx_eq_u16_e32 0x80, v36
; %bb.5673:                             ;   in Loop: Header=BB6_3265 Depth=4
	s_mov_b32 s34, 0x7f800001
	s_xor_b32 s13, exec_lo, -1
; %bb.5674:                             ;   in Loop: Header=BB6_3265 Depth=4
	s_or_b32 exec_lo, exec_lo, s36
	s_delay_alu instid0(SALU_CYCLE_1)
	s_and_b32 s13, s13, exec_lo
                                        ; implicit-def: $vgpr36
	s_or_saveexec_b32 s35, s35
	v_mov_b32_e32 v27, s34
	s_xor_b32 exec_lo, exec_lo, s35
	s_cbranch_execz .LBB6_4748
.LBB6_5675:                             ;   in Loop: Header=BB6_3265 Depth=4
	v_cmp_ne_u16_e32 vcc_lo, 0, v36
	v_mov_b32_e32 v27, 0
	s_and_not1_b32 s13, s13, exec_lo
	s_and_b32 vcc_lo, vcc_lo, exec_lo
	s_delay_alu instid0(SALU_CYCLE_1)
	s_or_b32 s13, s13, vcc_lo
	s_or_b32 exec_lo, exec_lo, s35
	s_and_saveexec_b32 s34, s13
	s_cbranch_execnz .LBB6_4749
	s_branch .LBB6_4750
.LBB6_5676:                             ;   in Loop: Header=BB6_3265 Depth=4
	s_mov_b32 s13, -1
	s_mov_b32 s36, exec_lo
                                        ; implicit-def: $sgpr34
	v_cmpx_eq_u16_e32 0x80, v37
; %bb.5677:                             ;   in Loop: Header=BB6_3265 Depth=4
	s_mov_b32 s34, 0x7f800001
	s_xor_b32 s13, exec_lo, -1
; %bb.5678:                             ;   in Loop: Header=BB6_3265 Depth=4
	s_or_b32 exec_lo, exec_lo, s36
	s_delay_alu instid0(SALU_CYCLE_1)
	s_and_b32 s13, s13, exec_lo
                                        ; implicit-def: $vgpr37
	s_or_saveexec_b32 s35, s35
	v_mov_b32_e32 v36, s34
	s_xor_b32 exec_lo, exec_lo, s35
	s_cbranch_execz .LBB6_4752
.LBB6_5679:                             ;   in Loop: Header=BB6_3265 Depth=4
	v_cmp_ne_u16_e32 vcc_lo, 0, v37
	v_mov_b32_e32 v36, 0
	s_and_not1_b32 s13, s13, exec_lo
	s_and_b32 vcc_lo, vcc_lo, exec_lo
	s_delay_alu instid0(SALU_CYCLE_1)
	s_or_b32 s13, s13, vcc_lo
	s_or_b32 exec_lo, exec_lo, s35
	s_and_saveexec_b32 s34, s13
	s_cbranch_execnz .LBB6_4753
	s_branch .LBB6_4754
.LBB6_5680:                             ;   in Loop: Header=BB6_3265 Depth=4
	s_mov_b32 s13, -1
	s_mov_b32 s36, exec_lo
                                        ; implicit-def: $sgpr34
	v_cmpx_eq_u16_e32 0x80, v36
; %bb.5681:                             ;   in Loop: Header=BB6_3265 Depth=4
	s_mov_b32 s34, 0x7f800001
	s_xor_b32 s13, exec_lo, -1
; %bb.5682:                             ;   in Loop: Header=BB6_3265 Depth=4
	s_or_b32 exec_lo, exec_lo, s36
	s_delay_alu instid0(SALU_CYCLE_1)
	s_and_b32 s13, s13, exec_lo
	s_or_saveexec_b32 s35, s35
	v_mov_b32_e32 v27, s34
	s_xor_b32 exec_lo, exec_lo, s35
	s_cbranch_execz .LBB6_4764
.LBB6_5683:                             ;   in Loop: Header=BB6_3265 Depth=4
	v_cmp_ne_u16_e32 vcc_lo, 0, v36
	v_mov_b32_e32 v27, 0
	s_and_not1_b32 s13, s13, exec_lo
	s_and_b32 vcc_lo, vcc_lo, exec_lo
	s_delay_alu instid0(SALU_CYCLE_1)
	s_or_b32 s13, s13, vcc_lo
	s_or_b32 exec_lo, exec_lo, s35
	s_and_saveexec_b32 s34, s13
	s_cbranch_execnz .LBB6_4765
	s_branch .LBB6_4766
.LBB6_5684:                             ;   in Loop: Header=BB6_3265 Depth=4
	s_mov_b32 s13, -1
	s_mov_b32 s36, exec_lo
                                        ; implicit-def: $sgpr34
	v_cmpx_eq_u16_e32 0x80, v36
; %bb.5685:                             ;   in Loop: Header=BB6_3265 Depth=4
	s_mov_b32 s34, 0x7f800001
	s_xor_b32 s13, exec_lo, -1
; %bb.5686:                             ;   in Loop: Header=BB6_3265 Depth=4
	s_or_b32 exec_lo, exec_lo, s36
	s_delay_alu instid0(SALU_CYCLE_1)
	s_and_b32 s13, s13, exec_lo
	s_or_saveexec_b32 s35, s35
	v_mov_b32_e32 v37, s34
	s_xor_b32 exec_lo, exec_lo, s35
	s_cbranch_execz .LBB6_4768
.LBB6_5687:                             ;   in Loop: Header=BB6_3265 Depth=4
	v_cmp_ne_u16_e32 vcc_lo, 0, v36
	v_mov_b32_e32 v37, 0
	s_and_not1_b32 s13, s13, exec_lo
	s_and_b32 vcc_lo, vcc_lo, exec_lo
	s_delay_alu instid0(SALU_CYCLE_1)
	s_or_b32 s13, s13, vcc_lo
	s_or_b32 exec_lo, exec_lo, s35
	s_and_saveexec_b32 s34, s13
	s_cbranch_execnz .LBB6_4769
	s_branch .LBB6_4770
.LBB6_5688:                             ;   in Loop: Header=BB6_3265 Depth=4
	s_mov_b32 s13, -1
	s_mov_b32 s36, exec_lo
                                        ; implicit-def: $sgpr34
	v_cmpx_eq_u16_e32 0x80, v37
; %bb.5689:                             ;   in Loop: Header=BB6_3265 Depth=4
	s_mov_b32 s34, 0x7f800001
	s_xor_b32 s13, exec_lo, -1
; %bb.5690:                             ;   in Loop: Header=BB6_3265 Depth=4
	s_or_b32 exec_lo, exec_lo, s36
	s_delay_alu instid0(SALU_CYCLE_1)
	s_and_b32 s13, s13, exec_lo
                                        ; implicit-def: $vgpr37
	s_or_saveexec_b32 s35, s35
	v_mov_b32_e32 v27, s34
	s_xor_b32 exec_lo, exec_lo, s35
	s_cbranch_execz .LBB6_4780
.LBB6_5691:                             ;   in Loop: Header=BB6_3265 Depth=4
	v_cmp_ne_u16_e32 vcc_lo, 0, v37
	v_mov_b32_e32 v27, 0
	s_and_not1_b32 s13, s13, exec_lo
	s_and_b32 vcc_lo, vcc_lo, exec_lo
	s_delay_alu instid0(SALU_CYCLE_1)
	s_or_b32 s13, s13, vcc_lo
	s_or_b32 exec_lo, exec_lo, s35
	v_lshl_or_b32 v26, v36, 16, v26
	s_and_saveexec_b32 s34, s13
	s_cbranch_execnz .LBB6_4781
	s_branch .LBB6_4782
.LBB6_5692:                             ;   in Loop: Header=BB6_3265 Depth=4
	s_mov_b32 s13, -1
	s_mov_b32 s36, exec_lo
                                        ; implicit-def: $sgpr34
	v_cmpx_eq_u16_e32 0x80, v38
; %bb.5693:                             ;   in Loop: Header=BB6_3265 Depth=4
	s_mov_b32 s34, 0x7f800001
	s_xor_b32 s13, exec_lo, -1
; %bb.5694:                             ;   in Loop: Header=BB6_3265 Depth=4
	s_or_b32 exec_lo, exec_lo, s36
	s_delay_alu instid0(SALU_CYCLE_1)
	s_and_b32 s13, s13, exec_lo
                                        ; implicit-def: $vgpr38
	s_or_saveexec_b32 s35, s35
	v_mov_b32_e32 v37, s34
	s_xor_b32 exec_lo, exec_lo, s35
	s_cbranch_execz .LBB6_4784
.LBB6_5695:                             ;   in Loop: Header=BB6_3265 Depth=4
	v_cmp_ne_u16_e32 vcc_lo, 0, v38
	v_mov_b32_e32 v37, 0
	s_and_not1_b32 s13, s13, exec_lo
	s_and_b32 vcc_lo, vcc_lo, exec_lo
	s_delay_alu instid0(SALU_CYCLE_1)
	s_or_b32 s13, s13, vcc_lo
	s_or_b32 exec_lo, exec_lo, s35
	s_and_saveexec_b32 s34, s13
	s_cbranch_execnz .LBB6_4785
	s_branch .LBB6_4786
.LBB6_5696:                             ;   in Loop: Header=BB6_3265 Depth=4
	s_mov_b32 s13, -1
	s_mov_b32 s36, exec_lo
                                        ; implicit-def: $sgpr34
	v_cmpx_eq_u16_e32 0x80, v36
; %bb.5697:                             ;   in Loop: Header=BB6_3265 Depth=4
	s_mov_b32 s34, 0x7f800001
	s_xor_b32 s13, exec_lo, -1
; %bb.5698:                             ;   in Loop: Header=BB6_3265 Depth=4
	s_or_b32 exec_lo, exec_lo, s36
	s_delay_alu instid0(SALU_CYCLE_1)
	s_and_b32 s13, s13, exec_lo
	s_or_saveexec_b32 s35, s35
	v_mov_b32_e32 v27, s34
	s_xor_b32 exec_lo, exec_lo, s35
	s_cbranch_execz .LBB6_4796
.LBB6_5699:                             ;   in Loop: Header=BB6_3265 Depth=4
	v_cmp_ne_u16_e32 vcc_lo, 0, v36
	v_mov_b32_e32 v27, 0
	s_and_not1_b32 s13, s13, exec_lo
	s_and_b32 vcc_lo, vcc_lo, exec_lo
	s_delay_alu instid0(SALU_CYCLE_1)
	s_or_b32 s13, s13, vcc_lo
	s_or_b32 exec_lo, exec_lo, s35
	s_and_saveexec_b32 s34, s13
	s_cbranch_execnz .LBB6_4797
	s_branch .LBB6_4798
.LBB6_5700:                             ;   in Loop: Header=BB6_3265 Depth=4
	s_mov_b32 s13, -1
	s_mov_b32 s36, exec_lo
                                        ; implicit-def: $sgpr34
	v_cmpx_eq_u16_e32 0x80, v26
; %bb.5701:                             ;   in Loop: Header=BB6_3265 Depth=4
	s_mov_b32 s34, 0x7f800001
	s_xor_b32 s13, exec_lo, -1
; %bb.5702:                             ;   in Loop: Header=BB6_3265 Depth=4
	s_or_b32 exec_lo, exec_lo, s36
	s_delay_alu instid0(SALU_CYCLE_1)
	s_and_b32 s13, s13, exec_lo
	s_or_saveexec_b32 s35, s35
	v_mov_b32_e32 v36, s34
	s_xor_b32 exec_lo, exec_lo, s35
	s_cbranch_execz .LBB6_4800
.LBB6_5703:                             ;   in Loop: Header=BB6_3265 Depth=4
	v_cmp_ne_u16_e32 vcc_lo, 0, v26
	v_mov_b32_e32 v36, 0
	s_and_not1_b32 s13, s13, exec_lo
	s_and_b32 vcc_lo, vcc_lo, exec_lo
	s_delay_alu instid0(SALU_CYCLE_1)
	s_or_b32 s13, s13, vcc_lo
	s_or_b32 exec_lo, exec_lo, s35
	s_and_saveexec_b32 s34, s13
	s_cbranch_execnz .LBB6_4801
	s_branch .LBB6_4802
.LBB6_5704:                             ;   in Loop: Header=BB6_3265 Depth=4
	s_mov_b32 s13, -1
	s_mov_b32 s36, exec_lo
                                        ; implicit-def: $sgpr34
	v_cmpx_eq_u16_e32 0x80, v27
; %bb.5705:                             ;   in Loop: Header=BB6_3265 Depth=4
	s_mov_b32 s34, 0x7f800001
	s_xor_b32 s13, exec_lo, -1
; %bb.5706:                             ;   in Loop: Header=BB6_3265 Depth=4
	s_or_b32 exec_lo, exec_lo, s36
	s_delay_alu instid0(SALU_CYCLE_1)
	s_and_b32 s13, s13, exec_lo
                                        ; implicit-def: $vgpr27
	s_or_saveexec_b32 s35, s35
	v_mov_b32_e32 v26, s34
	s_xor_b32 exec_lo, exec_lo, s35
	s_cbranch_execz .LBB6_4812
.LBB6_5707:                             ;   in Loop: Header=BB6_3265 Depth=4
	v_cmp_ne_u16_e32 vcc_lo, 0, v27
	v_mov_b32_e32 v26, 0
	s_and_not1_b32 s13, s13, exec_lo
	s_and_b32 vcc_lo, vcc_lo, exec_lo
	s_delay_alu instid0(SALU_CYCLE_1)
	s_or_b32 s13, s13, vcc_lo
	s_or_b32 exec_lo, exec_lo, s35
	s_and_saveexec_b32 s34, s13
	s_cbranch_execnz .LBB6_4813
	s_branch .LBB6_4814
.LBB6_5708:                             ;   in Loop: Header=BB6_3265 Depth=4
	s_mov_b32 s13, -1
	s_mov_b32 s36, exec_lo
                                        ; implicit-def: $sgpr34
	v_cmpx_eq_u16_e32 0x80, v36
; %bb.5709:                             ;   in Loop: Header=BB6_3265 Depth=4
	s_mov_b32 s34, 0x7f800001
	s_xor_b32 s13, exec_lo, -1
; %bb.5710:                             ;   in Loop: Header=BB6_3265 Depth=4
	s_or_b32 exec_lo, exec_lo, s36
	s_delay_alu instid0(SALU_CYCLE_1)
	s_and_b32 s13, s13, exec_lo
                                        ; implicit-def: $vgpr36
	s_or_saveexec_b32 s35, s35
	v_mov_b32_e32 v27, s34
	s_xor_b32 exec_lo, exec_lo, s35
	s_cbranch_execz .LBB6_4816
.LBB6_5711:                             ;   in Loop: Header=BB6_3265 Depth=4
	v_cmp_ne_u16_e32 vcc_lo, 0, v36
	v_mov_b32_e32 v27, 0
	s_and_not1_b32 s13, s13, exec_lo
	s_and_b32 vcc_lo, vcc_lo, exec_lo
	s_delay_alu instid0(SALU_CYCLE_1)
	s_or_b32 s13, s13, vcc_lo
	s_or_b32 exec_lo, exec_lo, s35
	s_and_saveexec_b32 s34, s13
	s_cbranch_execnz .LBB6_4817
	s_branch .LBB6_4818
.LBB6_5712:                             ;   in Loop: Header=BB6_3265 Depth=4
	s_mov_b32 s13, -1
	s_mov_b32 s36, exec_lo
                                        ; implicit-def: $sgpr34
	v_cmpx_eq_u16_e32 0x80, v27
; %bb.5713:                             ;   in Loop: Header=BB6_3265 Depth=4
	s_mov_b32 s34, 0x7f800001
	s_xor_b32 s13, exec_lo, -1
; %bb.5714:                             ;   in Loop: Header=BB6_3265 Depth=4
	s_or_b32 exec_lo, exec_lo, s36
	s_delay_alu instid0(SALU_CYCLE_1)
	s_and_b32 s13, s13, exec_lo
                                        ; implicit-def: $vgpr27
	s_or_saveexec_b32 s35, s35
	v_mov_b32_e32 v26, s34
	s_xor_b32 exec_lo, exec_lo, s35
	s_cbranch_execz .LBB6_4828
.LBB6_5715:                             ;   in Loop: Header=BB6_3265 Depth=4
	v_cmp_ne_u16_e32 vcc_lo, 0, v27
	v_mov_b32_e32 v26, 0
	s_and_not1_b32 s13, s13, exec_lo
	s_and_b32 vcc_lo, vcc_lo, exec_lo
	s_delay_alu instid0(SALU_CYCLE_1)
	s_or_b32 s13, s13, vcc_lo
	s_or_b32 exec_lo, exec_lo, s35
	s_and_saveexec_b32 s34, s13
	s_cbranch_execnz .LBB6_4829
	s_branch .LBB6_4830
.LBB6_5716:                             ;   in Loop: Header=BB6_3265 Depth=4
	s_mov_b32 s13, -1
	s_mov_b32 s36, exec_lo
                                        ; implicit-def: $sgpr34
	v_cmpx_eq_u16_e32 0x80, v27
; %bb.5717:                             ;   in Loop: Header=BB6_3265 Depth=4
	s_mov_b32 s34, 0x7f800001
	s_xor_b32 s13, exec_lo, -1
; %bb.5718:                             ;   in Loop: Header=BB6_3265 Depth=4
	s_or_b32 exec_lo, exec_lo, s36
	s_delay_alu instid0(SALU_CYCLE_1)
	s_and_b32 s13, s13, exec_lo
	s_or_saveexec_b32 s35, s35
	v_mov_b32_e32 v36, s34
	s_xor_b32 exec_lo, exec_lo, s35
	s_cbranch_execz .LBB6_4832
.LBB6_5719:                             ;   in Loop: Header=BB6_3265 Depth=4
	v_cmp_ne_u16_e32 vcc_lo, 0, v27
	v_mov_b32_e32 v36, 0
	s_and_not1_b32 s13, s13, exec_lo
	s_and_b32 vcc_lo, vcc_lo, exec_lo
	s_delay_alu instid0(SALU_CYCLE_1)
	s_or_b32 s13, s13, vcc_lo
	s_or_b32 exec_lo, exec_lo, s35
	s_and_saveexec_b32 s34, s13
	s_cbranch_execnz .LBB6_4833
	s_branch .LBB6_4834
.LBB6_5720:                             ;   in Loop: Header=BB6_3265 Depth=4
	s_mov_b32 s13, -1
	s_mov_b32 s36, exec_lo
                                        ; implicit-def: $sgpr34
	v_cmpx_eq_u16_e32 0x80, v27
; %bb.5721:                             ;   in Loop: Header=BB6_3265 Depth=4
	s_mov_b32 s34, 0x7f800001
	s_xor_b32 s13, exec_lo, -1
; %bb.5722:                             ;   in Loop: Header=BB6_3265 Depth=4
	s_or_b32 exec_lo, exec_lo, s36
	s_delay_alu instid0(SALU_CYCLE_1)
	s_and_b32 s13, s13, exec_lo
                                        ; implicit-def: $vgpr27
	s_or_saveexec_b32 s35, s35
	v_mov_b32_e32 v26, s34
	s_xor_b32 exec_lo, exec_lo, s35
	s_cbranch_execz .LBB6_4844
.LBB6_5723:                             ;   in Loop: Header=BB6_3265 Depth=4
	v_cmp_ne_u16_e32 vcc_lo, 0, v27
	v_mov_b32_e32 v26, 0
	s_and_not1_b32 s13, s13, exec_lo
	s_and_b32 vcc_lo, vcc_lo, exec_lo
	s_delay_alu instid0(SALU_CYCLE_1)
	s_or_b32 s13, s13, vcc_lo
	s_or_b32 exec_lo, exec_lo, s35
	s_and_saveexec_b32 s34, s13
	s_cbranch_execnz .LBB6_4845
	s_branch .LBB6_4846
.LBB6_5724:                             ;   in Loop: Header=BB6_3265 Depth=4
	s_mov_b32 s13, -1
	s_mov_b32 s36, exec_lo
                                        ; implicit-def: $sgpr34
	v_cmpx_eq_u16_e32 0x80, v37
; %bb.5725:                             ;   in Loop: Header=BB6_3265 Depth=4
	s_mov_b32 s34, 0x7f800001
	s_xor_b32 s13, exec_lo, -1
; %bb.5726:                             ;   in Loop: Header=BB6_3265 Depth=4
	s_or_b32 exec_lo, exec_lo, s36
	s_delay_alu instid0(SALU_CYCLE_1)
	s_and_b32 s13, s13, exec_lo
                                        ; implicit-def: $vgpr37
	s_or_saveexec_b32 s35, s35
	v_mov_b32_e32 v36, s34
	s_xor_b32 exec_lo, exec_lo, s35
	s_cbranch_execz .LBB6_4848
.LBB6_5727:                             ;   in Loop: Header=BB6_3265 Depth=4
	v_cmp_ne_u16_e32 vcc_lo, 0, v37
	v_mov_b32_e32 v36, 0
	s_and_not1_b32 s13, s13, exec_lo
	s_and_b32 vcc_lo, vcc_lo, exec_lo
	s_delay_alu instid0(SALU_CYCLE_1)
	s_or_b32 s13, s13, vcc_lo
	s_or_b32 exec_lo, exec_lo, s35
	s_and_saveexec_b32 s34, s13
	s_cbranch_execnz .LBB6_4849
	s_branch .LBB6_4850
.LBB6_5728:                             ;   in Loop: Header=BB6_3265 Depth=4
	s_mov_b32 s13, -1
	s_mov_b32 s36, exec_lo
                                        ; implicit-def: $sgpr34
	v_cmpx_eq_u16_e32 0x80, v27
; %bb.5729:                             ;   in Loop: Header=BB6_3265 Depth=4
	s_mov_b32 s34, 0x7f800001
	s_xor_b32 s13, exec_lo, -1
; %bb.5730:                             ;   in Loop: Header=BB6_3265 Depth=4
	s_or_b32 exec_lo, exec_lo, s36
	s_delay_alu instid0(SALU_CYCLE_1)
	s_and_b32 s13, s13, exec_lo
	s_or_saveexec_b32 s35, s35
	v_mov_b32_e32 v26, s34
	s_xor_b32 exec_lo, exec_lo, s35
	s_cbranch_execz .LBB6_4860
.LBB6_5731:                             ;   in Loop: Header=BB6_3265 Depth=4
	v_cmp_ne_u16_e32 vcc_lo, 0, v27
	v_mov_b32_e32 v26, 0
	s_and_not1_b32 s13, s13, exec_lo
	s_and_b32 vcc_lo, vcc_lo, exec_lo
	s_delay_alu instid0(SALU_CYCLE_1)
	s_or_b32 s13, s13, vcc_lo
	s_or_b32 exec_lo, exec_lo, s35
	s_and_saveexec_b32 s34, s13
	s_cbranch_execnz .LBB6_4861
	s_branch .LBB6_4862
.LBB6_5732:                             ;   in Loop: Header=BB6_3265 Depth=4
	s_mov_b32 s13, -1
	s_mov_b32 s36, exec_lo
                                        ; implicit-def: $sgpr34
	v_cmpx_eq_u16_e32 0x80, v27
; %bb.5733:                             ;   in Loop: Header=BB6_3265 Depth=4
	s_mov_b32 s34, 0x7f800001
	s_xor_b32 s13, exec_lo, -1
; %bb.5734:                             ;   in Loop: Header=BB6_3265 Depth=4
	s_or_b32 exec_lo, exec_lo, s36
	s_delay_alu instid0(SALU_CYCLE_1)
	s_and_b32 s13, s13, exec_lo
	s_or_saveexec_b32 s35, s35
	v_mov_b32_e32 v36, s34
	s_xor_b32 exec_lo, exec_lo, s35
	s_cbranch_execz .LBB6_4864
.LBB6_5735:                             ;   in Loop: Header=BB6_3265 Depth=4
	v_cmp_ne_u16_e32 vcc_lo, 0, v27
	v_mov_b32_e32 v36, 0
	s_and_not1_b32 s13, s13, exec_lo
	s_and_b32 vcc_lo, vcc_lo, exec_lo
	s_delay_alu instid0(SALU_CYCLE_1)
	s_or_b32 s13, s13, vcc_lo
	s_or_b32 exec_lo, exec_lo, s35
	s_and_saveexec_b32 s34, s13
	s_cbranch_execnz .LBB6_4865
	s_branch .LBB6_4866
.LBB6_5736:                             ;   in Loop: Header=BB6_3265 Depth=4
	s_mov_b32 s13, -1
	s_mov_b32 s36, exec_lo
                                        ; implicit-def: $sgpr34
	v_cmpx_eq_u16_e32 0x80, v36
; %bb.5737:                             ;   in Loop: Header=BB6_3265 Depth=4
	s_mov_b32 s34, 0x7f800001
	s_xor_b32 s13, exec_lo, -1
; %bb.5738:                             ;   in Loop: Header=BB6_3265 Depth=4
	s_or_b32 exec_lo, exec_lo, s36
	s_delay_alu instid0(SALU_CYCLE_1)
	s_and_b32 s13, s13, exec_lo
                                        ; implicit-def: $vgpr36
	s_or_saveexec_b32 s35, s35
	v_mov_b32_e32 v27, s34
	s_xor_b32 exec_lo, exec_lo, s35
	s_cbranch_execz .LBB6_4876
.LBB6_5739:                             ;   in Loop: Header=BB6_3265 Depth=4
	v_cmp_ne_u16_e32 vcc_lo, 0, v36
	v_mov_b32_e32 v27, 0
	s_and_not1_b32 s13, s13, exec_lo
	s_and_b32 vcc_lo, vcc_lo, exec_lo
	s_delay_alu instid0(SALU_CYCLE_1)
	s_or_b32 s13, s13, vcc_lo
	s_or_b32 exec_lo, exec_lo, s35
	s_and_saveexec_b32 s34, s13
	s_cbranch_execnz .LBB6_4877
	s_branch .LBB6_4878
.LBB6_5740:                             ;   in Loop: Header=BB6_3265 Depth=4
	s_mov_b32 s13, -1
	s_mov_b32 s36, exec_lo
                                        ; implicit-def: $sgpr34
	v_cmpx_eq_u16_e32 0x80, v37
; %bb.5741:                             ;   in Loop: Header=BB6_3265 Depth=4
	s_mov_b32 s34, 0x7f800001
	s_xor_b32 s13, exec_lo, -1
; %bb.5742:                             ;   in Loop: Header=BB6_3265 Depth=4
	s_or_b32 exec_lo, exec_lo, s36
	s_delay_alu instid0(SALU_CYCLE_1)
	s_and_b32 s13, s13, exec_lo
                                        ; implicit-def: $vgpr37
	s_or_saveexec_b32 s35, s35
	v_mov_b32_e32 v36, s34
	s_xor_b32 exec_lo, exec_lo, s35
	s_cbranch_execz .LBB6_4880
.LBB6_5743:                             ;   in Loop: Header=BB6_3265 Depth=4
	v_cmp_ne_u16_e32 vcc_lo, 0, v37
	v_mov_b32_e32 v36, 0
	s_and_not1_b32 s13, s13, exec_lo
	s_and_b32 vcc_lo, vcc_lo, exec_lo
	s_delay_alu instid0(SALU_CYCLE_1)
	s_or_b32 s13, s13, vcc_lo
	s_or_b32 exec_lo, exec_lo, s35
	s_and_saveexec_b32 s34, s13
	s_cbranch_execnz .LBB6_4881
	s_branch .LBB6_4882
.LBB6_5744:                             ;   in Loop: Header=BB6_3265 Depth=4
	s_mov_b32 s13, -1
	s_mov_b32 s36, exec_lo
                                        ; implicit-def: $sgpr34
	v_cmpx_eq_u16_e32 0x80, v36
; %bb.5745:                             ;   in Loop: Header=BB6_3265 Depth=4
	s_mov_b32 s34, 0x7f800001
	s_xor_b32 s13, exec_lo, -1
; %bb.5746:                             ;   in Loop: Header=BB6_3265 Depth=4
	s_or_b32 exec_lo, exec_lo, s36
	s_delay_alu instid0(SALU_CYCLE_1)
	s_and_b32 s13, s13, exec_lo
	s_or_saveexec_b32 s35, s35
	v_mov_b32_e32 v27, s34
	s_xor_b32 exec_lo, exec_lo, s35
	s_cbranch_execz .LBB6_4892
.LBB6_5747:                             ;   in Loop: Header=BB6_3265 Depth=4
	v_cmp_ne_u16_e32 vcc_lo, 0, v36
	v_mov_b32_e32 v27, 0
	s_and_not1_b32 s13, s13, exec_lo
	s_and_b32 vcc_lo, vcc_lo, exec_lo
	s_delay_alu instid0(SALU_CYCLE_1)
	s_or_b32 s13, s13, vcc_lo
	s_or_b32 exec_lo, exec_lo, s35
	s_and_saveexec_b32 s34, s13
	s_cbranch_execnz .LBB6_4893
	s_branch .LBB6_4894
.LBB6_5748:                             ;   in Loop: Header=BB6_3265 Depth=4
	s_mov_b32 s13, -1
	s_mov_b32 s36, exec_lo
                                        ; implicit-def: $sgpr34
	v_cmpx_eq_u16_e32 0x80, v36
; %bb.5749:                             ;   in Loop: Header=BB6_3265 Depth=4
	s_mov_b32 s34, 0x7f800001
	s_xor_b32 s13, exec_lo, -1
; %bb.5750:                             ;   in Loop: Header=BB6_3265 Depth=4
	s_or_b32 exec_lo, exec_lo, s36
	s_delay_alu instid0(SALU_CYCLE_1)
	s_and_b32 s13, s13, exec_lo
	s_or_saveexec_b32 s35, s35
	v_mov_b32_e32 v37, s34
	s_xor_b32 exec_lo, exec_lo, s35
	s_cbranch_execz .LBB6_4896
.LBB6_5751:                             ;   in Loop: Header=BB6_3265 Depth=4
	v_cmp_ne_u16_e32 vcc_lo, 0, v36
	v_mov_b32_e32 v37, 0
	s_and_not1_b32 s13, s13, exec_lo
	s_and_b32 vcc_lo, vcc_lo, exec_lo
	s_delay_alu instid0(SALU_CYCLE_1)
	s_or_b32 s13, s13, vcc_lo
	s_or_b32 exec_lo, exec_lo, s35
	s_and_saveexec_b32 s34, s13
	s_cbranch_execnz .LBB6_4897
	s_branch .LBB6_4898
.LBB6_5752:                             ;   in Loop: Header=BB6_3265 Depth=4
	s_mov_b32 s13, -1
	s_mov_b32 s36, exec_lo
                                        ; implicit-def: $sgpr34
	v_cmpx_eq_u16_e32 0x80, v37
; %bb.5753:                             ;   in Loop: Header=BB6_3265 Depth=4
	s_mov_b32 s34, 0x7f800001
	s_xor_b32 s13, exec_lo, -1
; %bb.5754:                             ;   in Loop: Header=BB6_3265 Depth=4
	s_or_b32 exec_lo, exec_lo, s36
	s_delay_alu instid0(SALU_CYCLE_1)
	s_and_b32 s13, s13, exec_lo
                                        ; implicit-def: $vgpr37
	s_or_saveexec_b32 s35, s35
	v_mov_b32_e32 v27, s34
	s_xor_b32 exec_lo, exec_lo, s35
	s_cbranch_execz .LBB6_4908
.LBB6_5755:                             ;   in Loop: Header=BB6_3265 Depth=4
	v_cmp_ne_u16_e32 vcc_lo, 0, v37
	v_mov_b32_e32 v27, 0
	s_and_not1_b32 s13, s13, exec_lo
	s_and_b32 vcc_lo, vcc_lo, exec_lo
	s_delay_alu instid0(SALU_CYCLE_1)
	s_or_b32 s13, s13, vcc_lo
	s_or_b32 exec_lo, exec_lo, s35
	v_lshl_or_b32 v26, v36, 16, v26
	s_and_saveexec_b32 s34, s13
	s_cbranch_execnz .LBB6_4909
	s_branch .LBB6_4910
.LBB6_5756:                             ;   in Loop: Header=BB6_3265 Depth=4
	s_mov_b32 s13, -1
	s_mov_b32 s36, exec_lo
                                        ; implicit-def: $sgpr34
	v_cmpx_eq_u16_e32 0x80, v38
; %bb.5757:                             ;   in Loop: Header=BB6_3265 Depth=4
	s_mov_b32 s34, 0x7f800001
	s_xor_b32 s13, exec_lo, -1
; %bb.5758:                             ;   in Loop: Header=BB6_3265 Depth=4
	s_or_b32 exec_lo, exec_lo, s36
	s_delay_alu instid0(SALU_CYCLE_1)
	s_and_b32 s13, s13, exec_lo
                                        ; implicit-def: $vgpr38
	s_or_saveexec_b32 s35, s35
	v_mov_b32_e32 v37, s34
	s_xor_b32 exec_lo, exec_lo, s35
	s_cbranch_execz .LBB6_4912
.LBB6_5759:                             ;   in Loop: Header=BB6_3265 Depth=4
	v_cmp_ne_u16_e32 vcc_lo, 0, v38
	v_mov_b32_e32 v37, 0
	s_and_not1_b32 s13, s13, exec_lo
	s_and_b32 vcc_lo, vcc_lo, exec_lo
	s_delay_alu instid0(SALU_CYCLE_1)
	s_or_b32 s13, s13, vcc_lo
	s_or_b32 exec_lo, exec_lo, s35
	s_and_saveexec_b32 s34, s13
	s_cbranch_execnz .LBB6_4913
	s_branch .LBB6_4914
.LBB6_5760:                             ;   in Loop: Header=BB6_3265 Depth=4
	s_mov_b32 s13, -1
	s_mov_b32 s36, exec_lo
                                        ; implicit-def: $sgpr34
	v_cmpx_eq_u16_e32 0x80, v36
; %bb.5761:                             ;   in Loop: Header=BB6_3265 Depth=4
	s_mov_b32 s34, 0x7f800001
	s_xor_b32 s13, exec_lo, -1
; %bb.5762:                             ;   in Loop: Header=BB6_3265 Depth=4
	s_or_b32 exec_lo, exec_lo, s36
	s_delay_alu instid0(SALU_CYCLE_1)
	s_and_b32 s13, s13, exec_lo
	s_or_saveexec_b32 s35, s35
	v_mov_b32_e32 v27, s34
	s_xor_b32 exec_lo, exec_lo, s35
	s_cbranch_execz .LBB6_4924
.LBB6_5763:                             ;   in Loop: Header=BB6_3265 Depth=4
	v_cmp_ne_u16_e32 vcc_lo, 0, v36
	v_mov_b32_e32 v27, 0
	s_and_not1_b32 s13, s13, exec_lo
	s_and_b32 vcc_lo, vcc_lo, exec_lo
	s_delay_alu instid0(SALU_CYCLE_1)
	s_or_b32 s13, s13, vcc_lo
	s_or_b32 exec_lo, exec_lo, s35
	s_and_saveexec_b32 s34, s13
	s_cbranch_execnz .LBB6_4925
	s_branch .LBB6_4926
.LBB6_5764:                             ;   in Loop: Header=BB6_3265 Depth=4
	s_mov_b32 s13, -1
	s_mov_b32 s36, exec_lo
                                        ; implicit-def: $sgpr34
	v_cmpx_eq_u16_e32 0x80, v26
; %bb.5765:                             ;   in Loop: Header=BB6_3265 Depth=4
	s_mov_b32 s34, 0x7f800001
	s_xor_b32 s13, exec_lo, -1
; %bb.5766:                             ;   in Loop: Header=BB6_3265 Depth=4
	s_or_b32 exec_lo, exec_lo, s36
	s_delay_alu instid0(SALU_CYCLE_1)
	s_and_b32 s13, s13, exec_lo
	s_or_saveexec_b32 s35, s35
	v_mov_b32_e32 v36, s34
	s_xor_b32 exec_lo, exec_lo, s35
	s_cbranch_execz .LBB6_4928
.LBB6_5767:                             ;   in Loop: Header=BB6_3265 Depth=4
	v_cmp_ne_u16_e32 vcc_lo, 0, v26
	v_mov_b32_e32 v36, 0
	s_and_not1_b32 s13, s13, exec_lo
	s_and_b32 vcc_lo, vcc_lo, exec_lo
	s_delay_alu instid0(SALU_CYCLE_1)
	s_or_b32 s13, s13, vcc_lo
	s_or_b32 exec_lo, exec_lo, s35
	s_and_saveexec_b32 s34, s13
	s_cbranch_execnz .LBB6_4929
	s_branch .LBB6_4930
.LBB6_5768:                             ;   in Loop: Header=BB6_3265 Depth=4
	s_mov_b32 s13, -1
	s_mov_b32 s36, exec_lo
                                        ; implicit-def: $sgpr34
	v_cmpx_eq_u16_e32 0x80, v27
; %bb.5769:                             ;   in Loop: Header=BB6_3265 Depth=4
	s_mov_b32 s34, 0x7f800001
	s_xor_b32 s13, exec_lo, -1
; %bb.5770:                             ;   in Loop: Header=BB6_3265 Depth=4
	s_or_b32 exec_lo, exec_lo, s36
	s_delay_alu instid0(SALU_CYCLE_1)
	s_and_b32 s13, s13, exec_lo
                                        ; implicit-def: $vgpr27
	s_or_saveexec_b32 s35, s35
	v_mov_b32_e32 v26, s34
	s_xor_b32 exec_lo, exec_lo, s35
	s_cbranch_execz .LBB6_4940
.LBB6_5771:                             ;   in Loop: Header=BB6_3265 Depth=4
	v_cmp_ne_u16_e32 vcc_lo, 0, v27
	v_mov_b32_e32 v26, 0
	s_and_not1_b32 s13, s13, exec_lo
	s_and_b32 vcc_lo, vcc_lo, exec_lo
	s_delay_alu instid0(SALU_CYCLE_1)
	s_or_b32 s13, s13, vcc_lo
	s_or_b32 exec_lo, exec_lo, s35
	s_and_saveexec_b32 s34, s13
	s_cbranch_execnz .LBB6_4941
	s_branch .LBB6_4942
.LBB6_5772:                             ;   in Loop: Header=BB6_3265 Depth=4
	s_mov_b32 s13, -1
	s_mov_b32 s36, exec_lo
                                        ; implicit-def: $sgpr34
	v_cmpx_eq_u16_e32 0x80, v36
; %bb.5773:                             ;   in Loop: Header=BB6_3265 Depth=4
	s_mov_b32 s34, 0x7f800001
	s_xor_b32 s13, exec_lo, -1
; %bb.5774:                             ;   in Loop: Header=BB6_3265 Depth=4
	s_or_b32 exec_lo, exec_lo, s36
	s_delay_alu instid0(SALU_CYCLE_1)
	s_and_b32 s13, s13, exec_lo
                                        ; implicit-def: $vgpr36
	s_or_saveexec_b32 s35, s35
	v_mov_b32_e32 v27, s34
	s_xor_b32 exec_lo, exec_lo, s35
	s_cbranch_execz .LBB6_4944
.LBB6_5775:                             ;   in Loop: Header=BB6_3265 Depth=4
	v_cmp_ne_u16_e32 vcc_lo, 0, v36
	v_mov_b32_e32 v27, 0
	s_and_not1_b32 s13, s13, exec_lo
	s_and_b32 vcc_lo, vcc_lo, exec_lo
	s_delay_alu instid0(SALU_CYCLE_1)
	s_or_b32 s13, s13, vcc_lo
	s_or_b32 exec_lo, exec_lo, s35
	s_and_saveexec_b32 s34, s13
	s_cbranch_execnz .LBB6_4945
	s_branch .LBB6_4946
.LBB6_5776:                             ;   in Loop: Header=BB6_3265 Depth=4
	s_mov_b32 s13, -1
	s_mov_b32 s36, exec_lo
                                        ; implicit-def: $sgpr34
	v_cmpx_eq_u16_e32 0x80, v27
; %bb.5777:                             ;   in Loop: Header=BB6_3265 Depth=4
	s_mov_b32 s34, 0x7f800001
	s_xor_b32 s13, exec_lo, -1
; %bb.5778:                             ;   in Loop: Header=BB6_3265 Depth=4
	s_or_b32 exec_lo, exec_lo, s36
	s_delay_alu instid0(SALU_CYCLE_1)
	s_and_b32 s13, s13, exec_lo
                                        ; implicit-def: $vgpr27
	s_or_saveexec_b32 s35, s35
	v_mov_b32_e32 v26, s34
	s_xor_b32 exec_lo, exec_lo, s35
	s_cbranch_execz .LBB6_4956
.LBB6_5779:                             ;   in Loop: Header=BB6_3265 Depth=4
	v_cmp_ne_u16_e32 vcc_lo, 0, v27
	v_mov_b32_e32 v26, 0
	s_and_not1_b32 s13, s13, exec_lo
	s_and_b32 vcc_lo, vcc_lo, exec_lo
	s_delay_alu instid0(SALU_CYCLE_1)
	s_or_b32 s13, s13, vcc_lo
	s_or_b32 exec_lo, exec_lo, s35
	s_and_saveexec_b32 s34, s13
	s_cbranch_execnz .LBB6_4957
	s_branch .LBB6_4958
.LBB6_5780:                             ;   in Loop: Header=BB6_3265 Depth=4
	s_mov_b32 s13, -1
	s_mov_b32 s36, exec_lo
                                        ; implicit-def: $sgpr34
	v_cmpx_eq_u16_e32 0x80, v27
; %bb.5781:                             ;   in Loop: Header=BB6_3265 Depth=4
	s_mov_b32 s34, 0x7f800001
	s_xor_b32 s13, exec_lo, -1
; %bb.5782:                             ;   in Loop: Header=BB6_3265 Depth=4
	s_or_b32 exec_lo, exec_lo, s36
	s_delay_alu instid0(SALU_CYCLE_1)
	s_and_b32 s13, s13, exec_lo
	s_or_saveexec_b32 s35, s35
	v_mov_b32_e32 v36, s34
	s_xor_b32 exec_lo, exec_lo, s35
	s_cbranch_execz .LBB6_4960
.LBB6_5783:                             ;   in Loop: Header=BB6_3265 Depth=4
	v_cmp_ne_u16_e32 vcc_lo, 0, v27
	v_mov_b32_e32 v36, 0
	s_and_not1_b32 s13, s13, exec_lo
	s_and_b32 vcc_lo, vcc_lo, exec_lo
	s_delay_alu instid0(SALU_CYCLE_1)
	s_or_b32 s13, s13, vcc_lo
	s_or_b32 exec_lo, exec_lo, s35
	s_and_saveexec_b32 s34, s13
	s_cbranch_execnz .LBB6_4961
	s_branch .LBB6_4962
.LBB6_5784:                             ;   in Loop: Header=BB6_3265 Depth=4
	s_mov_b32 s13, -1
	s_mov_b32 s36, exec_lo
                                        ; implicit-def: $sgpr34
	v_cmpx_eq_u16_e32 0x80, v36
; %bb.5785:                             ;   in Loop: Header=BB6_3265 Depth=4
	s_mov_b32 s34, 0x7f800001
	s_xor_b32 s13, exec_lo, -1
; %bb.5786:                             ;   in Loop: Header=BB6_3265 Depth=4
	s_or_b32 exec_lo, exec_lo, s36
	s_delay_alu instid0(SALU_CYCLE_1)
	s_and_b32 s13, s13, exec_lo
                                        ; implicit-def: $vgpr36
	s_or_saveexec_b32 s35, s35
	v_mov_b32_e32 v27, s34
	s_xor_b32 exec_lo, exec_lo, s35
	s_cbranch_execz .LBB6_4972
.LBB6_5787:                             ;   in Loop: Header=BB6_3265 Depth=4
	v_cmp_ne_u16_e32 vcc_lo, 0, v36
	v_mov_b32_e32 v27, 0
	s_and_not1_b32 s13, s13, exec_lo
	s_and_b32 vcc_lo, vcc_lo, exec_lo
	s_delay_alu instid0(SALU_CYCLE_1)
	s_or_b32 s13, s13, vcc_lo
	s_or_b32 exec_lo, exec_lo, s35
	s_and_saveexec_b32 s34, s13
	s_cbranch_execnz .LBB6_4973
	s_branch .LBB6_4974
.LBB6_5788:                             ;   in Loop: Header=BB6_3265 Depth=4
	s_mov_b32 s13, -1
	s_mov_b32 s36, exec_lo
                                        ; implicit-def: $sgpr34
	v_cmpx_eq_u16_e32 0x80, v38
; %bb.5789:                             ;   in Loop: Header=BB6_3265 Depth=4
	s_mov_b32 s34, 0x7f800001
	s_xor_b32 s13, exec_lo, -1
; %bb.5790:                             ;   in Loop: Header=BB6_3265 Depth=4
	s_or_b32 exec_lo, exec_lo, s36
	s_delay_alu instid0(SALU_CYCLE_1)
	s_and_b32 s13, s13, exec_lo
                                        ; implicit-def: $vgpr38
	s_or_saveexec_b32 s35, s35
	v_mov_b32_e32 v37, s34
	s_xor_b32 exec_lo, exec_lo, s35
	s_cbranch_execz .LBB6_4976
.LBB6_5791:                             ;   in Loop: Header=BB6_3265 Depth=4
	v_cmp_ne_u16_e32 vcc_lo, 0, v38
	v_mov_b32_e32 v37, 0
	s_and_not1_b32 s13, s13, exec_lo
	s_and_b32 vcc_lo, vcc_lo, exec_lo
	s_delay_alu instid0(SALU_CYCLE_1)
	s_or_b32 s13, s13, vcc_lo
	s_or_b32 exec_lo, exec_lo, s35
	s_and_saveexec_b32 s34, s13
	s_cbranch_execnz .LBB6_4977
	s_branch .LBB6_4978
.LBB6_5792:                             ;   in Loop: Header=BB6_3265 Depth=4
	s_mov_b32 s13, -1
	s_mov_b32 s36, exec_lo
                                        ; implicit-def: $sgpr34
	v_cmpx_eq_u16_e32 0x80, v37
; %bb.5793:                             ;   in Loop: Header=BB6_3265 Depth=4
	s_mov_b32 s34, 0x7f800001
	s_xor_b32 s13, exec_lo, -1
; %bb.5794:                             ;   in Loop: Header=BB6_3265 Depth=4
	s_or_b32 exec_lo, exec_lo, s36
	s_delay_alu instid0(SALU_CYCLE_1)
	s_and_b32 s13, s13, exec_lo
	s_or_saveexec_b32 s35, s35
	v_mov_b32_e32 v36, s34
	s_xor_b32 exec_lo, exec_lo, s35
	s_cbranch_execz .LBB6_4988
.LBB6_5795:                             ;   in Loop: Header=BB6_3265 Depth=4
	v_cmp_ne_u16_e32 vcc_lo, 0, v37
	v_mov_b32_e32 v36, 0
	s_and_not1_b32 s13, s13, exec_lo
	s_and_b32 vcc_lo, vcc_lo, exec_lo
	s_delay_alu instid0(SALU_CYCLE_1)
	s_or_b32 s13, s13, vcc_lo
	s_or_b32 exec_lo, exec_lo, s35
	s_and_saveexec_b32 s34, s13
	s_cbranch_execnz .LBB6_4989
	s_branch .LBB6_4990
.LBB6_5796:                             ;   in Loop: Header=BB6_3265 Depth=4
	s_mov_b32 s13, -1
	s_mov_b32 s36, exec_lo
                                        ; implicit-def: $sgpr34
	v_cmpx_eq_u16_e32 0x80, v37
; %bb.5797:                             ;   in Loop: Header=BB6_3265 Depth=4
	s_mov_b32 s34, 0x7f800001
	s_xor_b32 s13, exec_lo, -1
; %bb.5798:                             ;   in Loop: Header=BB6_3265 Depth=4
	s_or_b32 exec_lo, exec_lo, s36
	s_delay_alu instid0(SALU_CYCLE_1)
	s_and_b32 s13, s13, exec_lo
	s_or_saveexec_b32 s35, s35
	v_mov_b32_e32 v38, s34
	s_xor_b32 exec_lo, exec_lo, s35
	s_cbranch_execz .LBB6_4992
.LBB6_5799:                             ;   in Loop: Header=BB6_3265 Depth=4
	v_cmp_ne_u16_e32 vcc_lo, 0, v37
	v_mov_b32_e32 v38, 0
	s_and_not1_b32 s13, s13, exec_lo
	s_and_b32 vcc_lo, vcc_lo, exec_lo
	s_delay_alu instid0(SALU_CYCLE_1)
	s_or_b32 s13, s13, vcc_lo
	s_or_b32 exec_lo, exec_lo, s35
	s_and_saveexec_b32 s34, s13
	s_cbranch_execnz .LBB6_4993
	s_branch .LBB6_4994
.LBB6_5800:                             ;   in Loop: Header=BB6_3265 Depth=4
	s_mov_b32 s13, -1
	s_mov_b32 s36, exec_lo
                                        ; implicit-def: $sgpr34
	v_cmpx_eq_u16_e32 0x80, v37
; %bb.5801:                             ;   in Loop: Header=BB6_3265 Depth=4
	s_mov_b32 s34, 0x7f800001
	s_xor_b32 s13, exec_lo, -1
; %bb.5802:                             ;   in Loop: Header=BB6_3265 Depth=4
	s_or_b32 exec_lo, exec_lo, s36
	s_delay_alu instid0(SALU_CYCLE_1)
	s_and_b32 s13, s13, exec_lo
                                        ; implicit-def: $vgpr37
	s_or_saveexec_b32 s35, s35
	v_mov_b32_e32 v36, s34
	s_xor_b32 exec_lo, exec_lo, s35
	s_cbranch_execz .LBB6_5004
.LBB6_5803:                             ;   in Loop: Header=BB6_3265 Depth=4
	v_cmp_ne_u16_e32 vcc_lo, 0, v37
	v_mov_b32_e32 v36, 0
	s_and_not1_b32 s13, s13, exec_lo
	s_and_b32 vcc_lo, vcc_lo, exec_lo
	s_delay_alu instid0(SALU_CYCLE_1)
	s_or_b32 s13, s13, vcc_lo
	s_or_b32 exec_lo, exec_lo, s35
	s_and_saveexec_b32 s34, s13
	s_cbranch_execnz .LBB6_5005
	s_branch .LBB6_5006
.LBB6_5804:                             ;   in Loop: Header=BB6_3265 Depth=4
	s_mov_b32 s13, -1
	s_mov_b32 s36, exec_lo
                                        ; implicit-def: $sgpr34
	v_cmpx_eq_u16_e32 0x80, v39
; %bb.5805:                             ;   in Loop: Header=BB6_3265 Depth=4
	s_mov_b32 s34, 0x7f800001
	s_xor_b32 s13, exec_lo, -1
; %bb.5806:                             ;   in Loop: Header=BB6_3265 Depth=4
	s_or_b32 exec_lo, exec_lo, s36
	s_delay_alu instid0(SALU_CYCLE_1)
	s_and_b32 s13, s13, exec_lo
                                        ; implicit-def: $vgpr39
	s_or_saveexec_b32 s35, s35
	v_mov_b32_e32 v37, s34
	s_xor_b32 exec_lo, exec_lo, s35
	s_cbranch_execz .LBB6_5008
.LBB6_5807:                             ;   in Loop: Header=BB6_3265 Depth=4
	v_cmp_ne_u16_e32 vcc_lo, 0, v39
	v_mov_b32_e32 v37, 0
	s_and_not1_b32 s13, s13, exec_lo
	s_and_b32 vcc_lo, vcc_lo, exec_lo
	s_delay_alu instid0(SALU_CYCLE_1)
	s_or_b32 s13, s13, vcc_lo
	s_or_b32 exec_lo, exec_lo, s35
	s_and_saveexec_b32 s34, s13
	s_cbranch_execnz .LBB6_5009
	s_branch .LBB6_5010
.LBB6_5808:                             ;   in Loop: Header=BB6_3265 Depth=4
	s_mov_b32 s13, -1
	s_mov_b32 s36, exec_lo
                                        ; implicit-def: $sgpr34
	v_cmpx_eq_u16_e32 0x80, v39
; %bb.5809:                             ;   in Loop: Header=BB6_3265 Depth=4
	s_mov_b32 s34, 0x7f800001
	s_xor_b32 s13, exec_lo, -1
; %bb.5810:                             ;   in Loop: Header=BB6_3265 Depth=4
	s_or_b32 exec_lo, exec_lo, s36
	s_delay_alu instid0(SALU_CYCLE_1)
	s_and_b32 s13, s13, exec_lo
	s_or_saveexec_b32 s35, s35
	v_mov_b32_e32 v37, s34
	s_xor_b32 exec_lo, exec_lo, s35
	s_cbranch_execz .LBB6_5020
.LBB6_5811:                             ;   in Loop: Header=BB6_3265 Depth=4
	v_cmp_ne_u16_e32 vcc_lo, 0, v39
	v_mov_b32_e32 v37, 0
	s_and_not1_b32 s13, s13, exec_lo
	s_and_b32 vcc_lo, vcc_lo, exec_lo
	s_delay_alu instid0(SALU_CYCLE_1)
	s_or_b32 s13, s13, vcc_lo
	s_or_b32 exec_lo, exec_lo, s35
	s_and_saveexec_b32 s34, s13
	s_cbranch_execnz .LBB6_5021
	s_branch .LBB6_5022
.LBB6_5812:                             ;   in Loop: Header=BB6_3265 Depth=4
	s_mov_b32 s13, -1
	s_mov_b32 s36, exec_lo
                                        ; implicit-def: $sgpr34
	v_cmpx_eq_u16_e32 0x80, v39
; %bb.5813:                             ;   in Loop: Header=BB6_3265 Depth=4
	s_mov_b32 s34, 0x7f800001
	s_xor_b32 s13, exec_lo, -1
; %bb.5814:                             ;   in Loop: Header=BB6_3265 Depth=4
	s_or_b32 exec_lo, exec_lo, s36
	s_delay_alu instid0(SALU_CYCLE_1)
	s_and_b32 s13, s13, exec_lo
	s_or_saveexec_b32 s35, s35
	v_mov_b32_e32 v48, s34
	s_xor_b32 exec_lo, exec_lo, s35
	s_cbranch_execz .LBB6_5024
.LBB6_5815:                             ;   in Loop: Header=BB6_3265 Depth=4
	v_cmp_ne_u16_e32 vcc_lo, 0, v39
	v_mov_b32_e32 v48, 0
	s_and_not1_b32 s13, s13, exec_lo
	s_and_b32 vcc_lo, vcc_lo, exec_lo
	s_delay_alu instid0(SALU_CYCLE_1)
	s_or_b32 s13, s13, vcc_lo
	s_or_b32 exec_lo, exec_lo, s35
	s_and_saveexec_b32 s34, s13
	s_cbranch_execnz .LBB6_5025
	s_branch .LBB6_5026
.LBB6_5816:                             ;   in Loop: Header=BB6_3265 Depth=4
	s_mov_b32 s13, -1
	s_mov_b32 s36, exec_lo
                                        ; implicit-def: $sgpr34
	v_cmpx_eq_u16_e32 0x80, v49
; %bb.5817:                             ;   in Loop: Header=BB6_3265 Depth=4
	s_mov_b32 s34, 0x7f800001
	s_xor_b32 s13, exec_lo, -1
; %bb.5818:                             ;   in Loop: Header=BB6_3265 Depth=4
	s_or_b32 exec_lo, exec_lo, s36
	s_delay_alu instid0(SALU_CYCLE_1)
	s_and_b32 s13, s13, exec_lo
                                        ; implicit-def: $vgpr49
	s_or_saveexec_b32 s35, s35
	v_mov_b32_e32 v48, s34
	s_xor_b32 exec_lo, exec_lo, s35
	s_cbranch_execz .LBB6_5036
.LBB6_5819:                             ;   in Loop: Header=BB6_3265 Depth=4
	v_cmp_ne_u16_e32 vcc_lo, 0, v49
	v_mov_b32_e32 v48, 0
	s_and_not1_b32 s13, s13, exec_lo
	s_and_b32 vcc_lo, vcc_lo, exec_lo
	s_delay_alu instid0(SALU_CYCLE_1)
	s_or_b32 s13, s13, vcc_lo
	s_or_b32 exec_lo, exec_lo, s35
	v_lshl_or_b32 v39, v39, 16, v38
	s_and_saveexec_b32 s34, s13
	s_cbranch_execnz .LBB6_5037
	s_branch .LBB6_5038
.LBB6_5820:                             ;   in Loop: Header=BB6_3265 Depth=4
	s_mov_b32 s13, -1
	s_mov_b32 s36, exec_lo
                                        ; implicit-def: $sgpr34
	v_cmpx_eq_u16_e32 0x80, v53
; %bb.5821:                             ;   in Loop: Header=BB6_3265 Depth=4
	s_mov_b32 s34, 0x7f800001
	s_xor_b32 s13, exec_lo, -1
; %bb.5822:                             ;   in Loop: Header=BB6_3265 Depth=4
	s_or_b32 exec_lo, exec_lo, s36
	s_delay_alu instid0(SALU_CYCLE_1)
	s_and_b32 s13, s13, exec_lo
                                        ; implicit-def: $vgpr53
	s_or_saveexec_b32 s35, s35
	v_mov_b32_e32 v49, s34
	s_xor_b32 exec_lo, exec_lo, s35
	s_cbranch_execz .LBB6_5040
.LBB6_5823:                             ;   in Loop: Header=BB6_3265 Depth=4
	v_cmp_ne_u16_e32 vcc_lo, 0, v53
	v_mov_b32_e32 v49, 0
	s_and_not1_b32 s13, s13, exec_lo
	s_and_b32 vcc_lo, vcc_lo, exec_lo
	s_delay_alu instid0(SALU_CYCLE_1)
	s_or_b32 s13, s13, vcc_lo
	s_or_b32 exec_lo, exec_lo, s35
	s_and_saveexec_b32 s34, s13
	s_cbranch_execnz .LBB6_5041
	s_branch .LBB6_5042
.LBB6_5824:                             ;   in Loop: Header=BB6_3265 Depth=4
	s_mov_b32 s13, -1
	s_mov_b32 s36, exec_lo
                                        ; implicit-def: $sgpr34
	v_cmpx_eq_u16_e32 0x80, v49
; %bb.5825:                             ;   in Loop: Header=BB6_3265 Depth=4
	s_mov_b32 s34, 0x7f800001
	s_xor_b32 s13, exec_lo, -1
; %bb.5826:                             ;   in Loop: Header=BB6_3265 Depth=4
	s_or_b32 exec_lo, exec_lo, s36
	s_delay_alu instid0(SALU_CYCLE_1)
	s_and_b32 s13, s13, exec_lo
	s_or_saveexec_b32 s35, s35
	v_mov_b32_e32 v48, s34
	s_xor_b32 exec_lo, exec_lo, s35
	s_cbranch_execz .LBB6_5052
.LBB6_5827:                             ;   in Loop: Header=BB6_3265 Depth=4
	v_cmp_ne_u16_e32 vcc_lo, 0, v49
	v_mov_b32_e32 v48, 0
	s_and_not1_b32 s13, s13, exec_lo
	s_and_b32 vcc_lo, vcc_lo, exec_lo
	s_delay_alu instid0(SALU_CYCLE_1)
	s_or_b32 s13, s13, vcc_lo
	s_or_b32 exec_lo, exec_lo, s35
	s_and_saveexec_b32 s34, s13
	s_cbranch_execnz .LBB6_5053
	s_branch .LBB6_5054
.LBB6_5828:                             ;   in Loop: Header=BB6_3265 Depth=4
	s_mov_b32 s13, -1
	s_mov_b32 s36, exec_lo
                                        ; implicit-def: $sgpr34
	v_cmpx_eq_u16_e32 0x80, v39
; %bb.5829:                             ;   in Loop: Header=BB6_3265 Depth=4
	s_mov_b32 s34, 0x7f800001
	s_xor_b32 s13, exec_lo, -1
; %bb.5830:                             ;   in Loop: Header=BB6_3265 Depth=4
	s_or_b32 exec_lo, exec_lo, s36
	s_delay_alu instid0(SALU_CYCLE_1)
	s_and_b32 s13, s13, exec_lo
	s_or_saveexec_b32 s35, s35
	v_mov_b32_e32 v49, s34
	s_xor_b32 exec_lo, exec_lo, s35
	s_cbranch_execz .LBB6_5056
.LBB6_5831:                             ;   in Loop: Header=BB6_3265 Depth=4
	v_cmp_ne_u16_e32 vcc_lo, 0, v39
	v_mov_b32_e32 v49, 0
	s_and_not1_b32 s13, s13, exec_lo
	s_and_b32 vcc_lo, vcc_lo, exec_lo
	s_delay_alu instid0(SALU_CYCLE_1)
	s_or_b32 s13, s13, vcc_lo
	s_or_b32 exec_lo, exec_lo, s35
	s_and_saveexec_b32 s34, s13
	s_cbranch_execnz .LBB6_5057
	s_branch .LBB6_5058
.LBB6_5832:                             ;   in Loop: Header=BB6_3175 Depth=3
	s_or_b32 exec_lo, exec_lo, s30
.LBB6_5833:                             ;   in Loop: Header=BB6_3175 Depth=3
	s_delay_alu instid0(SALU_CYCLE_1) | instskip(SKIP_3) | instid1(VALU_DEP_1)
	s_or_b32 exec_lo, exec_lo, s14
	v_dual_mov_b32 v16, 0 :: v_dual_lshlrev_b32 v19, 11, v149
	s_mov_b32 s13, 0
	s_mov_b32 s30, exec_lo
                                        ; implicit-def: $vgpr17
                                        ; implicit-def: $vgpr18
                                        ; implicit-def: $vgpr8
	v_cmpx_ne_u32_e64 v69, v19
	s_cbranch_execz .LBB6_6491
; %bb.5834:                             ;   in Loop: Header=BB6_3175 Depth=3
	v_lshlrev_b32_e32 v2, 5, v2
	v_sub_nc_u32_e32 v9, v69, v19
	s_mov_b32 s31, exec_lo
	s_delay_alu instid0(VALU_DEP_2) | instskip(NEXT) | instid1(VALU_DEP_2)
	v_sub_nc_u32_e32 v2, v130, v2
	v_ashrrev_i32_e32 v10, 31, v9
	s_delay_alu instid0(VALU_DEP_2) | instskip(NEXT) | instid1(VALU_DEP_2)
	v_ashrrev_i32_e32 v8, 31, v2
	v_lshrrev_b32_e32 v10, 23, v10
	s_delay_alu instid0(VALU_DEP_2) | instskip(NEXT) | instid1(VALU_DEP_2)
	v_lshrrev_b32_e32 v8, 27, v8
	v_add_nc_u32_e32 v10, v9, v10
	s_delay_alu instid0(VALU_DEP_2) | instskip(NEXT) | instid1(VALU_DEP_1)
	v_add_nc_u32_e32 v8, v2, v8
	v_and_b32_e32 v11, 0xffffffe0, v8
	s_delay_alu instid0(VALU_DEP_1) | instskip(NEXT) | instid1(VALU_DEP_4)
	v_sub_nc_u32_e32 v20, v2, v11
	v_and_b32_e32 v2, 0xfffffe00, v10
	v_ashrrev_i32_e32 v11, 5, v8
	v_ashrrev_i32_e32 v10, 9, v10
	s_delay_alu instid0(VALU_DEP_4) | instskip(NEXT) | instid1(VALU_DEP_4)
	v_lshlrev_b32_e32 v8, 4, v20
	v_sub_nc_u32_e32 v21, v9, v2
	s_delay_alu instid0(VALU_DEP_2) | instskip(NEXT) | instid1(VALU_DEP_2)
	v_lshl_add_u32 v8, v11, 9, v8
	v_cmp_lt_i32_e64 s13, 15, v21
	s_delay_alu instid0(VALU_DEP_2) | instskip(NEXT) | instid1(VALU_DEP_2)
	v_sub_nc_u32_e32 v18, v9, v8
	v_add_co_ci_u32_e64 v10, vcc_lo, 0, v10, s13
	s_delay_alu instid0(VALU_DEP_1) | instskip(NEXT) | instid1(VALU_DEP_3)
	v_sub_nc_u32_e32 v22, v10, v11
	v_cmpx_lt_i32_e32 15, v18
	s_cbranch_execz .LBB6_6488
; %bb.5835:                             ;   in Loop: Header=BB6_3175 Depth=3
	s_cbranch_execz .LBB6_5836
; %bb.18663:
	s_getpc_b64 s[48:49]
.Lpost_getpc358:
	s_add_u32 s48, s48, (.LBB6_18279-.Lpost_getpc358)&4294967295
	s_addc_u32 s49, s49, (.LBB6_18279-.Lpost_getpc358)>>32
	s_setpc_b64 s[48:49]
.LBB6_5836:                             ;   in Loop: Header=BB6_3175 Depth=3
	ds_load_b64 v[9:10], v0
	ds_load_b128 v[12:15], v0
	v_add_nc_u32_e32 v8, v8, v19
	s_delay_alu instid0(VALU_DEP_1)
	v_ashrrev_i32_e32 v11, 31, v8
	s_waitcnt lgkmcnt(1)
	v_readfirstlane_b32 s14, v9
	s_waitcnt lgkmcnt(0)
	v_add_co_u32 v12, vcc_lo, v12, v8
	v_add_co_ci_u32_e32 v13, vcc_lo, v13, v11, vcc_lo
	s_delay_alu instid0(VALU_DEP_3)
	s_and_b32 s34, s14, 3
	v_add_co_u32 v14, vcc_lo, v14, v8
	s_clz_i32_u32 s35, s34
	v_add_co_ci_u32_e32 v15, vcc_lo, v15, v11, vcc_lo
	s_min_u32 s35, s35, 32
	s_bfe_u32 s36, s14, 0x50002
	s_sub_i32 vcc_lo, s35, 29
	s_sub_i32 s35, 30, s35
	s_lshl_b32 vcc_lo, s14, vcc_lo
	v_and_b32_e32 v23, 0xff, v9
	s_and_b32 s37, vcc_lo, 3
	v_add_co_u32 v16, vcc_lo, v9, v8
	s_cmp_eq_u32 s36, 0
	v_add_co_ci_u32_e32 v17, vcc_lo, v10, v11, vcc_lo
	s_cselect_b32 vcc_lo, s35, s36
	s_cselect_b32 s34, s37, s34
	s_lshl_b32 s14, s14, 24
	s_lshl_b32 vcc_lo, vcc_lo, 23
	s_and_b32 s14, s14, 0x80000000
	s_add_i32 vcc_lo, vcc_lo, 0x37800000
	s_lshl_b32 s35, s34, 21
	s_or_b32 s14, s14, vcc_lo
	s_mov_b32 s34, 0
	s_or_b32 s35, s14, s35
	s_branch .LBB6_5840
.LBB6_5837:                             ;   in Loop: Header=BB6_5840 Depth=4
	s_or_b32 exec_lo, exec_lo, s14
	s_delay_alu instid0(VALU_DEP_1) | instskip(NEXT) | instid1(VALU_DEP_2)
	v_lshrrev_b32_e32 v49, 21, v49
	v_cmp_gt_i32_e32 vcc_lo, 32, v48
	v_min_i32_e32 v50, 31, v48
	v_lshrrev_b32_e32 v11, 24, v11
	s_delay_alu instid0(VALU_DEP_2) | instskip(NEXT) | instid1(VALU_DEP_2)
	v_dual_cndmask_b32 v49, 3, v49 :: v_dual_lshlrev_b32 v50, 2, v50
	v_and_b32_e32 v11, 0x80, v11
	s_delay_alu instid0(VALU_DEP_2) | instskip(NEXT) | instid1(VALU_DEP_3)
	v_or_b32_e32 v48, v48, v49
	v_and_b32_e32 v50, 0xfc, v50
	s_delay_alu instid0(VALU_DEP_2) | instskip(SKIP_1) | instid1(VALU_DEP_1)
	v_cmp_ne_u32_e32 vcc_lo, 0, v48
	v_and_b32_e32 v51, 3, v49
	v_or3_b32 v11, v11, v50, v51
	s_delay_alu instid0(VALU_DEP_1) | instskip(NEXT) | instid1(VALU_DEP_1)
	v_lshlrev_b32_e32 v11, 8, v11
	v_cndmask_b32_e32 v48, 0, v11, vcc_lo
.LBB6_5838:                             ;   in Loop: Header=BB6_5840 Depth=4
	s_or_b32 exec_lo, exec_lo, s37
.LBB6_5839:                             ;   in Loop: Header=BB6_5840 Depth=4
	s_delay_alu instid0(SALU_CYCLE_1)
	s_or_b32 exec_lo, exec_lo, s36
	v_or_b32_e32 v9, v9, v129
	v_and_b32_e32 v11, 0xff, v149
	v_lshlrev_b32_e32 v50, 8, v84
	v_and_b32_e32 v27, 0xff, v27
	v_lshlrev_b32_e32 v26, 8, v26
	v_or_b32_e32 v38, v48, v38
	v_and_b32_e32 v49, 0xff, v132
	v_lshlrev_b32_e32 v8, 24, v8
	v_lshlrev_b32_e32 v9, 16, v9
	;; [unrolled: 1-line block ×3, first 2 shown]
	v_perm_b32 v50, v50, v80, 0xc0c0500
	v_lshlrev_b32_e32 v10, 24, v10
	v_lshlrev_b32_e32 v27, 16, v27
	v_perm_b32 v26, v26, v36, 0xc0c0500
	v_and_b32_e32 v36, 0xff, v37
	v_lshlrev_b32_e32 v37, 16, v38
	v_or3_b32 v9, v115, v49, v9
	v_or3_b32 v8, v8, v11, v50
	;; [unrolled: 1-line block ×3, first 2 shown]
	v_sub_nc_u32_e32 v18, v18, v131
	v_or3_b32 v11, v39, v36, v37
	v_sub_nc_u32_e32 v22, v22, v114
	global_store_b128 v[16:17], v[8:11], off glc slc dlc
	v_dual_mov_b32 v9, v173 :: v_dual_mov_b32 v8, v172
	s_delay_alu instid0(VALU_DEP_1) | instskip(NEXT) | instid1(VALU_DEP_2)
	v_add_co_u32 v12, vcc_lo, v12, v8
	v_add_co_ci_u32_e32 v13, vcc_lo, v13, v9, vcc_lo
	v_add_co_u32 v14, vcc_lo, v14, v8
	v_add_co_ci_u32_e32 v15, vcc_lo, v15, v9, vcc_lo
	v_cmp_gt_i32_e32 vcc_lo, 16, v18
	v_add_co_u32 v16, s14, v16, v8
	s_delay_alu instid0(VALU_DEP_1) | instskip(SKIP_1) | instid1(SALU_CYCLE_1)
	v_add_co_ci_u32_e64 v17, s14, v17, v9, s14
	s_or_b32 s34, vcc_lo, s34
	s_and_not1_b32 exec_lo, exec_lo, s34
	s_cbranch_execz .LBB6_6487
.LBB6_5840:                             ;   Parent Loop BB6_51 Depth=1
                                        ;     Parent Loop BB6_3173 Depth=2
                                        ;       Parent Loop BB6_3175 Depth=3
                                        ; =>      This Inner Loop Header: Depth=4
	v_cmp_gt_i16_e32 vcc_lo, 0x80, v23
	s_cbranch_vccnz .LBB6_5844
; %bb.5841:                             ;   in Loop: Header=BB6_5840 Depth=4
	v_cmp_eq_u16_e32 vcc_lo, 0x80, v23
	s_mov_b32 s14, -1
                                        ; implicit-def: $sgpr36
	s_cbranch_vccz .LBB6_5843
; %bb.5842:                             ;   in Loop: Header=BB6_5840 Depth=4
	s_mov_b32 s14, 0
	s_mov_b32 s36, 0x7f800001
.LBB6_5843:                             ;   in Loop: Header=BB6_5840 Depth=4
	s_mov_b32 vcc_lo, 0
	s_branch .LBB6_5845
.LBB6_5844:                             ;   in Loop: Header=BB6_5840 Depth=4
	s_mov_b32 vcc_lo, -1
	s_mov_b32 s14, 0
                                        ; implicit-def: $sgpr36
.LBB6_5845:                             ;   in Loop: Header=BB6_5840 Depth=4
	s_and_b32 vcc_lo, exec_lo, vcc_lo
	s_cbranch_vccz .LBB6_5847
; %bb.5846:                             ;   in Loop: Header=BB6_5840 Depth=4
	v_cmp_ne_u16_e64 s14, 0, v23
	s_mov_b32 s36, 0
.LBB6_5847:                             ;   in Loop: Header=BB6_5840 Depth=4
	s_delay_alu instid0(VALU_DEP_1)
	s_and_not1_b32 vcc_lo, exec_lo, s14
	s_cbranch_vccnz .LBB6_5849
; %bb.5848:                             ;   in Loop: Header=BB6_5840 Depth=4
	s_mov_b32 s36, s35
.LBB6_5849:                             ;   in Loop: Header=BB6_5840 Depth=4
	global_load_b128 v[8:11], v[12:13], off slc dlc
	s_mov_b32 s14, 0
	s_mov_b32 s38, exec_lo
                                        ; implicit-def: $sgpr37
	s_waitcnt vmcnt(0)
	v_and_b32_e32 v27, 0xff, v8
	s_delay_alu instid0(VALU_DEP_1)
	v_cmpx_lt_i16_e32 0x7f, v27
	s_xor_b32 s38, exec_lo, s38
	s_cbranch_execnz .LBB6_6295
; %bb.5850:                             ;   in Loop: Header=BB6_5840 Depth=4
	s_or_saveexec_b32 s38, s38
	v_mov_b32_e32 v26, s37
	s_xor_b32 exec_lo, exec_lo, s38
	s_cbranch_execnz .LBB6_6298
.LBB6_5851:                             ;   in Loop: Header=BB6_5840 Depth=4
	s_or_b32 exec_lo, exec_lo, s38
	s_and_saveexec_b32 s37, s14
	s_cbranch_execz .LBB6_5853
.LBB6_5852:                             ;   in Loop: Header=BB6_5840 Depth=4
	v_bfe_u32 v37, v8, 2, 5
	v_lshlrev_b32_e32 v38, 24, v8
	s_delay_alu instid0(VALU_DEP_2) | instskip(SKIP_1) | instid1(VALU_DEP_1)
	v_cmp_eq_u32_e32 vcc_lo, 0, v37
	v_and_b32_e32 v26, 3, v8
	v_clz_i32_u32_e32 v27, v26
	s_delay_alu instid0(VALU_DEP_1) | instskip(NEXT) | instid1(VALU_DEP_1)
	v_min_u32_e32 v27, 32, v27
	v_subrev_nc_u32_e32 v36, 29, v27
	v_sub_nc_u32_e32 v27, 30, v27
	s_delay_alu instid0(VALU_DEP_1) | instskip(NEXT) | instid1(VALU_DEP_1)
	v_dual_cndmask_b32 v27, v37, v27 :: v_dual_lshlrev_b32 v36, v36, v8
	v_and_b32_e32 v36, 3, v36
	s_delay_alu instid0(VALU_DEP_2) | instskip(NEXT) | instid1(VALU_DEP_2)
	v_lshl_add_u32 v27, v27, 23, 0x37800000
	v_cndmask_b32_e32 v26, v26, v36, vcc_lo
	v_and_b32_e32 v36, 0x80000000, v38
	s_delay_alu instid0(VALU_DEP_2) | instskip(NEXT) | instid1(VALU_DEP_1)
	v_lshlrev_b32_e32 v26, 21, v26
	v_or3_b32 v26, v36, v27, v26
.LBB6_5853:                             ;   in Loop: Header=BB6_5840 Depth=4
	s_or_b32 exec_lo, exec_lo, s37
	s_delay_alu instid0(VALU_DEP_1) | instskip(SKIP_2) | instid1(VALU_DEP_2)
	v_mul_f32_e32 v26, s36, v26
	v_mov_b32_e32 v80, 0x80
	s_mov_b32 s37, exec_lo
	v_and_b32_e32 v27, 0x7f800000, v26
	s_delay_alu instid0(VALU_DEP_1)
	v_cmpx_ne_u32_e32 0x7f800000, v27
	s_cbranch_execz .LBB6_5861
; %bb.5854:                             ;   in Loop: Header=BB6_5840 Depth=4
	v_mov_b32_e32 v80, 0
	s_mov_b32 s38, exec_lo
	v_cmpx_ne_u32_e32 0, v26
	s_cbranch_execz .LBB6_5860
; %bb.5855:                             ;   in Loop: Header=BB6_5840 Depth=4
	v_bfe_u32 v27, v26, 23, 8
	s_delay_alu instid0(VALU_DEP_1) | instskip(SKIP_1) | instid1(VALU_DEP_2)
	v_sub_nc_u32_e32 v37, 0x70, v27
	v_cmp_gt_u32_e32 vcc_lo, 0x71, v27
	v_dual_cndmask_b32 v37, 0, v37 :: v_dual_and_b32 v36, 0x7fffff, v26
	s_delay_alu instid0(VALU_DEP_1) | instskip(SKIP_2) | instid1(VALU_DEP_4)
	v_or_b32_e32 v38, 0x800000, v36
	v_cmp_eq_u32_e32 vcc_lo, 0, v27
	v_add_nc_u32_e32 v27, 0xffffff91, v27
	v_cndmask_b32_e64 v37, v37, 0x6f, vcc_lo
	s_delay_alu instid0(VALU_DEP_4) | instskip(NEXT) | instid1(VALU_DEP_3)
	v_cndmask_b32_e32 v36, v38, v36, vcc_lo
	v_cndmask_b32_e64 v27, v27, 0xffffff92, vcc_lo
	s_delay_alu instid0(VALU_DEP_3) | instskip(NEXT) | instid1(VALU_DEP_3)
	v_lshl_add_u32 v38, 0x200000, v37, -1
	v_lshrrev_b32_e32 v39, v37, v36
	v_lshlrev_b32_e64 v49, v37, 0x100000
	s_delay_alu instid0(VALU_DEP_4) | instskip(NEXT) | instid1(VALU_DEP_4)
	v_add_nc_u32_e32 v37, v37, v27
	v_and_b32_e32 v36, v38, v36
	s_delay_alu instid0(VALU_DEP_4) | instskip(NEXT) | instid1(VALU_DEP_2)
	v_bfe_u32 v48, v39, 21, 1
	v_cmp_eq_u32_e64 s14, v36, v49
	s_delay_alu instid0(VALU_DEP_2) | instskip(NEXT) | instid1(VALU_DEP_1)
	v_add_nc_u32_e32 v38, -1, v48
	v_cndmask_b32_e64 v36, 0, v38, s14
	v_lshrrev_b32_e32 v38, 23, v39
	s_mov_b32 s14, exec_lo
	s_delay_alu instid0(VALU_DEP_2) | instskip(NEXT) | instid1(VALU_DEP_2)
	v_add_nc_u32_e32 v36, v36, v39
	v_xor_b32_e32 v38, 1, v38
	s_delay_alu instid0(VALU_DEP_2) | instskip(NEXT) | instid1(VALU_DEP_1)
	v_and_b32_e32 v27, 0x1fffff, v36
	v_add_nc_u32_e32 v36, v27, v39
                                        ; implicit-def: $vgpr27
	s_delay_alu instid0(VALU_DEP_3)
	v_cmpx_ne_u32_e64 v37, v38
	s_xor_b32 s14, exec_lo, s14
; %bb.5856:                             ;   in Loop: Header=BB6_5840 Depth=4
	s_delay_alu instid0(VALU_DEP_2) | instskip(SKIP_2) | instid1(VALU_DEP_2)
	v_cmp_lt_u32_e32 vcc_lo, 0xffffff, v36
	v_sub_nc_u32_e32 v27, v37, v38
	v_cndmask_b32_e64 v37, 0, 1, vcc_lo
	v_add_co_ci_u32_e32 v27, vcc_lo, 0, v27, vcc_lo
	s_delay_alu instid0(VALU_DEP_2)
	v_lshrrev_b32_e32 v36, v37, v36
; %bb.5857:                             ;   in Loop: Header=BB6_5840 Depth=4
	s_and_not1_saveexec_b32 s14, s14
; %bb.5858:                             ;   in Loop: Header=BB6_5840 Depth=4
	s_delay_alu instid0(VALU_DEP_1)
	v_bfe_u32 v27, v36, 23, 1
; %bb.5859:                             ;   in Loop: Header=BB6_5840 Depth=4
	s_or_b32 exec_lo, exec_lo, s14
	v_lshrrev_b32_e32 v36, 21, v36
	s_delay_alu instid0(VALU_DEP_2) | instskip(SKIP_2) | instid1(VALU_DEP_4)
	v_cmp_gt_i32_e32 vcc_lo, 32, v27
	v_lshrrev_b32_e32 v26, 24, v26
	v_min_i32_e32 v37, 31, v27
	v_cndmask_b32_e32 v36, 3, v36, vcc_lo
	s_delay_alu instid0(VALU_DEP_3) | instskip(NEXT) | instid1(VALU_DEP_3)
	v_and_b32_e32 v26, 0x80, v26
	v_lshlrev_b32_e32 v37, 2, v37
	s_delay_alu instid0(VALU_DEP_3) | instskip(SKIP_1) | instid1(VALU_DEP_2)
	v_and_b32_e32 v38, 3, v36
	v_or_b32_e32 v27, v27, v36
	v_or3_b32 v26, v37, v26, v38
	s_delay_alu instid0(VALU_DEP_2) | instskip(NEXT) | instid1(VALU_DEP_2)
	v_cmp_ne_u32_e32 vcc_lo, 0, v27
	v_cndmask_b32_e32 v80, 0, v26, vcc_lo
.LBB6_5860:                             ;   in Loop: Header=BB6_5840 Depth=4
	s_or_b32 exec_lo, exec_lo, s38
.LBB6_5861:                             ;   in Loop: Header=BB6_5840 Depth=4
	s_delay_alu instid0(SALU_CYCLE_1) | instskip(SKIP_3) | instid1(VALU_DEP_1)
	s_or_b32 exec_lo, exec_lo, s37
	v_lshrrev_b16 v26, 8, v8
	s_mov_b32 s14, 0
	s_mov_b32 s38, exec_lo
                                        ; implicit-def: $sgpr37
	v_cmpx_lt_i16_e32 0x7f, v26
	s_xor_b32 s38, exec_lo, s38
	s_cbranch_execnz .LBB6_6299
; %bb.5862:                             ;   in Loop: Header=BB6_5840 Depth=4
	s_or_saveexec_b32 s38, s38
	v_mov_b32_e32 v27, s37
	s_xor_b32 exec_lo, exec_lo, s38
	s_cbranch_execnz .LBB6_6302
.LBB6_5863:                             ;   in Loop: Header=BB6_5840 Depth=4
	s_or_b32 exec_lo, exec_lo, s38
	s_and_saveexec_b32 s37, s14
	s_cbranch_execz .LBB6_5865
.LBB6_5864:                             ;   in Loop: Header=BB6_5840 Depth=4
	v_and_b32_e32 v27, 0xffff, v26
	v_lshlrev_b32_e32 v26, 24, v26
	s_delay_alu instid0(VALU_DEP_2) | instskip(NEXT) | instid1(VALU_DEP_2)
	v_and_b32_e32 v36, 3, v27
	v_and_b32_e32 v26, 0x80000000, v26
	s_delay_alu instid0(VALU_DEP_2) | instskip(NEXT) | instid1(VALU_DEP_1)
	v_clz_i32_u32_e32 v37, v36
	v_min_u32_e32 v37, 32, v37
	s_delay_alu instid0(VALU_DEP_1) | instskip(SKIP_1) | instid1(VALU_DEP_2)
	v_subrev_nc_u32_e32 v38, 29, v37
	v_sub_nc_u32_e32 v37, 30, v37
	v_lshlrev_b32_e32 v38, v38, v27
	v_bfe_u32 v27, v27, 2, 5
	s_delay_alu instid0(VALU_DEP_2) | instskip(NEXT) | instid1(VALU_DEP_2)
	v_and_b32_e32 v38, 3, v38
	v_cmp_eq_u32_e32 vcc_lo, 0, v27
	s_delay_alu instid0(VALU_DEP_2) | instskip(NEXT) | instid1(VALU_DEP_1)
	v_dual_cndmask_b32 v27, v27, v37 :: v_dual_cndmask_b32 v36, v36, v38
	v_lshl_add_u32 v27, v27, 23, 0x37800000
	s_delay_alu instid0(VALU_DEP_2) | instskip(NEXT) | instid1(VALU_DEP_1)
	v_lshlrev_b32_e32 v36, 21, v36
	v_or3_b32 v27, v26, v27, v36
.LBB6_5865:                             ;   in Loop: Header=BB6_5840 Depth=4
	s_or_b32 exec_lo, exec_lo, s37
	s_delay_alu instid0(VALU_DEP_1) | instskip(SKIP_2) | instid1(VALU_DEP_2)
	v_mul_f32_e32 v26, s36, v27
	v_mov_b32_e32 v84, 0x80
	s_mov_b32 s37, exec_lo
	v_and_b32_e32 v27, 0x7f800000, v26
	s_delay_alu instid0(VALU_DEP_1)
	v_cmpx_ne_u32_e32 0x7f800000, v27
	s_cbranch_execz .LBB6_5873
; %bb.5866:                             ;   in Loop: Header=BB6_5840 Depth=4
	v_mov_b32_e32 v84, 0
	s_mov_b32 s38, exec_lo
	v_cmpx_ne_u32_e32 0, v26
	s_cbranch_execz .LBB6_5872
; %bb.5867:                             ;   in Loop: Header=BB6_5840 Depth=4
	v_bfe_u32 v27, v26, 23, 8
	s_delay_alu instid0(VALU_DEP_1) | instskip(SKIP_1) | instid1(VALU_DEP_2)
	v_sub_nc_u32_e32 v37, 0x70, v27
	v_cmp_gt_u32_e32 vcc_lo, 0x71, v27
	v_dual_cndmask_b32 v37, 0, v37 :: v_dual_and_b32 v36, 0x7fffff, v26
	s_delay_alu instid0(VALU_DEP_1) | instskip(SKIP_2) | instid1(VALU_DEP_4)
	v_or_b32_e32 v38, 0x800000, v36
	v_cmp_eq_u32_e32 vcc_lo, 0, v27
	v_add_nc_u32_e32 v27, 0xffffff91, v27
	v_cndmask_b32_e64 v37, v37, 0x6f, vcc_lo
	s_delay_alu instid0(VALU_DEP_4) | instskip(NEXT) | instid1(VALU_DEP_3)
	v_cndmask_b32_e32 v36, v38, v36, vcc_lo
	v_cndmask_b32_e64 v27, v27, 0xffffff92, vcc_lo
	s_delay_alu instid0(VALU_DEP_3) | instskip(NEXT) | instid1(VALU_DEP_3)
	v_lshl_add_u32 v38, 0x200000, v37, -1
	v_lshrrev_b32_e32 v39, v37, v36
	v_lshlrev_b32_e64 v49, v37, 0x100000
	s_delay_alu instid0(VALU_DEP_4) | instskip(NEXT) | instid1(VALU_DEP_4)
	v_add_nc_u32_e32 v37, v37, v27
	v_and_b32_e32 v36, v38, v36
	s_delay_alu instid0(VALU_DEP_4) | instskip(NEXT) | instid1(VALU_DEP_2)
	v_bfe_u32 v48, v39, 21, 1
	v_cmp_eq_u32_e64 s14, v36, v49
	s_delay_alu instid0(VALU_DEP_2) | instskip(NEXT) | instid1(VALU_DEP_1)
	v_add_nc_u32_e32 v38, -1, v48
	v_cndmask_b32_e64 v36, 0, v38, s14
	v_lshrrev_b32_e32 v38, 23, v39
	s_mov_b32 s14, exec_lo
	s_delay_alu instid0(VALU_DEP_2) | instskip(NEXT) | instid1(VALU_DEP_2)
	v_add_nc_u32_e32 v36, v36, v39
	v_xor_b32_e32 v38, 1, v38
	s_delay_alu instid0(VALU_DEP_2) | instskip(NEXT) | instid1(VALU_DEP_1)
	v_and_b32_e32 v27, 0x1fffff, v36
	v_add_nc_u32_e32 v36, v27, v39
                                        ; implicit-def: $vgpr27
	s_delay_alu instid0(VALU_DEP_3)
	v_cmpx_ne_u32_e64 v37, v38
	s_xor_b32 s14, exec_lo, s14
; %bb.5868:                             ;   in Loop: Header=BB6_5840 Depth=4
	s_delay_alu instid0(VALU_DEP_2) | instskip(SKIP_2) | instid1(VALU_DEP_2)
	v_cmp_lt_u32_e32 vcc_lo, 0xffffff, v36
	v_sub_nc_u32_e32 v27, v37, v38
	v_cndmask_b32_e64 v37, 0, 1, vcc_lo
	v_add_co_ci_u32_e32 v27, vcc_lo, 0, v27, vcc_lo
	s_delay_alu instid0(VALU_DEP_2)
	v_lshrrev_b32_e32 v36, v37, v36
; %bb.5869:                             ;   in Loop: Header=BB6_5840 Depth=4
	s_and_not1_saveexec_b32 s14, s14
; %bb.5870:                             ;   in Loop: Header=BB6_5840 Depth=4
	s_delay_alu instid0(VALU_DEP_1)
	v_bfe_u32 v27, v36, 23, 1
; %bb.5871:                             ;   in Loop: Header=BB6_5840 Depth=4
	s_or_b32 exec_lo, exec_lo, s14
	v_lshrrev_b32_e32 v36, 21, v36
	s_delay_alu instid0(VALU_DEP_2) | instskip(SKIP_2) | instid1(VALU_DEP_4)
	v_cmp_gt_i32_e32 vcc_lo, 32, v27
	v_lshrrev_b32_e32 v26, 24, v26
	v_min_i32_e32 v37, 31, v27
	v_cndmask_b32_e32 v36, 3, v36, vcc_lo
	s_delay_alu instid0(VALU_DEP_3) | instskip(NEXT) | instid1(VALU_DEP_3)
	v_and_b32_e32 v26, 0x80, v26
	v_lshlrev_b32_e32 v37, 2, v37
	s_delay_alu instid0(VALU_DEP_3) | instskip(SKIP_1) | instid1(VALU_DEP_2)
	v_and_b32_e32 v38, 3, v36
	v_or_b32_e32 v27, v27, v36
	v_or3_b32 v26, v37, v26, v38
	s_delay_alu instid0(VALU_DEP_2) | instskip(NEXT) | instid1(VALU_DEP_2)
	v_cmp_ne_u32_e32 vcc_lo, 0, v27
	v_cndmask_b32_e32 v84, 0, v26, vcc_lo
.LBB6_5872:                             ;   in Loop: Header=BB6_5840 Depth=4
	s_or_b32 exec_lo, exec_lo, s38
.LBB6_5873:                             ;   in Loop: Header=BB6_5840 Depth=4
	s_delay_alu instid0(SALU_CYCLE_1) | instskip(SKIP_3) | instid1(VALU_DEP_1)
	s_or_b32 exec_lo, exec_lo, s37
	v_lshrrev_b32_e32 v26, 16, v8
	s_mov_b32 s14, 0
	s_mov_b32 s38, exec_lo
                                        ; implicit-def: $sgpr37
	v_and_b32_e32 v36, 0xff, v26
	s_delay_alu instid0(VALU_DEP_1)
	v_cmpx_lt_i16_e32 0x7f, v36
	s_xor_b32 s38, exec_lo, s38
	s_cbranch_execnz .LBB6_6303
; %bb.5874:                             ;   in Loop: Header=BB6_5840 Depth=4
	s_or_saveexec_b32 s38, s38
	v_mov_b32_e32 v27, s37
	s_xor_b32 exec_lo, exec_lo, s38
	s_cbranch_execnz .LBB6_6306
.LBB6_5875:                             ;   in Loop: Header=BB6_5840 Depth=4
	s_or_b32 exec_lo, exec_lo, s38
	s_and_saveexec_b32 s37, s14
	s_cbranch_execz .LBB6_5877
.LBB6_5876:                             ;   in Loop: Header=BB6_5840 Depth=4
	v_bfe_u32 v27, v8, 16, 2
	v_lshlrev_b32_e32 v38, 8, v8
	s_delay_alu instid0(VALU_DEP_2) | instskip(NEXT) | instid1(VALU_DEP_1)
	v_clz_i32_u32_e32 v36, v27
	v_min_u32_e32 v36, 32, v36
	s_delay_alu instid0(VALU_DEP_1) | instskip(SKIP_1) | instid1(VALU_DEP_2)
	v_subrev_nc_u32_e32 v37, 29, v36
	v_sub_nc_u32_e32 v36, 30, v36
	v_lshlrev_b32_e32 v26, v37, v26
	v_bfe_u32 v37, v8, 18, 5
	s_delay_alu instid0(VALU_DEP_2) | instskip(NEXT) | instid1(VALU_DEP_2)
	v_and_b32_e32 v26, 3, v26
	v_cmp_eq_u32_e32 vcc_lo, 0, v37
	v_cndmask_b32_e32 v36, v37, v36, vcc_lo
	s_delay_alu instid0(VALU_DEP_3) | instskip(SKIP_1) | instid1(VALU_DEP_3)
	v_cndmask_b32_e32 v26, v27, v26, vcc_lo
	v_and_b32_e32 v27, 0x80000000, v38
	v_lshl_add_u32 v36, v36, 23, 0x37800000
	s_delay_alu instid0(VALU_DEP_3) | instskip(NEXT) | instid1(VALU_DEP_1)
	v_lshlrev_b32_e32 v26, 21, v26
	v_or3_b32 v27, v27, v36, v26
.LBB6_5877:                             ;   in Loop: Header=BB6_5840 Depth=4
	s_or_b32 exec_lo, exec_lo, s37
	s_delay_alu instid0(VALU_DEP_1) | instskip(SKIP_2) | instid1(VALU_DEP_2)
	v_mul_f32_e32 v26, s36, v27
	v_mov_b32_e32 v132, 0x80
	s_mov_b32 s37, exec_lo
	v_and_b32_e32 v27, 0x7f800000, v26
	s_delay_alu instid0(VALU_DEP_1)
	v_cmpx_ne_u32_e32 0x7f800000, v27
	s_cbranch_execz .LBB6_5885
; %bb.5878:                             ;   in Loop: Header=BB6_5840 Depth=4
	v_mov_b32_e32 v132, 0
	s_mov_b32 s38, exec_lo
	v_cmpx_ne_u32_e32 0, v26
	s_cbranch_execz .LBB6_5884
; %bb.5879:                             ;   in Loop: Header=BB6_5840 Depth=4
	v_bfe_u32 v27, v26, 23, 8
	s_delay_alu instid0(VALU_DEP_1) | instskip(SKIP_1) | instid1(VALU_DEP_2)
	v_sub_nc_u32_e32 v37, 0x70, v27
	v_cmp_gt_u32_e32 vcc_lo, 0x71, v27
	v_dual_cndmask_b32 v37, 0, v37 :: v_dual_and_b32 v36, 0x7fffff, v26
	s_delay_alu instid0(VALU_DEP_1) | instskip(SKIP_2) | instid1(VALU_DEP_4)
	v_or_b32_e32 v38, 0x800000, v36
	v_cmp_eq_u32_e32 vcc_lo, 0, v27
	v_add_nc_u32_e32 v27, 0xffffff91, v27
	v_cndmask_b32_e64 v37, v37, 0x6f, vcc_lo
	s_delay_alu instid0(VALU_DEP_4) | instskip(NEXT) | instid1(VALU_DEP_3)
	v_cndmask_b32_e32 v36, v38, v36, vcc_lo
	v_cndmask_b32_e64 v27, v27, 0xffffff92, vcc_lo
	s_delay_alu instid0(VALU_DEP_3) | instskip(NEXT) | instid1(VALU_DEP_3)
	v_lshl_add_u32 v38, 0x200000, v37, -1
	v_lshrrev_b32_e32 v39, v37, v36
	v_lshlrev_b32_e64 v49, v37, 0x100000
	s_delay_alu instid0(VALU_DEP_4) | instskip(NEXT) | instid1(VALU_DEP_4)
	v_add_nc_u32_e32 v37, v37, v27
	v_and_b32_e32 v36, v38, v36
	s_delay_alu instid0(VALU_DEP_4) | instskip(NEXT) | instid1(VALU_DEP_2)
	v_bfe_u32 v48, v39, 21, 1
	v_cmp_eq_u32_e64 s14, v36, v49
	s_delay_alu instid0(VALU_DEP_2) | instskip(NEXT) | instid1(VALU_DEP_1)
	v_add_nc_u32_e32 v38, -1, v48
	v_cndmask_b32_e64 v36, 0, v38, s14
	v_lshrrev_b32_e32 v38, 23, v39
	s_mov_b32 s14, exec_lo
	s_delay_alu instid0(VALU_DEP_2) | instskip(NEXT) | instid1(VALU_DEP_2)
	v_add_nc_u32_e32 v36, v36, v39
	v_xor_b32_e32 v38, 1, v38
	s_delay_alu instid0(VALU_DEP_2) | instskip(NEXT) | instid1(VALU_DEP_1)
	v_and_b32_e32 v27, 0x1fffff, v36
	v_add_nc_u32_e32 v36, v27, v39
                                        ; implicit-def: $vgpr27
	s_delay_alu instid0(VALU_DEP_3)
	v_cmpx_ne_u32_e64 v37, v38
	s_xor_b32 s14, exec_lo, s14
; %bb.5880:                             ;   in Loop: Header=BB6_5840 Depth=4
	s_delay_alu instid0(VALU_DEP_2) | instskip(SKIP_2) | instid1(VALU_DEP_2)
	v_cmp_lt_u32_e32 vcc_lo, 0xffffff, v36
	v_sub_nc_u32_e32 v27, v37, v38
	v_cndmask_b32_e64 v37, 0, 1, vcc_lo
	v_add_co_ci_u32_e32 v27, vcc_lo, 0, v27, vcc_lo
	s_delay_alu instid0(VALU_DEP_2)
	v_lshrrev_b32_e32 v36, v37, v36
; %bb.5881:                             ;   in Loop: Header=BB6_5840 Depth=4
	s_and_not1_saveexec_b32 s14, s14
; %bb.5882:                             ;   in Loop: Header=BB6_5840 Depth=4
	s_delay_alu instid0(VALU_DEP_1)
	v_bfe_u32 v27, v36, 23, 1
; %bb.5883:                             ;   in Loop: Header=BB6_5840 Depth=4
	s_or_b32 exec_lo, exec_lo, s14
	v_lshrrev_b32_e32 v36, 21, v36
	s_delay_alu instid0(VALU_DEP_2) | instskip(SKIP_2) | instid1(VALU_DEP_4)
	v_cmp_gt_i32_e32 vcc_lo, 32, v27
	v_lshrrev_b32_e32 v26, 24, v26
	v_min_i32_e32 v37, 31, v27
	v_cndmask_b32_e32 v36, 3, v36, vcc_lo
	s_delay_alu instid0(VALU_DEP_3) | instskip(NEXT) | instid1(VALU_DEP_3)
	v_and_b32_e32 v26, 0x80, v26
	v_lshlrev_b32_e32 v37, 2, v37
	s_delay_alu instid0(VALU_DEP_3) | instskip(SKIP_1) | instid1(VALU_DEP_2)
	v_and_b32_e32 v38, 3, v36
	v_or_b32_e32 v27, v27, v36
	v_or3_b32 v26, v37, v26, v38
	s_delay_alu instid0(VALU_DEP_2) | instskip(NEXT) | instid1(VALU_DEP_2)
	v_cmp_ne_u32_e32 vcc_lo, 0, v27
	v_cndmask_b32_e32 v132, 0, v26, vcc_lo
.LBB6_5884:                             ;   in Loop: Header=BB6_5840 Depth=4
	s_or_b32 exec_lo, exec_lo, s38
.LBB6_5885:                             ;   in Loop: Header=BB6_5840 Depth=4
	s_delay_alu instid0(SALU_CYCLE_1) | instskip(SKIP_3) | instid1(VALU_DEP_1)
	s_or_b32 exec_lo, exec_lo, s37
	v_lshrrev_b32_e32 v26, 24, v8
	s_mov_b32 s14, 0
	s_mov_b32 s38, exec_lo
                                        ; implicit-def: $sgpr37
	v_cmpx_lt_i16_e32 0x7f, v26
	s_xor_b32 s38, exec_lo, s38
	s_cbranch_execnz .LBB6_6307
; %bb.5886:                             ;   in Loop: Header=BB6_5840 Depth=4
	s_or_saveexec_b32 s38, s38
	v_mov_b32_e32 v27, s37
	s_xor_b32 exec_lo, exec_lo, s38
	s_cbranch_execnz .LBB6_6310
.LBB6_5887:                             ;   in Loop: Header=BB6_5840 Depth=4
	s_or_b32 exec_lo, exec_lo, s38
	s_and_saveexec_b32 s37, s14
	s_cbranch_execz .LBB6_5889
.LBB6_5888:                             ;   in Loop: Header=BB6_5840 Depth=4
	v_bfe_u32 v27, v8, 24, 2
	s_delay_alu instid0(VALU_DEP_1) | instskip(NEXT) | instid1(VALU_DEP_1)
	v_clz_i32_u32_e32 v36, v27
	v_min_u32_e32 v36, 32, v36
	s_delay_alu instid0(VALU_DEP_1) | instskip(SKIP_1) | instid1(VALU_DEP_2)
	v_subrev_nc_u32_e32 v37, 29, v36
	v_sub_nc_u32_e32 v36, 30, v36
	v_lshlrev_b32_e32 v26, v37, v26
	v_bfe_u32 v37, v8, 26, 5
	v_and_b32_e32 v8, 0x80000000, v8
	s_delay_alu instid0(VALU_DEP_3) | instskip(NEXT) | instid1(VALU_DEP_3)
	v_and_b32_e32 v26, 3, v26
	v_cmp_eq_u32_e32 vcc_lo, 0, v37
	v_cndmask_b32_e32 v36, v37, v36, vcc_lo
	s_delay_alu instid0(VALU_DEP_3) | instskip(NEXT) | instid1(VALU_DEP_2)
	v_cndmask_b32_e32 v26, v27, v26, vcc_lo
	v_lshl_add_u32 v27, v36, 23, 0x37800000
	s_delay_alu instid0(VALU_DEP_2) | instskip(NEXT) | instid1(VALU_DEP_1)
	v_lshlrev_b32_e32 v26, 21, v26
	v_or3_b32 v27, v8, v27, v26
.LBB6_5889:                             ;   in Loop: Header=BB6_5840 Depth=4
	s_or_b32 exec_lo, exec_lo, s37
	s_delay_alu instid0(VALU_DEP_1) | instskip(SKIP_1) | instid1(VALU_DEP_1)
	v_dual_mul_f32 v8, s36, v27 :: v_dual_mov_b32 v151, 0x80
	s_mov_b32 s37, exec_lo
	v_and_b32_e32 v26, 0x7f800000, v8
	s_delay_alu instid0(VALU_DEP_1)
	v_cmpx_ne_u32_e32 0x7f800000, v26
	s_cbranch_execz .LBB6_5897
; %bb.5890:                             ;   in Loop: Header=BB6_5840 Depth=4
	v_mov_b32_e32 v151, 0
	s_mov_b32 s38, exec_lo
	v_cmpx_ne_u32_e32 0, v8
	s_cbranch_execz .LBB6_5896
; %bb.5891:                             ;   in Loop: Header=BB6_5840 Depth=4
	v_bfe_u32 v26, v8, 23, 8
	v_and_b32_e32 v27, 0x7fffff, v8
	s_delay_alu instid0(VALU_DEP_2) | instskip(SKIP_1) | instid1(VALU_DEP_3)
	v_sub_nc_u32_e32 v36, 0x70, v26
	v_cmp_gt_u32_e32 vcc_lo, 0x71, v26
	v_or_b32_e32 v37, 0x800000, v27
	s_delay_alu instid0(VALU_DEP_3) | instskip(SKIP_1) | instid1(VALU_DEP_3)
	v_cndmask_b32_e32 v36, 0, v36, vcc_lo
	v_cmp_eq_u32_e32 vcc_lo, 0, v26
	v_dual_cndmask_b32 v27, v37, v27 :: v_dual_add_nc_u32 v26, 0xffffff91, v26
	s_delay_alu instid0(VALU_DEP_3) | instskip(NEXT) | instid1(VALU_DEP_2)
	v_cndmask_b32_e64 v36, v36, 0x6f, vcc_lo
	v_cndmask_b32_e64 v26, v26, 0xffffff92, vcc_lo
	s_delay_alu instid0(VALU_DEP_2) | instskip(SKIP_2) | instid1(VALU_DEP_4)
	v_lshrrev_b32_e32 v38, v36, v27
	v_lshl_add_u32 v37, 0x200000, v36, -1
	v_lshlrev_b32_e64 v48, v36, 0x100000
	v_add_nc_u32_e32 v36, v36, v26
	s_delay_alu instid0(VALU_DEP_4) | instskip(NEXT) | instid1(VALU_DEP_4)
	v_bfe_u32 v39, v38, 21, 1
	v_and_b32_e32 v27, v37, v27
	s_delay_alu instid0(VALU_DEP_2) | instskip(NEXT) | instid1(VALU_DEP_2)
	v_add_nc_u32_e32 v37, -1, v39
	v_cmp_eq_u32_e64 s14, v27, v48
	s_delay_alu instid0(VALU_DEP_1) | instskip(SKIP_2) | instid1(VALU_DEP_2)
	v_cndmask_b32_e64 v27, 0, v37, s14
	v_lshrrev_b32_e32 v37, 23, v38
	s_mov_b32 s14, exec_lo
	v_add_nc_u32_e32 v27, v27, v38
	s_delay_alu instid0(VALU_DEP_2) | instskip(NEXT) | instid1(VALU_DEP_2)
	v_xor_b32_e32 v37, 1, v37
	v_and_b32_e32 v26, 0x1fffff, v27
	s_delay_alu instid0(VALU_DEP_1) | instskip(NEXT) | instid1(VALU_DEP_3)
	v_add_nc_u32_e32 v27, v26, v38
                                        ; implicit-def: $vgpr26
	v_cmpx_ne_u32_e64 v36, v37
	s_xor_b32 s14, exec_lo, s14
; %bb.5892:                             ;   in Loop: Header=BB6_5840 Depth=4
	s_delay_alu instid0(VALU_DEP_2) | instskip(SKIP_2) | instid1(VALU_DEP_2)
	v_cmp_lt_u32_e32 vcc_lo, 0xffffff, v27
	v_sub_nc_u32_e32 v26, v36, v37
	v_cndmask_b32_e64 v36, 0, 1, vcc_lo
	v_add_co_ci_u32_e32 v26, vcc_lo, 0, v26, vcc_lo
	s_delay_alu instid0(VALU_DEP_2)
	v_lshrrev_b32_e32 v27, v36, v27
; %bb.5893:                             ;   in Loop: Header=BB6_5840 Depth=4
	s_and_not1_saveexec_b32 s14, s14
; %bb.5894:                             ;   in Loop: Header=BB6_5840 Depth=4
	s_delay_alu instid0(VALU_DEP_1)
	v_bfe_u32 v26, v27, 23, 1
; %bb.5895:                             ;   in Loop: Header=BB6_5840 Depth=4
	s_or_b32 exec_lo, exec_lo, s14
	v_lshrrev_b32_e32 v27, 21, v27
	s_delay_alu instid0(VALU_DEP_2) | instskip(SKIP_2) | instid1(VALU_DEP_2)
	v_cmp_gt_i32_e32 vcc_lo, 32, v26
	v_lshrrev_b32_e32 v8, 24, v8
	v_min_i32_e32 v36, 31, v26
	v_dual_cndmask_b32 v27, 3, v27 :: v_dual_and_b32 v8, 0x80, v8
	s_delay_alu instid0(VALU_DEP_2) | instskip(NEXT) | instid1(VALU_DEP_2)
	v_lshlrev_b32_e32 v36, 2, v36
	v_and_b32_e32 v37, 3, v27
	v_or_b32_e32 v26, v26, v27
	s_delay_alu instid0(VALU_DEP_2) | instskip(NEXT) | instid1(VALU_DEP_2)
	v_or3_b32 v8, v36, v8, v37
	v_cmp_ne_u32_e32 vcc_lo, 0, v26
	s_delay_alu instid0(VALU_DEP_2)
	v_cndmask_b32_e32 v151, 0, v8, vcc_lo
.LBB6_5896:                             ;   in Loop: Header=BB6_5840 Depth=4
	s_or_b32 exec_lo, exec_lo, s38
.LBB6_5897:                             ;   in Loop: Header=BB6_5840 Depth=4
	s_delay_alu instid0(SALU_CYCLE_1) | instskip(SKIP_3) | instid1(VALU_DEP_1)
	s_or_b32 exec_lo, exec_lo, s37
	v_and_b32_e32 v26, 0xff, v9
	s_mov_b32 s14, 0
	s_mov_b32 s38, exec_lo
                                        ; implicit-def: $sgpr37
	v_cmpx_lt_i16_e32 0x7f, v26
	s_xor_b32 s38, exec_lo, s38
	s_cbranch_execnz .LBB6_6311
; %bb.5898:                             ;   in Loop: Header=BB6_5840 Depth=4
	s_or_saveexec_b32 s38, s38
	v_mov_b32_e32 v8, s37
	s_xor_b32 exec_lo, exec_lo, s38
	s_cbranch_execnz .LBB6_6314
.LBB6_5899:                             ;   in Loop: Header=BB6_5840 Depth=4
	s_or_b32 exec_lo, exec_lo, s38
	s_and_saveexec_b32 s37, s14
	s_cbranch_execz .LBB6_5901
.LBB6_5900:                             ;   in Loop: Header=BB6_5840 Depth=4
	v_and_b32_e32 v8, 3, v9
	v_bfe_u32 v36, v9, 2, 5
	s_delay_alu instid0(VALU_DEP_2) | instskip(NEXT) | instid1(VALU_DEP_2)
	v_clz_i32_u32_e32 v26, v8
	v_cmp_eq_u32_e32 vcc_lo, 0, v36
	s_delay_alu instid0(VALU_DEP_2) | instskip(NEXT) | instid1(VALU_DEP_1)
	v_min_u32_e32 v26, 32, v26
	v_subrev_nc_u32_e32 v27, 29, v26
	v_sub_nc_u32_e32 v26, 30, v26
	s_delay_alu instid0(VALU_DEP_1) | instskip(NEXT) | instid1(VALU_DEP_1)
	v_dual_cndmask_b32 v26, v36, v26 :: v_dual_lshlrev_b32 v27, v27, v9
	v_and_b32_e32 v27, 3, v27
	v_lshlrev_b32_e32 v37, 24, v9
	s_delay_alu instid0(VALU_DEP_3) | instskip(NEXT) | instid1(VALU_DEP_2)
	v_lshl_add_u32 v26, v26, 23, 0x37800000
	v_dual_cndmask_b32 v8, v8, v27 :: v_dual_and_b32 v27, 0x80000000, v37
	s_delay_alu instid0(VALU_DEP_1) | instskip(NEXT) | instid1(VALU_DEP_1)
	v_lshlrev_b32_e32 v8, 21, v8
	v_or3_b32 v8, v27, v26, v8
.LBB6_5901:                             ;   in Loop: Header=BB6_5840 Depth=4
	s_or_b32 exec_lo, exec_lo, s37
	s_delay_alu instid0(VALU_DEP_1) | instskip(SKIP_2) | instid1(VALU_DEP_2)
	v_mul_f32_e32 v8, s36, v8
	v_mov_b32_e32 v150, 0x80
	s_mov_b32 s37, exec_lo
	v_and_b32_e32 v26, 0x7f800000, v8
	s_delay_alu instid0(VALU_DEP_1)
	v_cmpx_ne_u32_e32 0x7f800000, v26
	s_cbranch_execz .LBB6_5909
; %bb.5902:                             ;   in Loop: Header=BB6_5840 Depth=4
	v_mov_b32_e32 v150, 0
	s_mov_b32 s38, exec_lo
	v_cmpx_ne_u32_e32 0, v8
	s_cbranch_execz .LBB6_5908
; %bb.5903:                             ;   in Loop: Header=BB6_5840 Depth=4
	v_bfe_u32 v26, v8, 23, 8
	v_and_b32_e32 v27, 0x7fffff, v8
	s_delay_alu instid0(VALU_DEP_2) | instskip(SKIP_1) | instid1(VALU_DEP_3)
	v_sub_nc_u32_e32 v36, 0x70, v26
	v_cmp_gt_u32_e32 vcc_lo, 0x71, v26
	v_or_b32_e32 v37, 0x800000, v27
	s_delay_alu instid0(VALU_DEP_3) | instskip(SKIP_1) | instid1(VALU_DEP_3)
	v_cndmask_b32_e32 v36, 0, v36, vcc_lo
	v_cmp_eq_u32_e32 vcc_lo, 0, v26
	v_dual_cndmask_b32 v27, v37, v27 :: v_dual_add_nc_u32 v26, 0xffffff91, v26
	s_delay_alu instid0(VALU_DEP_3) | instskip(NEXT) | instid1(VALU_DEP_2)
	v_cndmask_b32_e64 v36, v36, 0x6f, vcc_lo
	v_cndmask_b32_e64 v26, v26, 0xffffff92, vcc_lo
	s_delay_alu instid0(VALU_DEP_2) | instskip(SKIP_2) | instid1(VALU_DEP_4)
	v_lshrrev_b32_e32 v38, v36, v27
	v_lshl_add_u32 v37, 0x200000, v36, -1
	v_lshlrev_b32_e64 v48, v36, 0x100000
	v_add_nc_u32_e32 v36, v36, v26
	s_delay_alu instid0(VALU_DEP_4) | instskip(NEXT) | instid1(VALU_DEP_4)
	v_bfe_u32 v39, v38, 21, 1
	v_and_b32_e32 v27, v37, v27
	s_delay_alu instid0(VALU_DEP_2) | instskip(NEXT) | instid1(VALU_DEP_2)
	v_add_nc_u32_e32 v37, -1, v39
	v_cmp_eq_u32_e64 s14, v27, v48
	s_delay_alu instid0(VALU_DEP_1) | instskip(SKIP_2) | instid1(VALU_DEP_2)
	v_cndmask_b32_e64 v27, 0, v37, s14
	v_lshrrev_b32_e32 v37, 23, v38
	s_mov_b32 s14, exec_lo
	v_add_nc_u32_e32 v27, v27, v38
	s_delay_alu instid0(VALU_DEP_2) | instskip(NEXT) | instid1(VALU_DEP_2)
	v_xor_b32_e32 v37, 1, v37
	v_and_b32_e32 v26, 0x1fffff, v27
	s_delay_alu instid0(VALU_DEP_1) | instskip(NEXT) | instid1(VALU_DEP_3)
	v_add_nc_u32_e32 v27, v26, v38
                                        ; implicit-def: $vgpr26
	v_cmpx_ne_u32_e64 v36, v37
	s_xor_b32 s14, exec_lo, s14
; %bb.5904:                             ;   in Loop: Header=BB6_5840 Depth=4
	s_delay_alu instid0(VALU_DEP_2) | instskip(SKIP_2) | instid1(VALU_DEP_2)
	v_cmp_lt_u32_e32 vcc_lo, 0xffffff, v27
	v_sub_nc_u32_e32 v26, v36, v37
	v_cndmask_b32_e64 v36, 0, 1, vcc_lo
	v_add_co_ci_u32_e32 v26, vcc_lo, 0, v26, vcc_lo
	s_delay_alu instid0(VALU_DEP_2)
	v_lshrrev_b32_e32 v27, v36, v27
; %bb.5905:                             ;   in Loop: Header=BB6_5840 Depth=4
	s_and_not1_saveexec_b32 s14, s14
; %bb.5906:                             ;   in Loop: Header=BB6_5840 Depth=4
	s_delay_alu instid0(VALU_DEP_1)
	v_bfe_u32 v26, v27, 23, 1
; %bb.5907:                             ;   in Loop: Header=BB6_5840 Depth=4
	s_or_b32 exec_lo, exec_lo, s14
	v_lshrrev_b32_e32 v27, 21, v27
	s_delay_alu instid0(VALU_DEP_2) | instskip(SKIP_2) | instid1(VALU_DEP_2)
	v_cmp_gt_i32_e32 vcc_lo, 32, v26
	v_min_i32_e32 v36, 31, v26
	v_lshrrev_b32_e32 v8, 24, v8
	v_dual_cndmask_b32 v27, 3, v27 :: v_dual_lshlrev_b32 v36, 2, v36
	s_delay_alu instid0(VALU_DEP_2) | instskip(NEXT) | instid1(VALU_DEP_2)
	v_and_b32_e32 v8, 0x80, v8
	v_or_b32_e32 v26, v26, v27
	s_delay_alu instid0(VALU_DEP_3) | instskip(NEXT) | instid1(VALU_DEP_2)
	v_and_b32_e32 v36, 0xfc, v36
	v_cmp_ne_u32_e32 vcc_lo, 0, v26
	v_and_b32_e32 v37, 3, v27
	s_delay_alu instid0(VALU_DEP_1) | instskip(NEXT) | instid1(VALU_DEP_1)
	v_or3_b32 v8, v36, v8, v37
	v_cndmask_b32_e32 v150, 0, v8, vcc_lo
.LBB6_5908:                             ;   in Loop: Header=BB6_5840 Depth=4
	s_or_b32 exec_lo, exec_lo, s38
.LBB6_5909:                             ;   in Loop: Header=BB6_5840 Depth=4
	s_delay_alu instid0(SALU_CYCLE_1) | instskip(SKIP_3) | instid1(VALU_DEP_1)
	s_or_b32 exec_lo, exec_lo, s37
	v_lshrrev_b16 v8, 8, v9
	s_mov_b32 s14, 0
	s_mov_b32 s38, exec_lo
                                        ; implicit-def: $sgpr37
	v_cmpx_lt_i16_e32 0x7f, v8
	s_xor_b32 s38, exec_lo, s38
	s_cbranch_execnz .LBB6_6315
; %bb.5910:                             ;   in Loop: Header=BB6_5840 Depth=4
	s_or_saveexec_b32 s38, s38
	v_mov_b32_e32 v26, s37
	s_xor_b32 exec_lo, exec_lo, s38
	s_cbranch_execnz .LBB6_6318
.LBB6_5911:                             ;   in Loop: Header=BB6_5840 Depth=4
	s_or_b32 exec_lo, exec_lo, s38
	s_and_saveexec_b32 s37, s14
	s_cbranch_execz .LBB6_5913
.LBB6_5912:                             ;   in Loop: Header=BB6_5840 Depth=4
	v_and_b32_e32 v26, 0xffff, v8
	v_lshlrev_b32_e32 v8, 24, v8
	s_delay_alu instid0(VALU_DEP_2) | instskip(NEXT) | instid1(VALU_DEP_2)
	v_and_b32_e32 v27, 3, v26
	v_and_b32_e32 v8, 0x80000000, v8
	s_delay_alu instid0(VALU_DEP_2) | instskip(NEXT) | instid1(VALU_DEP_1)
	v_clz_i32_u32_e32 v36, v27
	v_min_u32_e32 v36, 32, v36
	s_delay_alu instid0(VALU_DEP_1) | instskip(SKIP_1) | instid1(VALU_DEP_2)
	v_subrev_nc_u32_e32 v37, 29, v36
	v_sub_nc_u32_e32 v36, 30, v36
	v_lshlrev_b32_e32 v37, v37, v26
	v_bfe_u32 v26, v26, 2, 5
	s_delay_alu instid0(VALU_DEP_2) | instskip(NEXT) | instid1(VALU_DEP_2)
	v_and_b32_e32 v37, 3, v37
	v_cmp_eq_u32_e32 vcc_lo, 0, v26
	s_delay_alu instid0(VALU_DEP_2) | instskip(NEXT) | instid1(VALU_DEP_1)
	v_dual_cndmask_b32 v26, v26, v36 :: v_dual_cndmask_b32 v27, v27, v37
	v_lshl_add_u32 v26, v26, 23, 0x37800000
	s_delay_alu instid0(VALU_DEP_2) | instskip(NEXT) | instid1(VALU_DEP_1)
	v_lshlrev_b32_e32 v27, 21, v27
	v_or3_b32 v26, v8, v26, v27
.LBB6_5913:                             ;   in Loop: Header=BB6_5840 Depth=4
	s_or_b32 exec_lo, exec_lo, s37
	s_delay_alu instid0(VALU_DEP_1) | instskip(SKIP_1) | instid1(VALU_DEP_1)
	v_dual_mul_f32 v8, s36, v26 :: v_dual_mov_b32 v161, 0x8000
	s_mov_b32 s37, exec_lo
	v_and_b32_e32 v26, 0x7f800000, v8
	s_delay_alu instid0(VALU_DEP_1)
	v_cmpx_ne_u32_e32 0x7f800000, v26
	s_cbranch_execz .LBB6_5921
; %bb.5914:                             ;   in Loop: Header=BB6_5840 Depth=4
	v_mov_b32_e32 v161, 0
	s_mov_b32 s38, exec_lo
	v_cmpx_ne_u32_e32 0, v8
	s_cbranch_execz .LBB6_5920
; %bb.5915:                             ;   in Loop: Header=BB6_5840 Depth=4
	v_bfe_u32 v26, v8, 23, 8
	v_and_b32_e32 v27, 0x7fffff, v8
	s_delay_alu instid0(VALU_DEP_2) | instskip(SKIP_1) | instid1(VALU_DEP_3)
	v_sub_nc_u32_e32 v36, 0x70, v26
	v_cmp_gt_u32_e32 vcc_lo, 0x71, v26
	v_or_b32_e32 v37, 0x800000, v27
	s_delay_alu instid0(VALU_DEP_3) | instskip(SKIP_1) | instid1(VALU_DEP_3)
	v_cndmask_b32_e32 v36, 0, v36, vcc_lo
	v_cmp_eq_u32_e32 vcc_lo, 0, v26
	v_dual_cndmask_b32 v27, v37, v27 :: v_dual_add_nc_u32 v26, 0xffffff91, v26
	s_delay_alu instid0(VALU_DEP_3) | instskip(NEXT) | instid1(VALU_DEP_2)
	v_cndmask_b32_e64 v36, v36, 0x6f, vcc_lo
	v_cndmask_b32_e64 v26, v26, 0xffffff92, vcc_lo
	s_delay_alu instid0(VALU_DEP_2) | instskip(SKIP_2) | instid1(VALU_DEP_4)
	v_lshrrev_b32_e32 v38, v36, v27
	v_lshl_add_u32 v37, 0x200000, v36, -1
	v_lshlrev_b32_e64 v48, v36, 0x100000
	v_add_nc_u32_e32 v36, v36, v26
	s_delay_alu instid0(VALU_DEP_4) | instskip(NEXT) | instid1(VALU_DEP_4)
	v_bfe_u32 v39, v38, 21, 1
	v_and_b32_e32 v27, v37, v27
	s_delay_alu instid0(VALU_DEP_2) | instskip(NEXT) | instid1(VALU_DEP_2)
	v_add_nc_u32_e32 v37, -1, v39
	v_cmp_eq_u32_e64 s14, v27, v48
	s_delay_alu instid0(VALU_DEP_1) | instskip(SKIP_2) | instid1(VALU_DEP_2)
	v_cndmask_b32_e64 v27, 0, v37, s14
	v_lshrrev_b32_e32 v37, 23, v38
	s_mov_b32 s14, exec_lo
	v_add_nc_u32_e32 v27, v27, v38
	s_delay_alu instid0(VALU_DEP_2) | instskip(NEXT) | instid1(VALU_DEP_2)
	v_xor_b32_e32 v37, 1, v37
	v_and_b32_e32 v26, 0x1fffff, v27
	s_delay_alu instid0(VALU_DEP_1) | instskip(NEXT) | instid1(VALU_DEP_3)
	v_add_nc_u32_e32 v27, v26, v38
                                        ; implicit-def: $vgpr26
	v_cmpx_ne_u32_e64 v36, v37
	s_xor_b32 s14, exec_lo, s14
; %bb.5916:                             ;   in Loop: Header=BB6_5840 Depth=4
	s_delay_alu instid0(VALU_DEP_2) | instskip(SKIP_2) | instid1(VALU_DEP_2)
	v_cmp_lt_u32_e32 vcc_lo, 0xffffff, v27
	v_sub_nc_u32_e32 v26, v36, v37
	v_cndmask_b32_e64 v36, 0, 1, vcc_lo
	v_add_co_ci_u32_e32 v26, vcc_lo, 0, v26, vcc_lo
	s_delay_alu instid0(VALU_DEP_2)
	v_lshrrev_b32_e32 v27, v36, v27
; %bb.5917:                             ;   in Loop: Header=BB6_5840 Depth=4
	s_and_not1_saveexec_b32 s14, s14
; %bb.5918:                             ;   in Loop: Header=BB6_5840 Depth=4
	s_delay_alu instid0(VALU_DEP_1)
	v_bfe_u32 v26, v27, 23, 1
; %bb.5919:                             ;   in Loop: Header=BB6_5840 Depth=4
	s_or_b32 exec_lo, exec_lo, s14
	v_lshrrev_b32_e32 v27, 21, v27
	s_delay_alu instid0(VALU_DEP_2) | instskip(SKIP_2) | instid1(VALU_DEP_3)
	v_min_i32_e32 v36, 31, v26
	v_cmp_gt_i32_e32 vcc_lo, 32, v26
	v_lshrrev_b32_e32 v8, 24, v8
	v_dual_cndmask_b32 v27, 3, v27 :: v_dual_lshlrev_b32 v36, 2, v36
	s_delay_alu instid0(VALU_DEP_2) | instskip(NEXT) | instid1(VALU_DEP_2)
	v_and_b32_e32 v8, 0x80, v8
	v_and_b32_e32 v36, 0xfc, v36
	s_delay_alu instid0(VALU_DEP_3) | instskip(SKIP_1) | instid1(VALU_DEP_2)
	v_and_b32_e32 v37, 3, v27
	v_or_b32_e32 v26, v26, v27
	v_or3_b32 v8, v8, v36, v37
	s_delay_alu instid0(VALU_DEP_2) | instskip(NEXT) | instid1(VALU_DEP_2)
	v_cmp_ne_u32_e32 vcc_lo, 0, v26
	v_lshlrev_b32_e32 v8, 8, v8
	s_delay_alu instid0(VALU_DEP_1)
	v_cndmask_b32_e32 v161, 0, v8, vcc_lo
.LBB6_5920:                             ;   in Loop: Header=BB6_5840 Depth=4
	s_or_b32 exec_lo, exec_lo, s38
.LBB6_5921:                             ;   in Loop: Header=BB6_5840 Depth=4
	s_delay_alu instid0(SALU_CYCLE_1) | instskip(SKIP_3) | instid1(VALU_DEP_1)
	s_or_b32 exec_lo, exec_lo, s37
	v_lshrrev_b32_e32 v8, 16, v9
	s_mov_b32 s14, 0
	s_mov_b32 s38, exec_lo
                                        ; implicit-def: $sgpr37
	v_and_b32_e32 v27, 0xff, v8
	s_delay_alu instid0(VALU_DEP_1)
	v_cmpx_lt_i16_e32 0x7f, v27
	s_xor_b32 s38, exec_lo, s38
	s_cbranch_execnz .LBB6_6319
; %bb.5922:                             ;   in Loop: Header=BB6_5840 Depth=4
	s_or_saveexec_b32 s38, s38
	v_mov_b32_e32 v26, s37
	s_xor_b32 exec_lo, exec_lo, s38
	s_cbranch_execnz .LBB6_6322
.LBB6_5923:                             ;   in Loop: Header=BB6_5840 Depth=4
	s_or_b32 exec_lo, exec_lo, s38
	s_and_saveexec_b32 s37, s14
	s_cbranch_execz .LBB6_5925
.LBB6_5924:                             ;   in Loop: Header=BB6_5840 Depth=4
	v_bfe_u32 v26, v9, 16, 2
	s_delay_alu instid0(VALU_DEP_1) | instskip(NEXT) | instid1(VALU_DEP_1)
	v_clz_i32_u32_e32 v27, v26
	v_min_u32_e32 v27, 32, v27
	s_delay_alu instid0(VALU_DEP_1) | instskip(SKIP_1) | instid1(VALU_DEP_2)
	v_subrev_nc_u32_e32 v36, 29, v27
	v_sub_nc_u32_e32 v27, 30, v27
	v_lshlrev_b32_e32 v8, v36, v8
	v_bfe_u32 v36, v9, 18, 5
	s_delay_alu instid0(VALU_DEP_1) | instskip(NEXT) | instid1(VALU_DEP_3)
	v_cmp_eq_u32_e32 vcc_lo, 0, v36
	v_dual_cndmask_b32 v27, v36, v27 :: v_dual_and_b32 v8, 3, v8
	s_delay_alu instid0(VALU_DEP_1) | instskip(NEXT) | instid1(VALU_DEP_2)
	v_dual_cndmask_b32 v8, v26, v8 :: v_dual_lshlrev_b32 v37, 8, v9
	v_lshl_add_u32 v27, v27, 23, 0x37800000
	s_delay_alu instid0(VALU_DEP_2) | instskip(NEXT) | instid1(VALU_DEP_3)
	v_and_b32_e32 v26, 0x80000000, v37
	v_lshlrev_b32_e32 v8, 21, v8
	s_delay_alu instid0(VALU_DEP_1)
	v_or3_b32 v26, v26, v27, v8
.LBB6_5925:                             ;   in Loop: Header=BB6_5840 Depth=4
	s_or_b32 exec_lo, exec_lo, s37
	s_delay_alu instid0(VALU_DEP_1) | instskip(SKIP_1) | instid1(VALU_DEP_1)
	v_dual_mul_f32 v8, s36, v26 :: v_dual_mov_b32 v129, 0x80
	s_mov_b32 s37, exec_lo
	v_and_b32_e32 v26, 0x7f800000, v8
	s_delay_alu instid0(VALU_DEP_1)
	v_cmpx_ne_u32_e32 0x7f800000, v26
	s_cbranch_execz .LBB6_5933
; %bb.5926:                             ;   in Loop: Header=BB6_5840 Depth=4
	v_mov_b32_e32 v129, 0
	s_mov_b32 s38, exec_lo
	v_cmpx_ne_u32_e32 0, v8
	s_cbranch_execz .LBB6_5932
; %bb.5927:                             ;   in Loop: Header=BB6_5840 Depth=4
	v_bfe_u32 v26, v8, 23, 8
	v_and_b32_e32 v27, 0x7fffff, v8
	s_delay_alu instid0(VALU_DEP_2) | instskip(SKIP_1) | instid1(VALU_DEP_3)
	v_sub_nc_u32_e32 v36, 0x70, v26
	v_cmp_gt_u32_e32 vcc_lo, 0x71, v26
	v_or_b32_e32 v37, 0x800000, v27
	s_delay_alu instid0(VALU_DEP_3) | instskip(SKIP_1) | instid1(VALU_DEP_3)
	v_cndmask_b32_e32 v36, 0, v36, vcc_lo
	v_cmp_eq_u32_e32 vcc_lo, 0, v26
	v_dual_cndmask_b32 v27, v37, v27 :: v_dual_add_nc_u32 v26, 0xffffff91, v26
	s_delay_alu instid0(VALU_DEP_3) | instskip(NEXT) | instid1(VALU_DEP_2)
	v_cndmask_b32_e64 v36, v36, 0x6f, vcc_lo
	v_cndmask_b32_e64 v26, v26, 0xffffff92, vcc_lo
	s_delay_alu instid0(VALU_DEP_2) | instskip(SKIP_2) | instid1(VALU_DEP_4)
	v_lshrrev_b32_e32 v38, v36, v27
	v_lshl_add_u32 v37, 0x200000, v36, -1
	v_lshlrev_b32_e64 v48, v36, 0x100000
	v_add_nc_u32_e32 v36, v36, v26
	s_delay_alu instid0(VALU_DEP_4) | instskip(NEXT) | instid1(VALU_DEP_4)
	v_bfe_u32 v39, v38, 21, 1
	v_and_b32_e32 v27, v37, v27
	s_delay_alu instid0(VALU_DEP_2) | instskip(NEXT) | instid1(VALU_DEP_2)
	v_add_nc_u32_e32 v37, -1, v39
	v_cmp_eq_u32_e64 s14, v27, v48
	s_delay_alu instid0(VALU_DEP_1) | instskip(SKIP_2) | instid1(VALU_DEP_2)
	v_cndmask_b32_e64 v27, 0, v37, s14
	v_lshrrev_b32_e32 v37, 23, v38
	s_mov_b32 s14, exec_lo
	v_add_nc_u32_e32 v27, v27, v38
	s_delay_alu instid0(VALU_DEP_2) | instskip(NEXT) | instid1(VALU_DEP_2)
	v_xor_b32_e32 v37, 1, v37
	v_and_b32_e32 v26, 0x1fffff, v27
	s_delay_alu instid0(VALU_DEP_1) | instskip(NEXT) | instid1(VALU_DEP_3)
	v_add_nc_u32_e32 v27, v26, v38
                                        ; implicit-def: $vgpr26
	v_cmpx_ne_u32_e64 v36, v37
	s_xor_b32 s14, exec_lo, s14
; %bb.5928:                             ;   in Loop: Header=BB6_5840 Depth=4
	s_delay_alu instid0(VALU_DEP_2) | instskip(SKIP_2) | instid1(VALU_DEP_2)
	v_cmp_lt_u32_e32 vcc_lo, 0xffffff, v27
	v_sub_nc_u32_e32 v26, v36, v37
	v_cndmask_b32_e64 v36, 0, 1, vcc_lo
	v_add_co_ci_u32_e32 v26, vcc_lo, 0, v26, vcc_lo
	s_delay_alu instid0(VALU_DEP_2)
	v_lshrrev_b32_e32 v27, v36, v27
; %bb.5929:                             ;   in Loop: Header=BB6_5840 Depth=4
	s_and_not1_saveexec_b32 s14, s14
; %bb.5930:                             ;   in Loop: Header=BB6_5840 Depth=4
	s_delay_alu instid0(VALU_DEP_1)
	v_bfe_u32 v26, v27, 23, 1
; %bb.5931:                             ;   in Loop: Header=BB6_5840 Depth=4
	s_or_b32 exec_lo, exec_lo, s14
	v_lshrrev_b32_e32 v27, 21, v27
	s_delay_alu instid0(VALU_DEP_2) | instskip(SKIP_2) | instid1(VALU_DEP_3)
	v_min_i32_e32 v36, 31, v26
	v_cmp_gt_i32_e32 vcc_lo, 32, v26
	v_lshrrev_b32_e32 v8, 24, v8
	v_dual_cndmask_b32 v27, 3, v27 :: v_dual_lshlrev_b32 v36, 2, v36
	s_delay_alu instid0(VALU_DEP_2) | instskip(NEXT) | instid1(VALU_DEP_2)
	v_and_b32_e32 v8, 0x80, v8
	v_and_b32_e32 v36, 0xfc, v36
	s_delay_alu instid0(VALU_DEP_3) | instskip(SKIP_1) | instid1(VALU_DEP_2)
	v_and_b32_e32 v37, 3, v27
	v_or_b32_e32 v26, v26, v27
	v_or3_b32 v8, v36, v8, v37
	s_delay_alu instid0(VALU_DEP_2) | instskip(NEXT) | instid1(VALU_DEP_2)
	v_cmp_ne_u32_e32 vcc_lo, 0, v26
	v_cndmask_b32_e32 v129, 0, v8, vcc_lo
.LBB6_5932:                             ;   in Loop: Header=BB6_5840 Depth=4
	s_or_b32 exec_lo, exec_lo, s38
.LBB6_5933:                             ;   in Loop: Header=BB6_5840 Depth=4
	s_delay_alu instid0(SALU_CYCLE_1) | instskip(SKIP_3) | instid1(VALU_DEP_1)
	s_or_b32 exec_lo, exec_lo, s37
	v_lshrrev_b32_e32 v8, 24, v9
	s_mov_b32 s14, 0
	s_mov_b32 s38, exec_lo
                                        ; implicit-def: $sgpr37
	v_cmpx_lt_i16_e32 0x7f, v8
	s_xor_b32 s38, exec_lo, s38
	s_cbranch_execnz .LBB6_6323
; %bb.5934:                             ;   in Loop: Header=BB6_5840 Depth=4
	s_or_saveexec_b32 s38, s38
	v_mov_b32_e32 v26, s37
	s_xor_b32 exec_lo, exec_lo, s38
	s_cbranch_execnz .LBB6_6326
.LBB6_5935:                             ;   in Loop: Header=BB6_5840 Depth=4
	s_or_b32 exec_lo, exec_lo, s38
	s_and_saveexec_b32 s37, s14
	s_cbranch_execz .LBB6_5937
.LBB6_5936:                             ;   in Loop: Header=BB6_5840 Depth=4
	v_bfe_u32 v26, v9, 24, 2
	s_delay_alu instid0(VALU_DEP_1) | instskip(NEXT) | instid1(VALU_DEP_1)
	v_clz_i32_u32_e32 v27, v26
	v_min_u32_e32 v27, 32, v27
	s_delay_alu instid0(VALU_DEP_1) | instskip(SKIP_1) | instid1(VALU_DEP_2)
	v_subrev_nc_u32_e32 v36, 29, v27
	v_sub_nc_u32_e32 v27, 30, v27
	v_lshlrev_b32_e32 v8, v36, v8
	v_bfe_u32 v36, v9, 26, 5
	v_and_b32_e32 v9, 0x80000000, v9
	s_delay_alu instid0(VALU_DEP_2) | instskip(NEXT) | instid1(VALU_DEP_4)
	v_cmp_eq_u32_e32 vcc_lo, 0, v36
	v_dual_cndmask_b32 v27, v36, v27 :: v_dual_and_b32 v8, 3, v8
	s_delay_alu instid0(VALU_DEP_1) | instskip(NEXT) | instid1(VALU_DEP_2)
	v_cndmask_b32_e32 v8, v26, v8, vcc_lo
	v_lshl_add_u32 v26, v27, 23, 0x37800000
	s_delay_alu instid0(VALU_DEP_2) | instskip(NEXT) | instid1(VALU_DEP_1)
	v_lshlrev_b32_e32 v8, 21, v8
	v_or3_b32 v26, v9, v26, v8
.LBB6_5937:                             ;   in Loop: Header=BB6_5840 Depth=4
	s_or_b32 exec_lo, exec_lo, s37
	s_delay_alu instid0(VALU_DEP_1) | instskip(SKIP_2) | instid1(VALU_DEP_2)
	v_mul_f32_e32 v8, s36, v26
	v_mov_b32_e32 v160, 0x8000
	s_mov_b32 s37, exec_lo
	v_and_b32_e32 v9, 0x7f800000, v8
	s_delay_alu instid0(VALU_DEP_1)
	v_cmpx_ne_u32_e32 0x7f800000, v9
	s_cbranch_execz .LBB6_5945
; %bb.5938:                             ;   in Loop: Header=BB6_5840 Depth=4
	v_mov_b32_e32 v160, 0
	s_mov_b32 s38, exec_lo
	v_cmpx_ne_u32_e32 0, v8
	s_cbranch_execz .LBB6_5944
; %bb.5939:                             ;   in Loop: Header=BB6_5840 Depth=4
	v_bfe_u32 v9, v8, 23, 8
	s_delay_alu instid0(VALU_DEP_1) | instskip(SKIP_1) | instid1(VALU_DEP_2)
	v_sub_nc_u32_e32 v27, 0x70, v9
	v_cmp_gt_u32_e32 vcc_lo, 0x71, v9
	v_dual_cndmask_b32 v27, 0, v27 :: v_dual_and_b32 v26, 0x7fffff, v8
	s_delay_alu instid0(VALU_DEP_1) | instskip(SKIP_2) | instid1(VALU_DEP_4)
	v_or_b32_e32 v36, 0x800000, v26
	v_cmp_eq_u32_e32 vcc_lo, 0, v9
	v_add_nc_u32_e32 v9, 0xffffff91, v9
	v_cndmask_b32_e64 v27, v27, 0x6f, vcc_lo
	s_delay_alu instid0(VALU_DEP_4) | instskip(NEXT) | instid1(VALU_DEP_3)
	v_cndmask_b32_e32 v26, v36, v26, vcc_lo
	v_cndmask_b32_e64 v9, v9, 0xffffff92, vcc_lo
	s_delay_alu instid0(VALU_DEP_3) | instskip(NEXT) | instid1(VALU_DEP_3)
	v_lshl_add_u32 v36, 0x200000, v27, -1
	v_lshrrev_b32_e32 v37, v27, v26
	v_lshlrev_b32_e64 v39, v27, 0x100000
	s_delay_alu instid0(VALU_DEP_4) | instskip(NEXT) | instid1(VALU_DEP_4)
	v_add_nc_u32_e32 v27, v27, v9
	v_and_b32_e32 v26, v36, v26
	s_delay_alu instid0(VALU_DEP_4) | instskip(NEXT) | instid1(VALU_DEP_2)
	v_bfe_u32 v38, v37, 21, 1
	v_cmp_eq_u32_e64 s14, v26, v39
	s_delay_alu instid0(VALU_DEP_2) | instskip(NEXT) | instid1(VALU_DEP_1)
	v_add_nc_u32_e32 v36, -1, v38
	v_cndmask_b32_e64 v26, 0, v36, s14
	v_lshrrev_b32_e32 v36, 23, v37
	s_mov_b32 s14, exec_lo
	s_delay_alu instid0(VALU_DEP_2) | instskip(NEXT) | instid1(VALU_DEP_2)
	v_add_nc_u32_e32 v26, v26, v37
	v_xor_b32_e32 v36, 1, v36
	s_delay_alu instid0(VALU_DEP_2) | instskip(NEXT) | instid1(VALU_DEP_1)
	v_and_b32_e32 v9, 0x1fffff, v26
	v_add_nc_u32_e32 v26, v9, v37
                                        ; implicit-def: $vgpr9
	s_delay_alu instid0(VALU_DEP_3)
	v_cmpx_ne_u32_e64 v27, v36
	s_xor_b32 s14, exec_lo, s14
; %bb.5940:                             ;   in Loop: Header=BB6_5840 Depth=4
	s_delay_alu instid0(VALU_DEP_2) | instskip(SKIP_2) | instid1(VALU_DEP_2)
	v_cmp_lt_u32_e32 vcc_lo, 0xffffff, v26
	v_sub_nc_u32_e32 v9, v27, v36
	v_cndmask_b32_e64 v27, 0, 1, vcc_lo
	v_add_co_ci_u32_e32 v9, vcc_lo, 0, v9, vcc_lo
	s_delay_alu instid0(VALU_DEP_2)
	v_lshrrev_b32_e32 v26, v27, v26
; %bb.5941:                             ;   in Loop: Header=BB6_5840 Depth=4
	s_and_not1_saveexec_b32 s14, s14
; %bb.5942:                             ;   in Loop: Header=BB6_5840 Depth=4
	s_delay_alu instid0(VALU_DEP_1)
	v_bfe_u32 v9, v26, 23, 1
; %bb.5943:                             ;   in Loop: Header=BB6_5840 Depth=4
	s_or_b32 exec_lo, exec_lo, s14
	v_lshrrev_b32_e32 v26, 21, v26
	s_delay_alu instid0(VALU_DEP_2) | instskip(SKIP_2) | instid1(VALU_DEP_2)
	v_cmp_gt_i32_e32 vcc_lo, 32, v9
	v_min_i32_e32 v27, 31, v9
	v_lshrrev_b32_e32 v8, 24, v8
	v_dual_cndmask_b32 v26, 3, v26 :: v_dual_lshlrev_b32 v27, 2, v27
	s_delay_alu instid0(VALU_DEP_2) | instskip(NEXT) | instid1(VALU_DEP_2)
	v_and_b32_e32 v8, 0x80, v8
	v_or_b32_e32 v9, v9, v26
	v_and_b32_e32 v36, 3, v26
	s_delay_alu instid0(VALU_DEP_2) | instskip(SKIP_1) | instid1(VALU_DEP_1)
	v_cmp_ne_u32_e32 vcc_lo, 0, v9
	v_and_b32_e32 v27, 0xfc, v27
	v_or3_b32 v8, v8, v27, v36
	s_delay_alu instid0(VALU_DEP_1) | instskip(NEXT) | instid1(VALU_DEP_1)
	v_lshlrev_b32_e32 v8, 8, v8
	v_cndmask_b32_e32 v160, 0, v8, vcc_lo
.LBB6_5944:                             ;   in Loop: Header=BB6_5840 Depth=4
	s_or_b32 exec_lo, exec_lo, s38
.LBB6_5945:                             ;   in Loop: Header=BB6_5840 Depth=4
	s_delay_alu instid0(SALU_CYCLE_1) | instskip(SKIP_3) | instid1(VALU_DEP_1)
	s_or_b32 exec_lo, exec_lo, s37
	v_and_b32_e32 v9, 0xff, v10
	s_mov_b32 s14, 0
	s_mov_b32 s38, exec_lo
                                        ; implicit-def: $sgpr37
	v_cmpx_lt_i16_e32 0x7f, v9
	s_xor_b32 s38, exec_lo, s38
	s_cbranch_execnz .LBB6_6327
; %bb.5946:                             ;   in Loop: Header=BB6_5840 Depth=4
	s_or_saveexec_b32 s38, s38
	v_mov_b32_e32 v8, s37
	s_xor_b32 exec_lo, exec_lo, s38
	s_cbranch_execnz .LBB6_6330
.LBB6_5947:                             ;   in Loop: Header=BB6_5840 Depth=4
	s_or_b32 exec_lo, exec_lo, s38
	s_and_saveexec_b32 s37, s14
	s_cbranch_execz .LBB6_5949
.LBB6_5948:                             ;   in Loop: Header=BB6_5840 Depth=4
	v_bfe_u32 v27, v10, 2, 5
	v_lshlrev_b32_e32 v36, 24, v10
	s_delay_alu instid0(VALU_DEP_2) | instskip(SKIP_1) | instid1(VALU_DEP_1)
	v_cmp_eq_u32_e32 vcc_lo, 0, v27
	v_and_b32_e32 v8, 3, v10
	v_clz_i32_u32_e32 v9, v8
	s_delay_alu instid0(VALU_DEP_1) | instskip(NEXT) | instid1(VALU_DEP_1)
	v_min_u32_e32 v9, 32, v9
	v_subrev_nc_u32_e32 v26, 29, v9
	v_sub_nc_u32_e32 v9, 30, v9
	s_delay_alu instid0(VALU_DEP_1) | instskip(NEXT) | instid1(VALU_DEP_1)
	v_dual_cndmask_b32 v9, v27, v9 :: v_dual_lshlrev_b32 v26, v26, v10
	v_and_b32_e32 v26, 3, v26
	s_delay_alu instid0(VALU_DEP_2) | instskip(NEXT) | instid1(VALU_DEP_2)
	v_lshl_add_u32 v9, v9, 23, 0x37800000
	v_cndmask_b32_e32 v8, v8, v26, vcc_lo
	v_and_b32_e32 v26, 0x80000000, v36
	s_delay_alu instid0(VALU_DEP_2) | instskip(NEXT) | instid1(VALU_DEP_1)
	v_lshlrev_b32_e32 v8, 21, v8
	v_or3_b32 v8, v26, v9, v8
.LBB6_5949:                             ;   in Loop: Header=BB6_5840 Depth=4
	s_or_b32 exec_lo, exec_lo, s37
	s_delay_alu instid0(VALU_DEP_1) | instskip(SKIP_2) | instid1(VALU_DEP_2)
	v_mul_f32_e32 v8, s36, v8
	v_mov_b32_e32 v144, 0x80
	s_mov_b32 s37, exec_lo
	v_and_b32_e32 v9, 0x7f800000, v8
	s_delay_alu instid0(VALU_DEP_1)
	v_cmpx_ne_u32_e32 0x7f800000, v9
	s_cbranch_execz .LBB6_5957
; %bb.5950:                             ;   in Loop: Header=BB6_5840 Depth=4
	v_mov_b32_e32 v144, 0
	s_mov_b32 s38, exec_lo
	v_cmpx_ne_u32_e32 0, v8
	s_cbranch_execz .LBB6_5956
; %bb.5951:                             ;   in Loop: Header=BB6_5840 Depth=4
	v_bfe_u32 v9, v8, 23, 8
	s_delay_alu instid0(VALU_DEP_1) | instskip(SKIP_1) | instid1(VALU_DEP_2)
	v_sub_nc_u32_e32 v27, 0x70, v9
	v_cmp_gt_u32_e32 vcc_lo, 0x71, v9
	v_dual_cndmask_b32 v27, 0, v27 :: v_dual_and_b32 v26, 0x7fffff, v8
	s_delay_alu instid0(VALU_DEP_1) | instskip(SKIP_2) | instid1(VALU_DEP_4)
	v_or_b32_e32 v36, 0x800000, v26
	v_cmp_eq_u32_e32 vcc_lo, 0, v9
	v_add_nc_u32_e32 v9, 0xffffff91, v9
	v_cndmask_b32_e64 v27, v27, 0x6f, vcc_lo
	s_delay_alu instid0(VALU_DEP_4) | instskip(NEXT) | instid1(VALU_DEP_3)
	v_cndmask_b32_e32 v26, v36, v26, vcc_lo
	v_cndmask_b32_e64 v9, v9, 0xffffff92, vcc_lo
	s_delay_alu instid0(VALU_DEP_3) | instskip(NEXT) | instid1(VALU_DEP_3)
	v_lshl_add_u32 v36, 0x200000, v27, -1
	v_lshrrev_b32_e32 v37, v27, v26
	v_lshlrev_b32_e64 v39, v27, 0x100000
	s_delay_alu instid0(VALU_DEP_4) | instskip(NEXT) | instid1(VALU_DEP_4)
	v_add_nc_u32_e32 v27, v27, v9
	v_and_b32_e32 v26, v36, v26
	s_delay_alu instid0(VALU_DEP_4) | instskip(NEXT) | instid1(VALU_DEP_2)
	v_bfe_u32 v38, v37, 21, 1
	v_cmp_eq_u32_e64 s14, v26, v39
	s_delay_alu instid0(VALU_DEP_2) | instskip(NEXT) | instid1(VALU_DEP_1)
	v_add_nc_u32_e32 v36, -1, v38
	v_cndmask_b32_e64 v26, 0, v36, s14
	v_lshrrev_b32_e32 v36, 23, v37
	s_mov_b32 s14, exec_lo
	s_delay_alu instid0(VALU_DEP_2) | instskip(NEXT) | instid1(VALU_DEP_2)
	v_add_nc_u32_e32 v26, v26, v37
	v_xor_b32_e32 v36, 1, v36
	s_delay_alu instid0(VALU_DEP_2) | instskip(NEXT) | instid1(VALU_DEP_1)
	v_and_b32_e32 v9, 0x1fffff, v26
	v_add_nc_u32_e32 v26, v9, v37
                                        ; implicit-def: $vgpr9
	s_delay_alu instid0(VALU_DEP_3)
	v_cmpx_ne_u32_e64 v27, v36
	s_xor_b32 s14, exec_lo, s14
; %bb.5952:                             ;   in Loop: Header=BB6_5840 Depth=4
	s_delay_alu instid0(VALU_DEP_2) | instskip(SKIP_2) | instid1(VALU_DEP_2)
	v_cmp_lt_u32_e32 vcc_lo, 0xffffff, v26
	v_sub_nc_u32_e32 v9, v27, v36
	v_cndmask_b32_e64 v27, 0, 1, vcc_lo
	v_add_co_ci_u32_e32 v9, vcc_lo, 0, v9, vcc_lo
	s_delay_alu instid0(VALU_DEP_2)
	v_lshrrev_b32_e32 v26, v27, v26
; %bb.5953:                             ;   in Loop: Header=BB6_5840 Depth=4
	s_and_not1_saveexec_b32 s14, s14
; %bb.5954:                             ;   in Loop: Header=BB6_5840 Depth=4
	s_delay_alu instid0(VALU_DEP_1)
	v_bfe_u32 v9, v26, 23, 1
; %bb.5955:                             ;   in Loop: Header=BB6_5840 Depth=4
	s_or_b32 exec_lo, exec_lo, s14
	v_lshrrev_b32_e32 v26, 21, v26
	s_delay_alu instid0(VALU_DEP_2) | instskip(SKIP_2) | instid1(VALU_DEP_4)
	v_cmp_gt_i32_e32 vcc_lo, 32, v9
	v_lshrrev_b32_e32 v8, 24, v8
	v_min_i32_e32 v27, 31, v9
	v_cndmask_b32_e32 v26, 3, v26, vcc_lo
	s_delay_alu instid0(VALU_DEP_3) | instskip(NEXT) | instid1(VALU_DEP_3)
	v_and_b32_e32 v8, 0x80, v8
	v_lshlrev_b32_e32 v27, 2, v27
	s_delay_alu instid0(VALU_DEP_3) | instskip(SKIP_1) | instid1(VALU_DEP_2)
	v_and_b32_e32 v36, 3, v26
	v_or_b32_e32 v9, v9, v26
	v_or3_b32 v8, v27, v8, v36
	s_delay_alu instid0(VALU_DEP_2) | instskip(NEXT) | instid1(VALU_DEP_2)
	v_cmp_ne_u32_e32 vcc_lo, 0, v9
	v_cndmask_b32_e32 v144, 0, v8, vcc_lo
.LBB6_5956:                             ;   in Loop: Header=BB6_5840 Depth=4
	s_or_b32 exec_lo, exec_lo, s38
.LBB6_5957:                             ;   in Loop: Header=BB6_5840 Depth=4
	s_delay_alu instid0(SALU_CYCLE_1) | instskip(SKIP_3) | instid1(VALU_DEP_1)
	s_or_b32 exec_lo, exec_lo, s37
	v_lshrrev_b16 v8, 8, v10
	s_mov_b32 s14, 0
	s_mov_b32 s38, exec_lo
                                        ; implicit-def: $sgpr37
	v_cmpx_lt_i16_e32 0x7f, v8
	s_xor_b32 s38, exec_lo, s38
	s_cbranch_execnz .LBB6_6331
; %bb.5958:                             ;   in Loop: Header=BB6_5840 Depth=4
	s_or_saveexec_b32 s38, s38
	v_mov_b32_e32 v9, s37
	s_xor_b32 exec_lo, exec_lo, s38
	s_cbranch_execnz .LBB6_6334
.LBB6_5959:                             ;   in Loop: Header=BB6_5840 Depth=4
	s_or_b32 exec_lo, exec_lo, s38
	s_and_saveexec_b32 s37, s14
	s_cbranch_execz .LBB6_5961
.LBB6_5960:                             ;   in Loop: Header=BB6_5840 Depth=4
	v_and_b32_e32 v9, 0xffff, v8
	v_lshlrev_b32_e32 v8, 24, v8
	s_delay_alu instid0(VALU_DEP_2) | instskip(NEXT) | instid1(VALU_DEP_2)
	v_and_b32_e32 v26, 3, v9
	v_and_b32_e32 v8, 0x80000000, v8
	s_delay_alu instid0(VALU_DEP_2) | instskip(NEXT) | instid1(VALU_DEP_1)
	v_clz_i32_u32_e32 v27, v26
	v_min_u32_e32 v27, 32, v27
	s_delay_alu instid0(VALU_DEP_1) | instskip(SKIP_1) | instid1(VALU_DEP_2)
	v_subrev_nc_u32_e32 v36, 29, v27
	v_sub_nc_u32_e32 v27, 30, v27
	v_lshlrev_b32_e32 v36, v36, v9
	v_bfe_u32 v9, v9, 2, 5
	s_delay_alu instid0(VALU_DEP_2) | instskip(NEXT) | instid1(VALU_DEP_2)
	v_and_b32_e32 v36, 3, v36
	v_cmp_eq_u32_e32 vcc_lo, 0, v9
	s_delay_alu instid0(VALU_DEP_2) | instskip(NEXT) | instid1(VALU_DEP_1)
	v_dual_cndmask_b32 v9, v9, v27 :: v_dual_cndmask_b32 v26, v26, v36
	v_lshl_add_u32 v9, v9, 23, 0x37800000
	s_delay_alu instid0(VALU_DEP_2) | instskip(NEXT) | instid1(VALU_DEP_1)
	v_lshlrev_b32_e32 v26, 21, v26
	v_or3_b32 v9, v8, v9, v26
.LBB6_5961:                             ;   in Loop: Header=BB6_5840 Depth=4
	s_or_b32 exec_lo, exec_lo, s37
	s_delay_alu instid0(VALU_DEP_1) | instskip(SKIP_1) | instid1(VALU_DEP_1)
	v_dual_mul_f32 v8, s36, v9 :: v_dual_mov_b32 v103, 0x80
	s_mov_b32 s37, exec_lo
	v_and_b32_e32 v9, 0x7f800000, v8
	s_delay_alu instid0(VALU_DEP_1)
	v_cmpx_ne_u32_e32 0x7f800000, v9
	s_cbranch_execz .LBB6_5969
; %bb.5962:                             ;   in Loop: Header=BB6_5840 Depth=4
	v_mov_b32_e32 v103, 0
	s_mov_b32 s38, exec_lo
	v_cmpx_ne_u32_e32 0, v8
	s_cbranch_execz .LBB6_5968
; %bb.5963:                             ;   in Loop: Header=BB6_5840 Depth=4
	v_bfe_u32 v9, v8, 23, 8
	s_delay_alu instid0(VALU_DEP_1) | instskip(SKIP_1) | instid1(VALU_DEP_2)
	v_sub_nc_u32_e32 v27, 0x70, v9
	v_cmp_gt_u32_e32 vcc_lo, 0x71, v9
	v_dual_cndmask_b32 v27, 0, v27 :: v_dual_and_b32 v26, 0x7fffff, v8
	s_delay_alu instid0(VALU_DEP_1) | instskip(SKIP_2) | instid1(VALU_DEP_4)
	v_or_b32_e32 v36, 0x800000, v26
	v_cmp_eq_u32_e32 vcc_lo, 0, v9
	v_add_nc_u32_e32 v9, 0xffffff91, v9
	v_cndmask_b32_e64 v27, v27, 0x6f, vcc_lo
	s_delay_alu instid0(VALU_DEP_4) | instskip(NEXT) | instid1(VALU_DEP_3)
	v_cndmask_b32_e32 v26, v36, v26, vcc_lo
	v_cndmask_b32_e64 v9, v9, 0xffffff92, vcc_lo
	s_delay_alu instid0(VALU_DEP_3) | instskip(NEXT) | instid1(VALU_DEP_3)
	v_lshl_add_u32 v36, 0x200000, v27, -1
	v_lshrrev_b32_e32 v37, v27, v26
	v_lshlrev_b32_e64 v39, v27, 0x100000
	s_delay_alu instid0(VALU_DEP_4) | instskip(NEXT) | instid1(VALU_DEP_4)
	v_add_nc_u32_e32 v27, v27, v9
	v_and_b32_e32 v26, v36, v26
	s_delay_alu instid0(VALU_DEP_4) | instskip(NEXT) | instid1(VALU_DEP_2)
	v_bfe_u32 v38, v37, 21, 1
	v_cmp_eq_u32_e64 s14, v26, v39
	s_delay_alu instid0(VALU_DEP_2) | instskip(NEXT) | instid1(VALU_DEP_1)
	v_add_nc_u32_e32 v36, -1, v38
	v_cndmask_b32_e64 v26, 0, v36, s14
	v_lshrrev_b32_e32 v36, 23, v37
	s_mov_b32 s14, exec_lo
	s_delay_alu instid0(VALU_DEP_2) | instskip(NEXT) | instid1(VALU_DEP_2)
	v_add_nc_u32_e32 v26, v26, v37
	v_xor_b32_e32 v36, 1, v36
	s_delay_alu instid0(VALU_DEP_2) | instskip(NEXT) | instid1(VALU_DEP_1)
	v_and_b32_e32 v9, 0x1fffff, v26
	v_add_nc_u32_e32 v26, v9, v37
                                        ; implicit-def: $vgpr9
	s_delay_alu instid0(VALU_DEP_3)
	v_cmpx_ne_u32_e64 v27, v36
	s_xor_b32 s14, exec_lo, s14
; %bb.5964:                             ;   in Loop: Header=BB6_5840 Depth=4
	s_delay_alu instid0(VALU_DEP_2) | instskip(SKIP_2) | instid1(VALU_DEP_2)
	v_cmp_lt_u32_e32 vcc_lo, 0xffffff, v26
	v_sub_nc_u32_e32 v9, v27, v36
	v_cndmask_b32_e64 v27, 0, 1, vcc_lo
	v_add_co_ci_u32_e32 v9, vcc_lo, 0, v9, vcc_lo
	s_delay_alu instid0(VALU_DEP_2)
	v_lshrrev_b32_e32 v26, v27, v26
; %bb.5965:                             ;   in Loop: Header=BB6_5840 Depth=4
	s_and_not1_saveexec_b32 s14, s14
; %bb.5966:                             ;   in Loop: Header=BB6_5840 Depth=4
	s_delay_alu instid0(VALU_DEP_1)
	v_bfe_u32 v9, v26, 23, 1
; %bb.5967:                             ;   in Loop: Header=BB6_5840 Depth=4
	s_or_b32 exec_lo, exec_lo, s14
	v_lshrrev_b32_e32 v26, 21, v26
	s_delay_alu instid0(VALU_DEP_2) | instskip(SKIP_2) | instid1(VALU_DEP_2)
	v_cmp_gt_i32_e32 vcc_lo, 32, v9
	v_min_i32_e32 v27, 31, v9
	v_lshrrev_b32_e32 v8, 24, v8
	v_dual_cndmask_b32 v26, 3, v26 :: v_dual_lshlrev_b32 v27, 2, v27
	s_delay_alu instid0(VALU_DEP_2) | instskip(NEXT) | instid1(VALU_DEP_2)
	v_and_b32_e32 v8, 0x80, v8
	v_or_b32_e32 v9, v9, v26
	s_delay_alu instid0(VALU_DEP_1) | instskip(SKIP_1) | instid1(VALU_DEP_1)
	v_cmp_ne_u32_e32 vcc_lo, 0, v9
	v_and_b32_e32 v36, 3, v26
	v_or3_b32 v8, v27, v8, v36
	s_delay_alu instid0(VALU_DEP_1)
	v_cndmask_b32_e32 v103, 0, v8, vcc_lo
.LBB6_5968:                             ;   in Loop: Header=BB6_5840 Depth=4
	s_or_b32 exec_lo, exec_lo, s38
.LBB6_5969:                             ;   in Loop: Header=BB6_5840 Depth=4
	s_delay_alu instid0(SALU_CYCLE_1) | instskip(SKIP_3) | instid1(VALU_DEP_1)
	s_or_b32 exec_lo, exec_lo, s37
	v_lshrrev_b32_e32 v8, 16, v10
	s_mov_b32 s14, 0
	s_mov_b32 s38, exec_lo
                                        ; implicit-def: $sgpr37
	v_and_b32_e32 v26, 0xff, v8
	s_delay_alu instid0(VALU_DEP_1)
	v_cmpx_lt_i16_e32 0x7f, v26
	s_xor_b32 s38, exec_lo, s38
	s_cbranch_execnz .LBB6_6335
; %bb.5970:                             ;   in Loop: Header=BB6_5840 Depth=4
	s_or_saveexec_b32 s38, s38
	v_mov_b32_e32 v9, s37
	s_xor_b32 exec_lo, exec_lo, s38
	s_cbranch_execnz .LBB6_6338
.LBB6_5971:                             ;   in Loop: Header=BB6_5840 Depth=4
	s_or_b32 exec_lo, exec_lo, s38
	s_and_saveexec_b32 s37, s14
	s_cbranch_execz .LBB6_5973
.LBB6_5972:                             ;   in Loop: Header=BB6_5840 Depth=4
	v_bfe_u32 v9, v10, 16, 2
	v_lshlrev_b32_e32 v36, 8, v10
	s_delay_alu instid0(VALU_DEP_2) | instskip(NEXT) | instid1(VALU_DEP_1)
	v_clz_i32_u32_e32 v26, v9
	v_min_u32_e32 v26, 32, v26
	s_delay_alu instid0(VALU_DEP_1) | instskip(SKIP_1) | instid1(VALU_DEP_2)
	v_subrev_nc_u32_e32 v27, 29, v26
	v_sub_nc_u32_e32 v26, 30, v26
	v_lshlrev_b32_e32 v8, v27, v8
	v_bfe_u32 v27, v10, 18, 5
	s_delay_alu instid0(VALU_DEP_2) | instskip(NEXT) | instid1(VALU_DEP_2)
	v_and_b32_e32 v8, 3, v8
	v_cmp_eq_u32_e32 vcc_lo, 0, v27
	v_cndmask_b32_e32 v26, v27, v26, vcc_lo
	s_delay_alu instid0(VALU_DEP_3) | instskip(SKIP_1) | instid1(VALU_DEP_3)
	v_cndmask_b32_e32 v8, v9, v8, vcc_lo
	v_and_b32_e32 v9, 0x80000000, v36
	v_lshl_add_u32 v26, v26, 23, 0x37800000
	s_delay_alu instid0(VALU_DEP_3) | instskip(NEXT) | instid1(VALU_DEP_1)
	v_lshlrev_b32_e32 v8, 21, v8
	v_or3_b32 v9, v9, v26, v8
.LBB6_5973:                             ;   in Loop: Header=BB6_5840 Depth=4
	s_or_b32 exec_lo, exec_lo, s37
	s_delay_alu instid0(VALU_DEP_1) | instskip(SKIP_2) | instid1(VALU_DEP_2)
	v_mul_f32_e32 v8, s36, v9
	v_mov_b32_e32 v96, 0x80
	s_mov_b32 s37, exec_lo
	v_and_b32_e32 v9, 0x7f800000, v8
	s_delay_alu instid0(VALU_DEP_1)
	v_cmpx_ne_u32_e32 0x7f800000, v9
	s_cbranch_execz .LBB6_5981
; %bb.5974:                             ;   in Loop: Header=BB6_5840 Depth=4
	v_mov_b32_e32 v96, 0
	s_mov_b32 s38, exec_lo
	v_cmpx_ne_u32_e32 0, v8
	s_cbranch_execz .LBB6_5980
; %bb.5975:                             ;   in Loop: Header=BB6_5840 Depth=4
	v_bfe_u32 v9, v8, 23, 8
	s_delay_alu instid0(VALU_DEP_1) | instskip(SKIP_1) | instid1(VALU_DEP_2)
	v_sub_nc_u32_e32 v27, 0x70, v9
	v_cmp_gt_u32_e32 vcc_lo, 0x71, v9
	v_dual_cndmask_b32 v27, 0, v27 :: v_dual_and_b32 v26, 0x7fffff, v8
	s_delay_alu instid0(VALU_DEP_1) | instskip(SKIP_2) | instid1(VALU_DEP_4)
	v_or_b32_e32 v36, 0x800000, v26
	v_cmp_eq_u32_e32 vcc_lo, 0, v9
	v_add_nc_u32_e32 v9, 0xffffff91, v9
	v_cndmask_b32_e64 v27, v27, 0x6f, vcc_lo
	s_delay_alu instid0(VALU_DEP_4) | instskip(NEXT) | instid1(VALU_DEP_3)
	v_cndmask_b32_e32 v26, v36, v26, vcc_lo
	v_cndmask_b32_e64 v9, v9, 0xffffff92, vcc_lo
	s_delay_alu instid0(VALU_DEP_3) | instskip(NEXT) | instid1(VALU_DEP_3)
	v_lshl_add_u32 v36, 0x200000, v27, -1
	v_lshrrev_b32_e32 v37, v27, v26
	v_lshlrev_b32_e64 v39, v27, 0x100000
	s_delay_alu instid0(VALU_DEP_4) | instskip(NEXT) | instid1(VALU_DEP_4)
	v_add_nc_u32_e32 v27, v27, v9
	v_and_b32_e32 v26, v36, v26
	s_delay_alu instid0(VALU_DEP_4) | instskip(NEXT) | instid1(VALU_DEP_2)
	v_bfe_u32 v38, v37, 21, 1
	v_cmp_eq_u32_e64 s14, v26, v39
	s_delay_alu instid0(VALU_DEP_2) | instskip(NEXT) | instid1(VALU_DEP_1)
	v_add_nc_u32_e32 v36, -1, v38
	v_cndmask_b32_e64 v26, 0, v36, s14
	v_lshrrev_b32_e32 v36, 23, v37
	s_mov_b32 s14, exec_lo
	s_delay_alu instid0(VALU_DEP_2) | instskip(NEXT) | instid1(VALU_DEP_2)
	v_add_nc_u32_e32 v26, v26, v37
	v_xor_b32_e32 v36, 1, v36
	s_delay_alu instid0(VALU_DEP_2) | instskip(NEXT) | instid1(VALU_DEP_1)
	v_and_b32_e32 v9, 0x1fffff, v26
	v_add_nc_u32_e32 v26, v9, v37
                                        ; implicit-def: $vgpr9
	s_delay_alu instid0(VALU_DEP_3)
	v_cmpx_ne_u32_e64 v27, v36
	s_xor_b32 s14, exec_lo, s14
; %bb.5976:                             ;   in Loop: Header=BB6_5840 Depth=4
	s_delay_alu instid0(VALU_DEP_2) | instskip(SKIP_2) | instid1(VALU_DEP_2)
	v_cmp_lt_u32_e32 vcc_lo, 0xffffff, v26
	v_sub_nc_u32_e32 v9, v27, v36
	v_cndmask_b32_e64 v27, 0, 1, vcc_lo
	v_add_co_ci_u32_e32 v9, vcc_lo, 0, v9, vcc_lo
	s_delay_alu instid0(VALU_DEP_2)
	v_lshrrev_b32_e32 v26, v27, v26
; %bb.5977:                             ;   in Loop: Header=BB6_5840 Depth=4
	s_and_not1_saveexec_b32 s14, s14
; %bb.5978:                             ;   in Loop: Header=BB6_5840 Depth=4
	s_delay_alu instid0(VALU_DEP_1)
	v_bfe_u32 v9, v26, 23, 1
; %bb.5979:                             ;   in Loop: Header=BB6_5840 Depth=4
	s_or_b32 exec_lo, exec_lo, s14
	v_lshrrev_b32_e32 v26, 21, v26
	s_delay_alu instid0(VALU_DEP_2) | instskip(SKIP_2) | instid1(VALU_DEP_4)
	v_cmp_gt_i32_e32 vcc_lo, 32, v9
	v_lshrrev_b32_e32 v8, 24, v8
	v_min_i32_e32 v27, 31, v9
	v_cndmask_b32_e32 v26, 3, v26, vcc_lo
	s_delay_alu instid0(VALU_DEP_3) | instskip(NEXT) | instid1(VALU_DEP_3)
	v_and_b32_e32 v8, 0x80, v8
	v_lshlrev_b32_e32 v27, 2, v27
	s_delay_alu instid0(VALU_DEP_3) | instskip(SKIP_1) | instid1(VALU_DEP_2)
	v_and_b32_e32 v36, 3, v26
	v_or_b32_e32 v9, v9, v26
	v_or3_b32 v8, v27, v8, v36
	s_delay_alu instid0(VALU_DEP_2) | instskip(NEXT) | instid1(VALU_DEP_2)
	v_cmp_ne_u32_e32 vcc_lo, 0, v9
	v_cndmask_b32_e32 v96, 0, v8, vcc_lo
.LBB6_5980:                             ;   in Loop: Header=BB6_5840 Depth=4
	s_or_b32 exec_lo, exec_lo, s38
.LBB6_5981:                             ;   in Loop: Header=BB6_5840 Depth=4
	s_delay_alu instid0(SALU_CYCLE_1) | instskip(SKIP_3) | instid1(VALU_DEP_1)
	s_or_b32 exec_lo, exec_lo, s37
	v_lshrrev_b32_e32 v8, 24, v10
	s_mov_b32 s14, 0
	s_mov_b32 s38, exec_lo
                                        ; implicit-def: $sgpr37
	v_cmpx_lt_i16_e32 0x7f, v8
	s_xor_b32 s38, exec_lo, s38
	s_cbranch_execnz .LBB6_6339
; %bb.5982:                             ;   in Loop: Header=BB6_5840 Depth=4
	s_or_saveexec_b32 s38, s38
	v_mov_b32_e32 v9, s37
	s_xor_b32 exec_lo, exec_lo, s38
	s_cbranch_execnz .LBB6_6342
.LBB6_5983:                             ;   in Loop: Header=BB6_5840 Depth=4
	s_or_b32 exec_lo, exec_lo, s38
	s_and_saveexec_b32 s37, s14
	s_cbranch_execz .LBB6_5985
.LBB6_5984:                             ;   in Loop: Header=BB6_5840 Depth=4
	v_bfe_u32 v9, v10, 24, 2
	s_delay_alu instid0(VALU_DEP_1) | instskip(NEXT) | instid1(VALU_DEP_1)
	v_clz_i32_u32_e32 v26, v9
	v_min_u32_e32 v26, 32, v26
	s_delay_alu instid0(VALU_DEP_1) | instskip(SKIP_1) | instid1(VALU_DEP_2)
	v_subrev_nc_u32_e32 v27, 29, v26
	v_sub_nc_u32_e32 v26, 30, v26
	v_lshlrev_b32_e32 v8, v27, v8
	v_bfe_u32 v27, v10, 26, 5
	s_delay_alu instid0(VALU_DEP_2) | instskip(NEXT) | instid1(VALU_DEP_2)
	v_and_b32_e32 v8, 3, v8
	v_cmp_eq_u32_e32 vcc_lo, 0, v27
	v_cndmask_b32_e32 v26, v27, v26, vcc_lo
	s_delay_alu instid0(VALU_DEP_3) | instskip(NEXT) | instid1(VALU_DEP_2)
	v_dual_cndmask_b32 v8, v9, v8 :: v_dual_and_b32 v9, 0x80000000, v10
	v_lshl_add_u32 v10, v26, 23, 0x37800000
	s_delay_alu instid0(VALU_DEP_2) | instskip(NEXT) | instid1(VALU_DEP_1)
	v_lshlrev_b32_e32 v8, 21, v8
	v_or3_b32 v9, v9, v10, v8
.LBB6_5985:                             ;   in Loop: Header=BB6_5840 Depth=4
	s_or_b32 exec_lo, exec_lo, s37
	s_delay_alu instid0(VALU_DEP_1) | instskip(SKIP_1) | instid1(VALU_DEP_1)
	v_dual_mul_f32 v8, s36, v9 :: v_dual_mov_b32 v83, 0x80
	s_mov_b32 s37, exec_lo
	v_and_b32_e32 v9, 0x7f800000, v8
	s_delay_alu instid0(VALU_DEP_1)
	v_cmpx_ne_u32_e32 0x7f800000, v9
	s_cbranch_execz .LBB6_5993
; %bb.5986:                             ;   in Loop: Header=BB6_5840 Depth=4
	v_mov_b32_e32 v83, 0
	s_mov_b32 s38, exec_lo
	v_cmpx_ne_u32_e32 0, v8
	s_cbranch_execz .LBB6_5992
; %bb.5987:                             ;   in Loop: Header=BB6_5840 Depth=4
	v_bfe_u32 v9, v8, 23, 8
	v_and_b32_e32 v10, 0x7fffff, v8
	s_delay_alu instid0(VALU_DEP_2) | instskip(SKIP_1) | instid1(VALU_DEP_3)
	v_sub_nc_u32_e32 v26, 0x70, v9
	v_cmp_gt_u32_e32 vcc_lo, 0x71, v9
	v_or_b32_e32 v27, 0x800000, v10
	s_delay_alu instid0(VALU_DEP_3) | instskip(SKIP_2) | instid1(VALU_DEP_3)
	v_cndmask_b32_e32 v26, 0, v26, vcc_lo
	v_cmp_eq_u32_e32 vcc_lo, 0, v9
	v_add_nc_u32_e32 v9, 0xffffff91, v9
	v_cndmask_b32_e64 v26, v26, 0x6f, vcc_lo
	v_cndmask_b32_e32 v10, v27, v10, vcc_lo
	s_delay_alu instid0(VALU_DEP_3) | instskip(NEXT) | instid1(VALU_DEP_3)
	v_cndmask_b32_e64 v9, v9, 0xffffff92, vcc_lo
	v_lshl_add_u32 v27, 0x200000, v26, -1
	s_delay_alu instid0(VALU_DEP_3) | instskip(SKIP_1) | instid1(VALU_DEP_4)
	v_lshrrev_b32_e32 v36, v26, v10
	v_lshlrev_b32_e64 v38, v26, 0x100000
	v_add_nc_u32_e32 v26, v26, v9
	s_delay_alu instid0(VALU_DEP_4) | instskip(NEXT) | instid1(VALU_DEP_4)
	v_and_b32_e32 v10, v27, v10
	v_bfe_u32 v37, v36, 21, 1
	s_delay_alu instid0(VALU_DEP_2) | instskip(NEXT) | instid1(VALU_DEP_2)
	v_cmp_eq_u32_e64 s14, v10, v38
	v_add_nc_u32_e32 v27, -1, v37
	s_delay_alu instid0(VALU_DEP_1) | instskip(SKIP_2) | instid1(VALU_DEP_2)
	v_cndmask_b32_e64 v10, 0, v27, s14
	v_lshrrev_b32_e32 v27, 23, v36
	s_mov_b32 s14, exec_lo
	v_add_nc_u32_e32 v10, v10, v36
	s_delay_alu instid0(VALU_DEP_2) | instskip(NEXT) | instid1(VALU_DEP_2)
	v_xor_b32_e32 v27, 1, v27
	v_and_b32_e32 v9, 0x1fffff, v10
	s_delay_alu instid0(VALU_DEP_1) | instskip(NEXT) | instid1(VALU_DEP_3)
	v_add_nc_u32_e32 v10, v9, v36
                                        ; implicit-def: $vgpr9
	v_cmpx_ne_u32_e64 v26, v27
	s_xor_b32 s14, exec_lo, s14
; %bb.5988:                             ;   in Loop: Header=BB6_5840 Depth=4
	s_delay_alu instid0(VALU_DEP_2) | instskip(SKIP_2) | instid1(VALU_DEP_2)
	v_cmp_lt_u32_e32 vcc_lo, 0xffffff, v10
	v_sub_nc_u32_e32 v9, v26, v27
	v_cndmask_b32_e64 v26, 0, 1, vcc_lo
	v_add_co_ci_u32_e32 v9, vcc_lo, 0, v9, vcc_lo
	s_delay_alu instid0(VALU_DEP_2)
	v_lshrrev_b32_e32 v10, v26, v10
; %bb.5989:                             ;   in Loop: Header=BB6_5840 Depth=4
	s_and_not1_saveexec_b32 s14, s14
; %bb.5990:                             ;   in Loop: Header=BB6_5840 Depth=4
	s_delay_alu instid0(VALU_DEP_1)
	v_bfe_u32 v9, v10, 23, 1
; %bb.5991:                             ;   in Loop: Header=BB6_5840 Depth=4
	s_or_b32 exec_lo, exec_lo, s14
	v_lshrrev_b32_e32 v10, 21, v10
	s_delay_alu instid0(VALU_DEP_2) | instskip(SKIP_2) | instid1(VALU_DEP_4)
	v_cmp_gt_i32_e32 vcc_lo, 32, v9
	v_lshrrev_b32_e32 v8, 24, v8
	v_min_i32_e32 v26, 31, v9
	v_cndmask_b32_e32 v10, 3, v10, vcc_lo
	s_delay_alu instid0(VALU_DEP_3) | instskip(NEXT) | instid1(VALU_DEP_3)
	v_and_b32_e32 v8, 0x80, v8
	v_lshlrev_b32_e32 v26, 2, v26
	s_delay_alu instid0(VALU_DEP_3) | instskip(SKIP_1) | instid1(VALU_DEP_2)
	v_and_b32_e32 v27, 3, v10
	v_or_b32_e32 v9, v9, v10
	v_or3_b32 v8, v26, v8, v27
	s_delay_alu instid0(VALU_DEP_2) | instskip(NEXT) | instid1(VALU_DEP_2)
	v_cmp_ne_u32_e32 vcc_lo, 0, v9
	v_cndmask_b32_e32 v83, 0, v8, vcc_lo
.LBB6_5992:                             ;   in Loop: Header=BB6_5840 Depth=4
	s_or_b32 exec_lo, exec_lo, s38
.LBB6_5993:                             ;   in Loop: Header=BB6_5840 Depth=4
	s_delay_alu instid0(SALU_CYCLE_1) | instskip(SKIP_3) | instid1(VALU_DEP_1)
	s_or_b32 exec_lo, exec_lo, s37
	v_and_b32_e32 v9, 0xff, v11
	s_mov_b32 s14, 0
	s_mov_b32 s38, exec_lo
                                        ; implicit-def: $sgpr37
	v_cmpx_lt_i16_e32 0x7f, v9
	s_xor_b32 s38, exec_lo, s38
	s_cbranch_execnz .LBB6_6343
; %bb.5994:                             ;   in Loop: Header=BB6_5840 Depth=4
	s_or_saveexec_b32 s38, s38
	v_mov_b32_e32 v8, s37
	s_xor_b32 exec_lo, exec_lo, s38
	s_cbranch_execnz .LBB6_6346
.LBB6_5995:                             ;   in Loop: Header=BB6_5840 Depth=4
	s_or_b32 exec_lo, exec_lo, s38
	s_and_saveexec_b32 s37, s14
	s_cbranch_execz .LBB6_5997
.LBB6_5996:                             ;   in Loop: Header=BB6_5840 Depth=4
	v_bfe_u32 v26, v11, 2, 5
	s_delay_alu instid0(VALU_DEP_1) | instskip(SKIP_1) | instid1(VALU_DEP_1)
	v_cmp_eq_u32_e32 vcc_lo, 0, v26
	v_and_b32_e32 v8, 3, v11
	v_clz_i32_u32_e32 v9, v8
	s_delay_alu instid0(VALU_DEP_1) | instskip(NEXT) | instid1(VALU_DEP_1)
	v_min_u32_e32 v9, 32, v9
	v_subrev_nc_u32_e32 v10, 29, v9
	v_sub_nc_u32_e32 v9, 30, v9
	s_delay_alu instid0(VALU_DEP_2) | instskip(NEXT) | instid1(VALU_DEP_1)
	v_lshlrev_b32_e32 v10, v10, v11
	v_dual_cndmask_b32 v9, v26, v9 :: v_dual_and_b32 v10, 3, v10
	v_lshlrev_b32_e32 v27, 24, v11
	s_delay_alu instid0(VALU_DEP_2) | instskip(NEXT) | instid1(VALU_DEP_3)
	v_lshl_add_u32 v9, v9, 23, 0x37800000
	v_cndmask_b32_e32 v8, v8, v10, vcc_lo
	s_delay_alu instid0(VALU_DEP_3) | instskip(NEXT) | instid1(VALU_DEP_2)
	v_and_b32_e32 v10, 0x80000000, v27
	v_lshlrev_b32_e32 v8, 21, v8
	s_delay_alu instid0(VALU_DEP_1)
	v_or3_b32 v8, v10, v9, v8
.LBB6_5997:                             ;   in Loop: Header=BB6_5840 Depth=4
	s_or_b32 exec_lo, exec_lo, s37
	s_delay_alu instid0(VALU_DEP_1) | instskip(SKIP_2) | instid1(VALU_DEP_2)
	v_mul_f32_e32 v8, s36, v8
	v_mov_b32_e32 v82, 0x80
	s_mov_b32 s37, exec_lo
	v_and_b32_e32 v9, 0x7f800000, v8
	s_delay_alu instid0(VALU_DEP_1)
	v_cmpx_ne_u32_e32 0x7f800000, v9
	s_cbranch_execz .LBB6_6005
; %bb.5998:                             ;   in Loop: Header=BB6_5840 Depth=4
	v_mov_b32_e32 v82, 0
	s_mov_b32 s38, exec_lo
	v_cmpx_ne_u32_e32 0, v8
	s_cbranch_execz .LBB6_6004
; %bb.5999:                             ;   in Loop: Header=BB6_5840 Depth=4
	v_bfe_u32 v9, v8, 23, 8
	v_and_b32_e32 v10, 0x7fffff, v8
	s_delay_alu instid0(VALU_DEP_2) | instskip(SKIP_1) | instid1(VALU_DEP_3)
	v_sub_nc_u32_e32 v26, 0x70, v9
	v_cmp_gt_u32_e32 vcc_lo, 0x71, v9
	v_or_b32_e32 v27, 0x800000, v10
	s_delay_alu instid0(VALU_DEP_3) | instskip(SKIP_2) | instid1(VALU_DEP_3)
	v_cndmask_b32_e32 v26, 0, v26, vcc_lo
	v_cmp_eq_u32_e32 vcc_lo, 0, v9
	v_add_nc_u32_e32 v9, 0xffffff91, v9
	v_cndmask_b32_e64 v26, v26, 0x6f, vcc_lo
	v_cndmask_b32_e32 v10, v27, v10, vcc_lo
	s_delay_alu instid0(VALU_DEP_3) | instskip(NEXT) | instid1(VALU_DEP_3)
	v_cndmask_b32_e64 v9, v9, 0xffffff92, vcc_lo
	v_lshl_add_u32 v27, 0x200000, v26, -1
	s_delay_alu instid0(VALU_DEP_3) | instskip(SKIP_1) | instid1(VALU_DEP_4)
	v_lshrrev_b32_e32 v36, v26, v10
	v_lshlrev_b32_e64 v38, v26, 0x100000
	v_add_nc_u32_e32 v26, v26, v9
	s_delay_alu instid0(VALU_DEP_4) | instskip(NEXT) | instid1(VALU_DEP_4)
	v_and_b32_e32 v10, v27, v10
	v_bfe_u32 v37, v36, 21, 1
	s_delay_alu instid0(VALU_DEP_2) | instskip(NEXT) | instid1(VALU_DEP_2)
	v_cmp_eq_u32_e64 s14, v10, v38
	v_add_nc_u32_e32 v27, -1, v37
	s_delay_alu instid0(VALU_DEP_1) | instskip(SKIP_2) | instid1(VALU_DEP_2)
	v_cndmask_b32_e64 v10, 0, v27, s14
	v_lshrrev_b32_e32 v27, 23, v36
	s_mov_b32 s14, exec_lo
	v_add_nc_u32_e32 v10, v10, v36
	s_delay_alu instid0(VALU_DEP_2) | instskip(NEXT) | instid1(VALU_DEP_2)
	v_xor_b32_e32 v27, 1, v27
	v_and_b32_e32 v9, 0x1fffff, v10
	s_delay_alu instid0(VALU_DEP_1) | instskip(NEXT) | instid1(VALU_DEP_3)
	v_add_nc_u32_e32 v10, v9, v36
                                        ; implicit-def: $vgpr9
	v_cmpx_ne_u32_e64 v26, v27
	s_xor_b32 s14, exec_lo, s14
; %bb.6000:                             ;   in Loop: Header=BB6_5840 Depth=4
	s_delay_alu instid0(VALU_DEP_2) | instskip(SKIP_2) | instid1(VALU_DEP_2)
	v_cmp_lt_u32_e32 vcc_lo, 0xffffff, v10
	v_sub_nc_u32_e32 v9, v26, v27
	v_cndmask_b32_e64 v26, 0, 1, vcc_lo
	v_add_co_ci_u32_e32 v9, vcc_lo, 0, v9, vcc_lo
	s_delay_alu instid0(VALU_DEP_2)
	v_lshrrev_b32_e32 v10, v26, v10
; %bb.6001:                             ;   in Loop: Header=BB6_5840 Depth=4
	s_and_not1_saveexec_b32 s14, s14
; %bb.6002:                             ;   in Loop: Header=BB6_5840 Depth=4
	s_delay_alu instid0(VALU_DEP_1)
	v_bfe_u32 v9, v10, 23, 1
; %bb.6003:                             ;   in Loop: Header=BB6_5840 Depth=4
	s_or_b32 exec_lo, exec_lo, s14
	v_lshrrev_b32_e32 v10, 21, v10
	s_delay_alu instid0(VALU_DEP_2) | instskip(SKIP_2) | instid1(VALU_DEP_4)
	v_cmp_gt_i32_e32 vcc_lo, 32, v9
	v_min_i32_e32 v26, 31, v9
	v_lshrrev_b32_e32 v8, 24, v8
	v_cndmask_b32_e32 v10, 3, v10, vcc_lo
	s_delay_alu instid0(VALU_DEP_3) | instskip(NEXT) | instid1(VALU_DEP_3)
	v_lshlrev_b32_e32 v26, 2, v26
	v_and_b32_e32 v8, 0x80, v8
	s_delay_alu instid0(VALU_DEP_3) | instskip(NEXT) | instid1(VALU_DEP_3)
	v_or_b32_e32 v9, v9, v10
	v_and_b32_e32 v26, 0xfc, v26
	s_delay_alu instid0(VALU_DEP_2) | instskip(SKIP_1) | instid1(VALU_DEP_1)
	v_cmp_ne_u32_e32 vcc_lo, 0, v9
	v_and_b32_e32 v27, 3, v10
	v_or3_b32 v8, v26, v8, v27
	s_delay_alu instid0(VALU_DEP_1)
	v_cndmask_b32_e32 v82, 0, v8, vcc_lo
.LBB6_6004:                             ;   in Loop: Header=BB6_5840 Depth=4
	s_or_b32 exec_lo, exec_lo, s38
.LBB6_6005:                             ;   in Loop: Header=BB6_5840 Depth=4
	s_delay_alu instid0(SALU_CYCLE_1) | instskip(SKIP_3) | instid1(VALU_DEP_1)
	s_or_b32 exec_lo, exec_lo, s37
	v_lshrrev_b16 v8, 8, v11
	s_mov_b32 s14, 0
	s_mov_b32 s38, exec_lo
                                        ; implicit-def: $sgpr37
	v_cmpx_lt_i16_e32 0x7f, v8
	s_xor_b32 s38, exec_lo, s38
	s_cbranch_execnz .LBB6_6347
; %bb.6006:                             ;   in Loop: Header=BB6_5840 Depth=4
	s_or_saveexec_b32 s38, s38
	v_mov_b32_e32 v9, s37
	s_xor_b32 exec_lo, exec_lo, s38
	s_cbranch_execnz .LBB6_6350
.LBB6_6007:                             ;   in Loop: Header=BB6_5840 Depth=4
	s_or_b32 exec_lo, exec_lo, s38
	s_and_saveexec_b32 s37, s14
	s_cbranch_execz .LBB6_6009
.LBB6_6008:                             ;   in Loop: Header=BB6_5840 Depth=4
	v_and_b32_e32 v9, 0xffff, v8
	v_lshlrev_b32_e32 v8, 24, v8
	s_delay_alu instid0(VALU_DEP_2) | instskip(NEXT) | instid1(VALU_DEP_2)
	v_and_b32_e32 v10, 3, v9
	v_and_b32_e32 v8, 0x80000000, v8
	s_delay_alu instid0(VALU_DEP_2) | instskip(NEXT) | instid1(VALU_DEP_1)
	v_clz_i32_u32_e32 v26, v10
	v_min_u32_e32 v26, 32, v26
	s_delay_alu instid0(VALU_DEP_1) | instskip(SKIP_1) | instid1(VALU_DEP_2)
	v_subrev_nc_u32_e32 v27, 29, v26
	v_sub_nc_u32_e32 v26, 30, v26
	v_lshlrev_b32_e32 v27, v27, v9
	v_bfe_u32 v9, v9, 2, 5
	s_delay_alu instid0(VALU_DEP_2) | instskip(NEXT) | instid1(VALU_DEP_2)
	v_and_b32_e32 v27, 3, v27
	v_cmp_eq_u32_e32 vcc_lo, 0, v9
	s_delay_alu instid0(VALU_DEP_2) | instskip(NEXT) | instid1(VALU_DEP_1)
	v_dual_cndmask_b32 v9, v9, v26 :: v_dual_cndmask_b32 v10, v10, v27
	v_lshl_add_u32 v9, v9, 23, 0x37800000
	s_delay_alu instid0(VALU_DEP_2) | instskip(NEXT) | instid1(VALU_DEP_1)
	v_lshlrev_b32_e32 v10, 21, v10
	v_or3_b32 v9, v8, v9, v10
.LBB6_6009:                             ;   in Loop: Header=BB6_5840 Depth=4
	s_or_b32 exec_lo, exec_lo, s37
	s_delay_alu instid0(VALU_DEP_1) | instskip(SKIP_1) | instid1(VALU_DEP_1)
	v_dual_mul_f32 v8, s36, v9 :: v_dual_mov_b32 v133, 0x8000
	s_mov_b32 s37, exec_lo
	v_and_b32_e32 v9, 0x7f800000, v8
	s_delay_alu instid0(VALU_DEP_1)
	v_cmpx_ne_u32_e32 0x7f800000, v9
	s_cbranch_execz .LBB6_6017
; %bb.6010:                             ;   in Loop: Header=BB6_5840 Depth=4
	v_mov_b32_e32 v133, 0
	s_mov_b32 s38, exec_lo
	v_cmpx_ne_u32_e32 0, v8
	s_cbranch_execz .LBB6_6016
; %bb.6011:                             ;   in Loop: Header=BB6_5840 Depth=4
	v_bfe_u32 v9, v8, 23, 8
	v_and_b32_e32 v10, 0x7fffff, v8
	s_delay_alu instid0(VALU_DEP_2) | instskip(SKIP_1) | instid1(VALU_DEP_3)
	v_sub_nc_u32_e32 v26, 0x70, v9
	v_cmp_gt_u32_e32 vcc_lo, 0x71, v9
	v_or_b32_e32 v27, 0x800000, v10
	s_delay_alu instid0(VALU_DEP_3) | instskip(SKIP_2) | instid1(VALU_DEP_3)
	v_cndmask_b32_e32 v26, 0, v26, vcc_lo
	v_cmp_eq_u32_e32 vcc_lo, 0, v9
	v_add_nc_u32_e32 v9, 0xffffff91, v9
	v_cndmask_b32_e64 v26, v26, 0x6f, vcc_lo
	v_cndmask_b32_e32 v10, v27, v10, vcc_lo
	s_delay_alu instid0(VALU_DEP_3) | instskip(NEXT) | instid1(VALU_DEP_3)
	v_cndmask_b32_e64 v9, v9, 0xffffff92, vcc_lo
	v_lshl_add_u32 v27, 0x200000, v26, -1
	s_delay_alu instid0(VALU_DEP_3) | instskip(SKIP_1) | instid1(VALU_DEP_4)
	v_lshrrev_b32_e32 v36, v26, v10
	v_lshlrev_b32_e64 v38, v26, 0x100000
	v_add_nc_u32_e32 v26, v26, v9
	s_delay_alu instid0(VALU_DEP_4) | instskip(NEXT) | instid1(VALU_DEP_4)
	v_and_b32_e32 v10, v27, v10
	v_bfe_u32 v37, v36, 21, 1
	s_delay_alu instid0(VALU_DEP_2) | instskip(NEXT) | instid1(VALU_DEP_2)
	v_cmp_eq_u32_e64 s14, v10, v38
	v_add_nc_u32_e32 v27, -1, v37
	s_delay_alu instid0(VALU_DEP_1) | instskip(SKIP_2) | instid1(VALU_DEP_2)
	v_cndmask_b32_e64 v10, 0, v27, s14
	v_lshrrev_b32_e32 v27, 23, v36
	s_mov_b32 s14, exec_lo
	v_add_nc_u32_e32 v10, v10, v36
	s_delay_alu instid0(VALU_DEP_2) | instskip(NEXT) | instid1(VALU_DEP_2)
	v_xor_b32_e32 v27, 1, v27
	v_and_b32_e32 v9, 0x1fffff, v10
	s_delay_alu instid0(VALU_DEP_1) | instskip(NEXT) | instid1(VALU_DEP_3)
	v_add_nc_u32_e32 v10, v9, v36
                                        ; implicit-def: $vgpr9
	v_cmpx_ne_u32_e64 v26, v27
	s_xor_b32 s14, exec_lo, s14
; %bb.6012:                             ;   in Loop: Header=BB6_5840 Depth=4
	s_delay_alu instid0(VALU_DEP_2) | instskip(SKIP_2) | instid1(VALU_DEP_2)
	v_cmp_lt_u32_e32 vcc_lo, 0xffffff, v10
	v_sub_nc_u32_e32 v9, v26, v27
	v_cndmask_b32_e64 v26, 0, 1, vcc_lo
	v_add_co_ci_u32_e32 v9, vcc_lo, 0, v9, vcc_lo
	s_delay_alu instid0(VALU_DEP_2)
	v_lshrrev_b32_e32 v10, v26, v10
; %bb.6013:                             ;   in Loop: Header=BB6_5840 Depth=4
	s_and_not1_saveexec_b32 s14, s14
; %bb.6014:                             ;   in Loop: Header=BB6_5840 Depth=4
	s_delay_alu instid0(VALU_DEP_1)
	v_bfe_u32 v9, v10, 23, 1
; %bb.6015:                             ;   in Loop: Header=BB6_5840 Depth=4
	s_or_b32 exec_lo, exec_lo, s14
	v_lshrrev_b32_e32 v10, 21, v10
	s_delay_alu instid0(VALU_DEP_2) | instskip(SKIP_2) | instid1(VALU_DEP_3)
	v_min_i32_e32 v26, 31, v9
	v_cmp_gt_i32_e32 vcc_lo, 32, v9
	v_lshrrev_b32_e32 v8, 24, v8
	v_lshlrev_b32_e32 v26, 2, v26
	v_cndmask_b32_e32 v10, 3, v10, vcc_lo
	s_delay_alu instid0(VALU_DEP_3) | instskip(NEXT) | instid1(VALU_DEP_3)
	v_and_b32_e32 v8, 0x80, v8
	v_and_b32_e32 v26, 0xfc, v26
	s_delay_alu instid0(VALU_DEP_3) | instskip(SKIP_1) | instid1(VALU_DEP_2)
	v_and_b32_e32 v27, 3, v10
	v_or_b32_e32 v9, v9, v10
	v_or3_b32 v8, v8, v26, v27
	s_delay_alu instid0(VALU_DEP_2) | instskip(NEXT) | instid1(VALU_DEP_2)
	v_cmp_ne_u32_e32 vcc_lo, 0, v9
	v_lshlrev_b32_e32 v8, 8, v8
	s_delay_alu instid0(VALU_DEP_1)
	v_cndmask_b32_e32 v133, 0, v8, vcc_lo
.LBB6_6016:                             ;   in Loop: Header=BB6_5840 Depth=4
	s_or_b32 exec_lo, exec_lo, s38
.LBB6_6017:                             ;   in Loop: Header=BB6_5840 Depth=4
	s_delay_alu instid0(SALU_CYCLE_1) | instskip(SKIP_3) | instid1(VALU_DEP_1)
	s_or_b32 exec_lo, exec_lo, s37
	v_lshrrev_b32_e32 v8, 16, v11
	s_mov_b32 s14, 0
	s_mov_b32 s38, exec_lo
                                        ; implicit-def: $sgpr37
	v_and_b32_e32 v10, 0xff, v8
	s_delay_alu instid0(VALU_DEP_1)
	v_cmpx_lt_i16_e32 0x7f, v10
	s_xor_b32 s38, exec_lo, s38
	s_cbranch_execnz .LBB6_6351
; %bb.6018:                             ;   in Loop: Header=BB6_5840 Depth=4
	s_or_saveexec_b32 s38, s38
	v_mov_b32_e32 v9, s37
	s_xor_b32 exec_lo, exec_lo, s38
	s_cbranch_execnz .LBB6_6354
.LBB6_6019:                             ;   in Loop: Header=BB6_5840 Depth=4
	s_or_b32 exec_lo, exec_lo, s38
	s_and_saveexec_b32 s37, s14
	s_cbranch_execz .LBB6_6021
.LBB6_6020:                             ;   in Loop: Header=BB6_5840 Depth=4
	v_bfe_u32 v9, v11, 16, 2
	s_delay_alu instid0(VALU_DEP_1) | instskip(NEXT) | instid1(VALU_DEP_1)
	v_clz_i32_u32_e32 v10, v9
	v_min_u32_e32 v10, 32, v10
	s_delay_alu instid0(VALU_DEP_1) | instskip(SKIP_1) | instid1(VALU_DEP_2)
	v_subrev_nc_u32_e32 v26, 29, v10
	v_sub_nc_u32_e32 v10, 30, v10
	v_lshlrev_b32_e32 v8, v26, v8
	v_bfe_u32 v26, v11, 18, 5
	s_delay_alu instid0(VALU_DEP_2) | instskip(NEXT) | instid1(VALU_DEP_2)
	v_and_b32_e32 v8, 3, v8
	v_cmp_eq_u32_e32 vcc_lo, 0, v26
	v_dual_cndmask_b32 v10, v26, v10 :: v_dual_lshlrev_b32 v27, 8, v11
	s_delay_alu instid0(VALU_DEP_1) | instskip(NEXT) | instid1(VALU_DEP_2)
	v_dual_cndmask_b32 v8, v9, v8 :: v_dual_and_b32 v9, 0x80000000, v27
	v_lshl_add_u32 v10, v10, 23, 0x37800000
	s_delay_alu instid0(VALU_DEP_2) | instskip(NEXT) | instid1(VALU_DEP_1)
	v_lshlrev_b32_e32 v8, 21, v8
	v_or3_b32 v9, v9, v10, v8
.LBB6_6021:                             ;   in Loop: Header=BB6_5840 Depth=4
	s_or_b32 exec_lo, exec_lo, s37
	s_delay_alu instid0(VALU_DEP_1) | instskip(SKIP_1) | instid1(VALU_DEP_1)
	v_dual_mul_f32 v8, s36, v9 :: v_dual_mov_b32 v81, 0x80
	s_mov_b32 s37, exec_lo
	v_and_b32_e32 v9, 0x7f800000, v8
	s_delay_alu instid0(VALU_DEP_1)
	v_cmpx_ne_u32_e32 0x7f800000, v9
	s_cbranch_execz .LBB6_6029
; %bb.6022:                             ;   in Loop: Header=BB6_5840 Depth=4
	v_mov_b32_e32 v81, 0
	s_mov_b32 s38, exec_lo
	v_cmpx_ne_u32_e32 0, v8
	s_cbranch_execz .LBB6_6028
; %bb.6023:                             ;   in Loop: Header=BB6_5840 Depth=4
	v_bfe_u32 v9, v8, 23, 8
	v_and_b32_e32 v10, 0x7fffff, v8
	s_delay_alu instid0(VALU_DEP_2) | instskip(SKIP_1) | instid1(VALU_DEP_3)
	v_sub_nc_u32_e32 v26, 0x70, v9
	v_cmp_gt_u32_e32 vcc_lo, 0x71, v9
	v_or_b32_e32 v27, 0x800000, v10
	s_delay_alu instid0(VALU_DEP_3) | instskip(SKIP_2) | instid1(VALU_DEP_3)
	v_cndmask_b32_e32 v26, 0, v26, vcc_lo
	v_cmp_eq_u32_e32 vcc_lo, 0, v9
	v_add_nc_u32_e32 v9, 0xffffff91, v9
	v_cndmask_b32_e64 v26, v26, 0x6f, vcc_lo
	v_cndmask_b32_e32 v10, v27, v10, vcc_lo
	s_delay_alu instid0(VALU_DEP_3) | instskip(NEXT) | instid1(VALU_DEP_3)
	v_cndmask_b32_e64 v9, v9, 0xffffff92, vcc_lo
	v_lshl_add_u32 v27, 0x200000, v26, -1
	s_delay_alu instid0(VALU_DEP_3) | instskip(SKIP_1) | instid1(VALU_DEP_4)
	v_lshrrev_b32_e32 v36, v26, v10
	v_lshlrev_b32_e64 v38, v26, 0x100000
	v_add_nc_u32_e32 v26, v26, v9
	s_delay_alu instid0(VALU_DEP_4) | instskip(NEXT) | instid1(VALU_DEP_4)
	v_and_b32_e32 v10, v27, v10
	v_bfe_u32 v37, v36, 21, 1
	s_delay_alu instid0(VALU_DEP_2) | instskip(NEXT) | instid1(VALU_DEP_2)
	v_cmp_eq_u32_e64 s14, v10, v38
	v_add_nc_u32_e32 v27, -1, v37
	s_delay_alu instid0(VALU_DEP_1) | instskip(SKIP_2) | instid1(VALU_DEP_2)
	v_cndmask_b32_e64 v10, 0, v27, s14
	v_lshrrev_b32_e32 v27, 23, v36
	s_mov_b32 s14, exec_lo
	v_add_nc_u32_e32 v10, v10, v36
	s_delay_alu instid0(VALU_DEP_2) | instskip(NEXT) | instid1(VALU_DEP_2)
	v_xor_b32_e32 v27, 1, v27
	v_and_b32_e32 v9, 0x1fffff, v10
	s_delay_alu instid0(VALU_DEP_1) | instskip(NEXT) | instid1(VALU_DEP_3)
	v_add_nc_u32_e32 v10, v9, v36
                                        ; implicit-def: $vgpr9
	v_cmpx_ne_u32_e64 v26, v27
	s_xor_b32 s14, exec_lo, s14
; %bb.6024:                             ;   in Loop: Header=BB6_5840 Depth=4
	s_delay_alu instid0(VALU_DEP_2) | instskip(SKIP_2) | instid1(VALU_DEP_2)
	v_cmp_lt_u32_e32 vcc_lo, 0xffffff, v10
	v_sub_nc_u32_e32 v9, v26, v27
	v_cndmask_b32_e64 v26, 0, 1, vcc_lo
	v_add_co_ci_u32_e32 v9, vcc_lo, 0, v9, vcc_lo
	s_delay_alu instid0(VALU_DEP_2)
	v_lshrrev_b32_e32 v10, v26, v10
; %bb.6025:                             ;   in Loop: Header=BB6_5840 Depth=4
	s_and_not1_saveexec_b32 s14, s14
; %bb.6026:                             ;   in Loop: Header=BB6_5840 Depth=4
	s_delay_alu instid0(VALU_DEP_1)
	v_bfe_u32 v9, v10, 23, 1
; %bb.6027:                             ;   in Loop: Header=BB6_5840 Depth=4
	s_or_b32 exec_lo, exec_lo, s14
	v_lshrrev_b32_e32 v10, 21, v10
	s_delay_alu instid0(VALU_DEP_2) | instskip(SKIP_2) | instid1(VALU_DEP_3)
	v_min_i32_e32 v26, 31, v9
	v_cmp_gt_i32_e32 vcc_lo, 32, v9
	v_lshrrev_b32_e32 v8, 24, v8
	v_lshlrev_b32_e32 v26, 2, v26
	v_cndmask_b32_e32 v10, 3, v10, vcc_lo
	s_delay_alu instid0(VALU_DEP_3) | instskip(NEXT) | instid1(VALU_DEP_3)
	v_and_b32_e32 v8, 0x80, v8
	v_and_b32_e32 v26, 0xfc, v26
	s_delay_alu instid0(VALU_DEP_3) | instskip(SKIP_1) | instid1(VALU_DEP_2)
	v_and_b32_e32 v27, 3, v10
	v_or_b32_e32 v9, v9, v10
	v_or3_b32 v8, v26, v8, v27
	s_delay_alu instid0(VALU_DEP_2) | instskip(NEXT) | instid1(VALU_DEP_2)
	v_cmp_ne_u32_e32 vcc_lo, 0, v9
	v_cndmask_b32_e32 v81, 0, v8, vcc_lo
.LBB6_6028:                             ;   in Loop: Header=BB6_5840 Depth=4
	s_or_b32 exec_lo, exec_lo, s38
.LBB6_6029:                             ;   in Loop: Header=BB6_5840 Depth=4
	s_delay_alu instid0(SALU_CYCLE_1) | instskip(SKIP_3) | instid1(VALU_DEP_1)
	s_or_b32 exec_lo, exec_lo, s37
	v_lshrrev_b32_e32 v8, 24, v11
	s_mov_b32 s14, 0
	s_mov_b32 s38, exec_lo
                                        ; implicit-def: $sgpr37
	v_cmpx_lt_i16_e32 0x7f, v8
	s_xor_b32 s38, exec_lo, s38
	s_cbranch_execnz .LBB6_6355
; %bb.6030:                             ;   in Loop: Header=BB6_5840 Depth=4
	s_or_saveexec_b32 s38, s38
	v_mov_b32_e32 v9, s37
	s_xor_b32 exec_lo, exec_lo, s38
	s_cbranch_execnz .LBB6_6358
.LBB6_6031:                             ;   in Loop: Header=BB6_5840 Depth=4
	s_or_b32 exec_lo, exec_lo, s38
	s_and_saveexec_b32 s37, s14
	s_cbranch_execz .LBB6_6033
.LBB6_6032:                             ;   in Loop: Header=BB6_5840 Depth=4
	v_bfe_u32 v9, v11, 24, 2
	s_delay_alu instid0(VALU_DEP_1) | instskip(NEXT) | instid1(VALU_DEP_1)
	v_clz_i32_u32_e32 v10, v9
	v_min_u32_e32 v10, 32, v10
	s_delay_alu instid0(VALU_DEP_1) | instskip(SKIP_1) | instid1(VALU_DEP_2)
	v_subrev_nc_u32_e32 v26, 29, v10
	v_sub_nc_u32_e32 v10, 30, v10
	v_lshlrev_b32_e32 v8, v26, v8
	v_bfe_u32 v26, v11, 26, 5
	s_delay_alu instid0(VALU_DEP_2) | instskip(NEXT) | instid1(VALU_DEP_2)
	v_and_b32_e32 v8, 3, v8
	v_cmp_eq_u32_e32 vcc_lo, 0, v26
	v_cndmask_b32_e32 v10, v26, v10, vcc_lo
	s_delay_alu instid0(VALU_DEP_3) | instskip(NEXT) | instid1(VALU_DEP_2)
	v_dual_cndmask_b32 v8, v9, v8 :: v_dual_and_b32 v9, 0x80000000, v11
	v_lshl_add_u32 v10, v10, 23, 0x37800000
	s_delay_alu instid0(VALU_DEP_2) | instskip(NEXT) | instid1(VALU_DEP_1)
	v_lshlrev_b32_e32 v8, 21, v8
	v_or3_b32 v9, v9, v10, v8
.LBB6_6033:                             ;   in Loop: Header=BB6_5840 Depth=4
	s_or_b32 exec_lo, exec_lo, s37
	s_delay_alu instid0(VALU_DEP_1) | instskip(SKIP_1) | instid1(VALU_DEP_1)
	v_dual_mul_f32 v8, s36, v9 :: v_dual_mov_b32 v85, 0x8000
	s_mov_b32 s36, exec_lo
	v_and_b32_e32 v9, 0x7f800000, v8
	s_delay_alu instid0(VALU_DEP_1)
	v_cmpx_ne_u32_e32 0x7f800000, v9
	s_cbranch_execz .LBB6_6041
; %bb.6034:                             ;   in Loop: Header=BB6_5840 Depth=4
	v_mov_b32_e32 v85, 0
	s_mov_b32 s37, exec_lo
	v_cmpx_ne_u32_e32 0, v8
	s_cbranch_execz .LBB6_6040
; %bb.6035:                             ;   in Loop: Header=BB6_5840 Depth=4
	v_bfe_u32 v9, v8, 23, 8
	s_delay_alu instid0(VALU_DEP_1) | instskip(SKIP_1) | instid1(VALU_DEP_2)
	v_sub_nc_u32_e32 v11, 0x70, v9
	v_cmp_gt_u32_e32 vcc_lo, 0x71, v9
	v_dual_cndmask_b32 v11, 0, v11 :: v_dual_and_b32 v10, 0x7fffff, v8
	s_delay_alu instid0(VALU_DEP_1) | instskip(SKIP_2) | instid1(VALU_DEP_4)
	v_or_b32_e32 v26, 0x800000, v10
	v_cmp_eq_u32_e32 vcc_lo, 0, v9
	v_add_nc_u32_e32 v9, 0xffffff91, v9
	v_cndmask_b32_e64 v11, v11, 0x6f, vcc_lo
	s_delay_alu instid0(VALU_DEP_4) | instskip(NEXT) | instid1(VALU_DEP_3)
	v_cndmask_b32_e32 v10, v26, v10, vcc_lo
	v_cndmask_b32_e64 v9, v9, 0xffffff92, vcc_lo
	s_delay_alu instid0(VALU_DEP_3) | instskip(NEXT) | instid1(VALU_DEP_3)
	v_lshl_add_u32 v26, 0x200000, v11, -1
	v_lshrrev_b32_e32 v27, v11, v10
	v_lshlrev_b32_e64 v37, v11, 0x100000
	s_delay_alu instid0(VALU_DEP_4) | instskip(NEXT) | instid1(VALU_DEP_4)
	v_add_nc_u32_e32 v11, v11, v9
	v_and_b32_e32 v10, v26, v10
	s_delay_alu instid0(VALU_DEP_4) | instskip(NEXT) | instid1(VALU_DEP_2)
	v_bfe_u32 v36, v27, 21, 1
	v_cmp_eq_u32_e64 s14, v10, v37
	s_delay_alu instid0(VALU_DEP_2) | instskip(NEXT) | instid1(VALU_DEP_1)
	v_add_nc_u32_e32 v26, -1, v36
	v_cndmask_b32_e64 v10, 0, v26, s14
	v_lshrrev_b32_e32 v26, 23, v27
	s_mov_b32 s14, exec_lo
	s_delay_alu instid0(VALU_DEP_2) | instskip(NEXT) | instid1(VALU_DEP_2)
	v_add_nc_u32_e32 v10, v10, v27
	v_xor_b32_e32 v26, 1, v26
	s_delay_alu instid0(VALU_DEP_2) | instskip(NEXT) | instid1(VALU_DEP_1)
	v_and_b32_e32 v9, 0x1fffff, v10
	v_add_nc_u32_e32 v10, v9, v27
                                        ; implicit-def: $vgpr9
	s_delay_alu instid0(VALU_DEP_3)
	v_cmpx_ne_u32_e64 v11, v26
	s_xor_b32 s14, exec_lo, s14
; %bb.6036:                             ;   in Loop: Header=BB6_5840 Depth=4
	s_delay_alu instid0(VALU_DEP_2) | instskip(SKIP_2) | instid1(VALU_DEP_2)
	v_cmp_lt_u32_e32 vcc_lo, 0xffffff, v10
	v_sub_nc_u32_e32 v9, v11, v26
	v_cndmask_b32_e64 v11, 0, 1, vcc_lo
	v_add_co_ci_u32_e32 v9, vcc_lo, 0, v9, vcc_lo
	s_delay_alu instid0(VALU_DEP_2)
	v_lshrrev_b32_e32 v10, v11, v10
; %bb.6037:                             ;   in Loop: Header=BB6_5840 Depth=4
	s_and_not1_saveexec_b32 s14, s14
; %bb.6038:                             ;   in Loop: Header=BB6_5840 Depth=4
	s_delay_alu instid0(VALU_DEP_1)
	v_bfe_u32 v9, v10, 23, 1
; %bb.6039:                             ;   in Loop: Header=BB6_5840 Depth=4
	s_or_b32 exec_lo, exec_lo, s14
	v_lshrrev_b32_e32 v10, 21, v10
	s_delay_alu instid0(VALU_DEP_2) | instskip(SKIP_2) | instid1(VALU_DEP_2)
	v_cmp_gt_i32_e32 vcc_lo, 32, v9
	v_min_i32_e32 v11, 31, v9
	v_lshrrev_b32_e32 v8, 24, v8
	v_dual_cndmask_b32 v10, 3, v10 :: v_dual_lshlrev_b32 v11, 2, v11
	s_delay_alu instid0(VALU_DEP_2) | instskip(NEXT) | instid1(VALU_DEP_2)
	v_and_b32_e32 v8, 0x80, v8
	v_or_b32_e32 v9, v9, v10
	s_delay_alu instid0(VALU_DEP_3) | instskip(NEXT) | instid1(VALU_DEP_2)
	v_and_b32_e32 v11, 0xfc, v11
	v_cmp_ne_u32_e32 vcc_lo, 0, v9
	v_and_b32_e32 v26, 3, v10
	s_delay_alu instid0(VALU_DEP_1) | instskip(NEXT) | instid1(VALU_DEP_1)
	v_or3_b32 v8, v8, v11, v26
	v_lshlrev_b32_e32 v8, 8, v8
	s_delay_alu instid0(VALU_DEP_1)
	v_cndmask_b32_e32 v85, 0, v8, vcc_lo
.LBB6_6040:                             ;   in Loop: Header=BB6_5840 Depth=4
	s_or_b32 exec_lo, exec_lo, s37
.LBB6_6041:                             ;   in Loop: Header=BB6_5840 Depth=4
	s_delay_alu instid0(SALU_CYCLE_1) | instskip(SKIP_4) | instid1(VALU_DEP_1)
	s_or_b32 exec_lo, exec_lo, s36
	global_load_b128 v[8:11], v[14:15], off slc dlc
	v_and_b32_e32 v27, 0xff, v80
	s_mov_b32 s14, 0
	s_mov_b32 s37, exec_lo
                                        ; implicit-def: $sgpr36
	v_cmpx_lt_i16_e32 0x7f, v27
	s_xor_b32 s37, exec_lo, s37
	s_cbranch_execnz .LBB6_6359
; %bb.6042:                             ;   in Loop: Header=BB6_5840 Depth=4
	s_or_saveexec_b32 s37, s37
	v_mov_b32_e32 v26, s36
	s_xor_b32 exec_lo, exec_lo, s37
	s_cbranch_execnz .LBB6_6362
.LBB6_6043:                             ;   in Loop: Header=BB6_5840 Depth=4
	s_or_b32 exec_lo, exec_lo, s37
	s_and_saveexec_b32 s36, s14
	s_cbranch_execz .LBB6_6045
.LBB6_6044:                             ;   in Loop: Header=BB6_5840 Depth=4
	v_bfe_u32 v37, v80, 2, 5
	v_lshlrev_b32_e32 v38, 24, v80
	s_delay_alu instid0(VALU_DEP_2) | instskip(SKIP_1) | instid1(VALU_DEP_1)
	v_cmp_eq_u32_e32 vcc_lo, 0, v37
	v_and_b32_e32 v26, 3, v80
	v_clz_i32_u32_e32 v27, v26
	s_delay_alu instid0(VALU_DEP_1) | instskip(NEXT) | instid1(VALU_DEP_1)
	v_min_u32_e32 v27, 32, v27
	v_subrev_nc_u32_e32 v36, 29, v27
	v_sub_nc_u32_e32 v27, 30, v27
	s_delay_alu instid0(VALU_DEP_1) | instskip(NEXT) | instid1(VALU_DEP_1)
	v_dual_cndmask_b32 v27, v37, v27 :: v_dual_lshlrev_b32 v36, v36, v80
	v_and_b32_e32 v36, 3, v36
	s_delay_alu instid0(VALU_DEP_2) | instskip(NEXT) | instid1(VALU_DEP_2)
	v_lshl_add_u32 v27, v27, 23, 0x37800000
	v_cndmask_b32_e32 v26, v26, v36, vcc_lo
	v_and_b32_e32 v36, 0x80000000, v38
	s_delay_alu instid0(VALU_DEP_2) | instskip(NEXT) | instid1(VALU_DEP_1)
	v_lshlrev_b32_e32 v26, 21, v26
	v_or3_b32 v26, v36, v27, v26
.LBB6_6045:                             ;   in Loop: Header=BB6_5840 Depth=4
	s_or_b32 exec_lo, exec_lo, s36
	s_waitcnt vmcnt(0)
	v_and_b32_e32 v36, 0xff, v8
	s_mov_b32 s14, 0
	s_mov_b32 s37, exec_lo
                                        ; implicit-def: $sgpr36
	s_delay_alu instid0(VALU_DEP_1)
	v_cmpx_lt_i16_e32 0x7f, v36
	s_xor_b32 s37, exec_lo, s37
	s_cbranch_execnz .LBB6_6363
; %bb.6046:                             ;   in Loop: Header=BB6_5840 Depth=4
	s_or_saveexec_b32 s37, s37
	v_mov_b32_e32 v27, s36
	s_xor_b32 exec_lo, exec_lo, s37
	s_cbranch_execnz .LBB6_6366
.LBB6_6047:                             ;   in Loop: Header=BB6_5840 Depth=4
	s_or_b32 exec_lo, exec_lo, s37
	s_and_saveexec_b32 s36, s14
	s_cbranch_execz .LBB6_6049
.LBB6_6048:                             ;   in Loop: Header=BB6_5840 Depth=4
	v_and_b32_e32 v27, 3, v8
	v_bfe_u32 v38, v8, 2, 5
	v_lshlrev_b32_e32 v39, 24, v8
	s_delay_alu instid0(VALU_DEP_3) | instskip(NEXT) | instid1(VALU_DEP_3)
	v_clz_i32_u32_e32 v36, v27
	v_cmp_eq_u32_e32 vcc_lo, 0, v38
	s_delay_alu instid0(VALU_DEP_2) | instskip(NEXT) | instid1(VALU_DEP_1)
	v_min_u32_e32 v36, 32, v36
	v_subrev_nc_u32_e32 v37, 29, v36
	v_sub_nc_u32_e32 v36, 30, v36
	s_delay_alu instid0(VALU_DEP_2) | instskip(NEXT) | instid1(VALU_DEP_1)
	v_lshlrev_b32_e32 v37, v37, v8
	v_dual_cndmask_b32 v36, v38, v36 :: v_dual_and_b32 v37, 3, v37
	s_delay_alu instid0(VALU_DEP_1) | instskip(NEXT) | instid1(VALU_DEP_2)
	v_lshl_add_u32 v36, v36, 23, 0x37800000
	v_cndmask_b32_e32 v27, v27, v37, vcc_lo
	v_and_b32_e32 v37, 0x80000000, v39
	s_delay_alu instid0(VALU_DEP_2) | instskip(NEXT) | instid1(VALU_DEP_1)
	v_lshlrev_b32_e32 v27, 21, v27
	v_or3_b32 v27, v37, v36, v27
.LBB6_6049:                             ;   in Loop: Header=BB6_5840 Depth=4
	s_or_b32 exec_lo, exec_lo, s36
	s_delay_alu instid0(VALU_DEP_1) | instskip(SKIP_2) | instid1(VALU_DEP_2)
	v_add_f32_e32 v26, v26, v27
	v_mov_b32_e32 v80, 0x80
	s_mov_b32 s36, exec_lo
	v_and_b32_e32 v27, 0x7f800000, v26
	s_delay_alu instid0(VALU_DEP_1)
	v_cmpx_ne_u32_e32 0x7f800000, v27
	s_cbranch_execz .LBB6_6057
; %bb.6050:                             ;   in Loop: Header=BB6_5840 Depth=4
	v_mov_b32_e32 v80, 0
	s_mov_b32 s37, exec_lo
	v_cmpx_ne_u32_e32 0, v26
	s_cbranch_execz .LBB6_6056
; %bb.6051:                             ;   in Loop: Header=BB6_5840 Depth=4
	v_bfe_u32 v27, v26, 23, 8
	s_delay_alu instid0(VALU_DEP_1) | instskip(SKIP_1) | instid1(VALU_DEP_2)
	v_sub_nc_u32_e32 v37, 0x70, v27
	v_cmp_gt_u32_e32 vcc_lo, 0x71, v27
	v_dual_cndmask_b32 v37, 0, v37 :: v_dual_and_b32 v36, 0x7fffff, v26
	s_delay_alu instid0(VALU_DEP_1) | instskip(SKIP_2) | instid1(VALU_DEP_4)
	v_or_b32_e32 v38, 0x800000, v36
	v_cmp_eq_u32_e32 vcc_lo, 0, v27
	v_add_nc_u32_e32 v27, 0xffffff91, v27
	v_cndmask_b32_e64 v37, v37, 0x6f, vcc_lo
	s_delay_alu instid0(VALU_DEP_4) | instskip(NEXT) | instid1(VALU_DEP_3)
	v_cndmask_b32_e32 v36, v38, v36, vcc_lo
	v_cndmask_b32_e64 v27, v27, 0xffffff92, vcc_lo
	s_delay_alu instid0(VALU_DEP_3) | instskip(NEXT) | instid1(VALU_DEP_3)
	v_lshl_add_u32 v38, 0x200000, v37, -1
	v_lshrrev_b32_e32 v39, v37, v36
	v_lshlrev_b32_e64 v49, v37, 0x100000
	s_delay_alu instid0(VALU_DEP_4) | instskip(NEXT) | instid1(VALU_DEP_4)
	v_add_nc_u32_e32 v37, v37, v27
	v_and_b32_e32 v36, v38, v36
	s_delay_alu instid0(VALU_DEP_4) | instskip(NEXT) | instid1(VALU_DEP_2)
	v_bfe_u32 v48, v39, 21, 1
	v_cmp_eq_u32_e64 s14, v36, v49
	s_delay_alu instid0(VALU_DEP_2) | instskip(NEXT) | instid1(VALU_DEP_1)
	v_add_nc_u32_e32 v38, -1, v48
	v_cndmask_b32_e64 v36, 0, v38, s14
	v_lshrrev_b32_e32 v38, 23, v39
	s_mov_b32 s14, exec_lo
	s_delay_alu instid0(VALU_DEP_2) | instskip(NEXT) | instid1(VALU_DEP_2)
	v_add_nc_u32_e32 v36, v36, v39
	v_xor_b32_e32 v38, 1, v38
	s_delay_alu instid0(VALU_DEP_2) | instskip(NEXT) | instid1(VALU_DEP_1)
	v_and_b32_e32 v27, 0x1fffff, v36
	v_add_nc_u32_e32 v36, v27, v39
                                        ; implicit-def: $vgpr27
	s_delay_alu instid0(VALU_DEP_3)
	v_cmpx_ne_u32_e64 v37, v38
	s_xor_b32 s14, exec_lo, s14
; %bb.6052:                             ;   in Loop: Header=BB6_5840 Depth=4
	s_delay_alu instid0(VALU_DEP_2) | instskip(SKIP_2) | instid1(VALU_DEP_2)
	v_cmp_lt_u32_e32 vcc_lo, 0xffffff, v36
	v_sub_nc_u32_e32 v27, v37, v38
	v_cndmask_b32_e64 v37, 0, 1, vcc_lo
	v_add_co_ci_u32_e32 v27, vcc_lo, 0, v27, vcc_lo
	s_delay_alu instid0(VALU_DEP_2)
	v_lshrrev_b32_e32 v36, v37, v36
; %bb.6053:                             ;   in Loop: Header=BB6_5840 Depth=4
	s_and_not1_saveexec_b32 s14, s14
; %bb.6054:                             ;   in Loop: Header=BB6_5840 Depth=4
	s_delay_alu instid0(VALU_DEP_1)
	v_bfe_u32 v27, v36, 23, 1
; %bb.6055:                             ;   in Loop: Header=BB6_5840 Depth=4
	s_or_b32 exec_lo, exec_lo, s14
	v_lshrrev_b32_e32 v36, 21, v36
	s_delay_alu instid0(VALU_DEP_2) | instskip(SKIP_2) | instid1(VALU_DEP_4)
	v_cmp_gt_i32_e32 vcc_lo, 32, v27
	v_lshrrev_b32_e32 v26, 24, v26
	v_min_i32_e32 v37, 31, v27
	v_cndmask_b32_e32 v36, 3, v36, vcc_lo
	s_delay_alu instid0(VALU_DEP_3) | instskip(NEXT) | instid1(VALU_DEP_3)
	v_and_b32_e32 v26, 0x80, v26
	v_lshlrev_b32_e32 v37, 2, v37
	s_delay_alu instid0(VALU_DEP_3) | instskip(SKIP_1) | instid1(VALU_DEP_2)
	v_and_b32_e32 v38, 3, v36
	v_or_b32_e32 v27, v27, v36
	v_or3_b32 v26, v37, v26, v38
	s_delay_alu instid0(VALU_DEP_2) | instskip(NEXT) | instid1(VALU_DEP_2)
	v_cmp_ne_u32_e32 vcc_lo, 0, v27
	v_cndmask_b32_e32 v80, 0, v26, vcc_lo
.LBB6_6056:                             ;   in Loop: Header=BB6_5840 Depth=4
	s_or_b32 exec_lo, exec_lo, s37
.LBB6_6057:                             ;   in Loop: Header=BB6_5840 Depth=4
	s_delay_alu instid0(SALU_CYCLE_1) | instskip(SKIP_3) | instid1(VALU_DEP_1)
	s_or_b32 exec_lo, exec_lo, s36
	v_and_b32_e32 v27, 0xff, v84
	s_mov_b32 s14, 0
	s_mov_b32 s37, exec_lo
                                        ; implicit-def: $sgpr36
	v_cmpx_lt_i16_e32 0x7f, v27
	s_xor_b32 s37, exec_lo, s37
	s_cbranch_execnz .LBB6_6367
; %bb.6058:                             ;   in Loop: Header=BB6_5840 Depth=4
	s_or_saveexec_b32 s37, s37
	v_mov_b32_e32 v26, s36
	s_xor_b32 exec_lo, exec_lo, s37
	s_cbranch_execnz .LBB6_6370
.LBB6_6059:                             ;   in Loop: Header=BB6_5840 Depth=4
	s_or_b32 exec_lo, exec_lo, s37
	s_and_saveexec_b32 s36, s14
	s_cbranch_execz .LBB6_6061
.LBB6_6060:                             ;   in Loop: Header=BB6_5840 Depth=4
	v_bfe_u32 v37, v84, 2, 5
	v_lshlrev_b32_e32 v38, 24, v84
	s_delay_alu instid0(VALU_DEP_2) | instskip(SKIP_1) | instid1(VALU_DEP_1)
	v_cmp_eq_u32_e32 vcc_lo, 0, v37
	v_and_b32_e32 v26, 3, v84
	v_clz_i32_u32_e32 v27, v26
	s_delay_alu instid0(VALU_DEP_1) | instskip(NEXT) | instid1(VALU_DEP_1)
	v_min_u32_e32 v27, 32, v27
	v_subrev_nc_u32_e32 v36, 29, v27
	v_sub_nc_u32_e32 v27, 30, v27
	s_delay_alu instid0(VALU_DEP_1) | instskip(NEXT) | instid1(VALU_DEP_1)
	v_dual_cndmask_b32 v27, v37, v27 :: v_dual_lshlrev_b32 v36, v36, v84
	v_and_b32_e32 v36, 3, v36
	s_delay_alu instid0(VALU_DEP_2) | instskip(NEXT) | instid1(VALU_DEP_2)
	v_lshl_add_u32 v27, v27, 23, 0x37800000
	v_cndmask_b32_e32 v26, v26, v36, vcc_lo
	v_and_b32_e32 v36, 0x80000000, v38
	s_delay_alu instid0(VALU_DEP_2) | instskip(NEXT) | instid1(VALU_DEP_1)
	v_lshlrev_b32_e32 v26, 21, v26
	v_or3_b32 v26, v36, v27, v26
.LBB6_6061:                             ;   in Loop: Header=BB6_5840 Depth=4
	s_or_b32 exec_lo, exec_lo, s36
	v_lshrrev_b16 v27, 8, v8
	s_mov_b32 s14, 0
	s_mov_b32 s37, exec_lo
                                        ; implicit-def: $sgpr36
	s_delay_alu instid0(VALU_DEP_1)
	v_cmpx_lt_i16_e32 0x7f, v27
	s_xor_b32 s37, exec_lo, s37
	s_cbranch_execnz .LBB6_6371
; %bb.6062:                             ;   in Loop: Header=BB6_5840 Depth=4
	s_or_saveexec_b32 s37, s37
	v_mov_b32_e32 v36, s36
	s_xor_b32 exec_lo, exec_lo, s37
	s_cbranch_execnz .LBB6_6374
.LBB6_6063:                             ;   in Loop: Header=BB6_5840 Depth=4
	s_or_b32 exec_lo, exec_lo, s37
	s_and_saveexec_b32 s36, s14
	s_cbranch_execz .LBB6_6065
.LBB6_6064:                             ;   in Loop: Header=BB6_5840 Depth=4
	v_and_b32_e32 v36, 0xffff, v27
	v_lshlrev_b32_e32 v27, 24, v27
	s_delay_alu instid0(VALU_DEP_2) | instskip(NEXT) | instid1(VALU_DEP_2)
	v_and_b32_e32 v37, 3, v36
	v_and_b32_e32 v27, 0x80000000, v27
	s_delay_alu instid0(VALU_DEP_2) | instskip(NEXT) | instid1(VALU_DEP_1)
	v_clz_i32_u32_e32 v38, v37
	v_min_u32_e32 v38, 32, v38
	s_delay_alu instid0(VALU_DEP_1) | instskip(SKIP_1) | instid1(VALU_DEP_2)
	v_subrev_nc_u32_e32 v39, 29, v38
	v_sub_nc_u32_e32 v38, 30, v38
	v_lshlrev_b32_e32 v39, v39, v36
	v_bfe_u32 v36, v36, 2, 5
	s_delay_alu instid0(VALU_DEP_2) | instskip(NEXT) | instid1(VALU_DEP_2)
	v_and_b32_e32 v39, 3, v39
	v_cmp_eq_u32_e32 vcc_lo, 0, v36
	s_delay_alu instid0(VALU_DEP_2) | instskip(NEXT) | instid1(VALU_DEP_1)
	v_dual_cndmask_b32 v36, v36, v38 :: v_dual_cndmask_b32 v37, v37, v39
	v_lshl_add_u32 v36, v36, 23, 0x37800000
	s_delay_alu instid0(VALU_DEP_2) | instskip(NEXT) | instid1(VALU_DEP_1)
	v_lshlrev_b32_e32 v37, 21, v37
	v_or3_b32 v36, v27, v36, v37
.LBB6_6065:                             ;   in Loop: Header=BB6_5840 Depth=4
	s_or_b32 exec_lo, exec_lo, s36
	s_delay_alu instid0(VALU_DEP_1) | instskip(SKIP_2) | instid1(VALU_DEP_2)
	v_add_f32_e32 v26, v26, v36
	v_mov_b32_e32 v84, 0x80
	s_mov_b32 s36, exec_lo
	v_and_b32_e32 v27, 0x7f800000, v26
	s_delay_alu instid0(VALU_DEP_1)
	v_cmpx_ne_u32_e32 0x7f800000, v27
	s_cbranch_execz .LBB6_6073
; %bb.6066:                             ;   in Loop: Header=BB6_5840 Depth=4
	v_mov_b32_e32 v84, 0
	s_mov_b32 s37, exec_lo
	v_cmpx_ne_u32_e32 0, v26
	s_cbranch_execz .LBB6_6072
; %bb.6067:                             ;   in Loop: Header=BB6_5840 Depth=4
	v_bfe_u32 v27, v26, 23, 8
	s_delay_alu instid0(VALU_DEP_1) | instskip(SKIP_1) | instid1(VALU_DEP_2)
	v_sub_nc_u32_e32 v37, 0x70, v27
	v_cmp_gt_u32_e32 vcc_lo, 0x71, v27
	v_dual_cndmask_b32 v37, 0, v37 :: v_dual_and_b32 v36, 0x7fffff, v26
	s_delay_alu instid0(VALU_DEP_1) | instskip(SKIP_2) | instid1(VALU_DEP_4)
	v_or_b32_e32 v38, 0x800000, v36
	v_cmp_eq_u32_e32 vcc_lo, 0, v27
	v_add_nc_u32_e32 v27, 0xffffff91, v27
	v_cndmask_b32_e64 v37, v37, 0x6f, vcc_lo
	s_delay_alu instid0(VALU_DEP_4) | instskip(NEXT) | instid1(VALU_DEP_3)
	v_cndmask_b32_e32 v36, v38, v36, vcc_lo
	v_cndmask_b32_e64 v27, v27, 0xffffff92, vcc_lo
	s_delay_alu instid0(VALU_DEP_3) | instskip(NEXT) | instid1(VALU_DEP_3)
	v_lshl_add_u32 v38, 0x200000, v37, -1
	v_lshrrev_b32_e32 v39, v37, v36
	v_lshlrev_b32_e64 v49, v37, 0x100000
	s_delay_alu instid0(VALU_DEP_4) | instskip(NEXT) | instid1(VALU_DEP_4)
	v_add_nc_u32_e32 v37, v37, v27
	v_and_b32_e32 v36, v38, v36
	s_delay_alu instid0(VALU_DEP_4) | instskip(NEXT) | instid1(VALU_DEP_2)
	v_bfe_u32 v48, v39, 21, 1
	v_cmp_eq_u32_e64 s14, v36, v49
	s_delay_alu instid0(VALU_DEP_2) | instskip(NEXT) | instid1(VALU_DEP_1)
	v_add_nc_u32_e32 v38, -1, v48
	v_cndmask_b32_e64 v36, 0, v38, s14
	v_lshrrev_b32_e32 v38, 23, v39
	s_mov_b32 s14, exec_lo
	s_delay_alu instid0(VALU_DEP_2) | instskip(NEXT) | instid1(VALU_DEP_2)
	v_add_nc_u32_e32 v36, v36, v39
	v_xor_b32_e32 v38, 1, v38
	s_delay_alu instid0(VALU_DEP_2) | instskip(NEXT) | instid1(VALU_DEP_1)
	v_and_b32_e32 v27, 0x1fffff, v36
	v_add_nc_u32_e32 v36, v27, v39
                                        ; implicit-def: $vgpr27
	s_delay_alu instid0(VALU_DEP_3)
	v_cmpx_ne_u32_e64 v37, v38
	s_xor_b32 s14, exec_lo, s14
; %bb.6068:                             ;   in Loop: Header=BB6_5840 Depth=4
	s_delay_alu instid0(VALU_DEP_2) | instskip(SKIP_2) | instid1(VALU_DEP_2)
	v_cmp_lt_u32_e32 vcc_lo, 0xffffff, v36
	v_sub_nc_u32_e32 v27, v37, v38
	v_cndmask_b32_e64 v37, 0, 1, vcc_lo
	v_add_co_ci_u32_e32 v27, vcc_lo, 0, v27, vcc_lo
	s_delay_alu instid0(VALU_DEP_2)
	v_lshrrev_b32_e32 v36, v37, v36
; %bb.6069:                             ;   in Loop: Header=BB6_5840 Depth=4
	s_and_not1_saveexec_b32 s14, s14
; %bb.6070:                             ;   in Loop: Header=BB6_5840 Depth=4
	s_delay_alu instid0(VALU_DEP_1)
	v_bfe_u32 v27, v36, 23, 1
; %bb.6071:                             ;   in Loop: Header=BB6_5840 Depth=4
	s_or_b32 exec_lo, exec_lo, s14
	v_lshrrev_b32_e32 v36, 21, v36
	s_delay_alu instid0(VALU_DEP_2) | instskip(SKIP_2) | instid1(VALU_DEP_4)
	v_cmp_gt_i32_e32 vcc_lo, 32, v27
	v_lshrrev_b32_e32 v26, 24, v26
	v_min_i32_e32 v37, 31, v27
	v_cndmask_b32_e32 v36, 3, v36, vcc_lo
	s_delay_alu instid0(VALU_DEP_3) | instskip(NEXT) | instid1(VALU_DEP_3)
	v_and_b32_e32 v26, 0x80, v26
	v_lshlrev_b32_e32 v37, 2, v37
	s_delay_alu instid0(VALU_DEP_3) | instskip(SKIP_1) | instid1(VALU_DEP_2)
	v_and_b32_e32 v38, 3, v36
	v_or_b32_e32 v27, v27, v36
	v_or3_b32 v26, v37, v26, v38
	s_delay_alu instid0(VALU_DEP_2) | instskip(NEXT) | instid1(VALU_DEP_2)
	v_cmp_ne_u32_e32 vcc_lo, 0, v27
	v_cndmask_b32_e32 v84, 0, v26, vcc_lo
.LBB6_6072:                             ;   in Loop: Header=BB6_5840 Depth=4
	s_or_b32 exec_lo, exec_lo, s37
.LBB6_6073:                             ;   in Loop: Header=BB6_5840 Depth=4
	s_delay_alu instid0(SALU_CYCLE_1) | instskip(SKIP_3) | instid1(VALU_DEP_1)
	s_or_b32 exec_lo, exec_lo, s36
	v_and_b32_e32 v27, 0xff, v132
	s_mov_b32 s14, 0
	s_mov_b32 s37, exec_lo
                                        ; implicit-def: $sgpr36
	v_cmpx_lt_i16_e32 0x7f, v27
	s_xor_b32 s37, exec_lo, s37
	s_cbranch_execnz .LBB6_6375
; %bb.6074:                             ;   in Loop: Header=BB6_5840 Depth=4
	s_or_saveexec_b32 s37, s37
	v_mov_b32_e32 v26, s36
	s_xor_b32 exec_lo, exec_lo, s37
	s_cbranch_execnz .LBB6_6378
.LBB6_6075:                             ;   in Loop: Header=BB6_5840 Depth=4
	s_or_b32 exec_lo, exec_lo, s37
	s_and_saveexec_b32 s36, s14
	s_cbranch_execz .LBB6_6077
.LBB6_6076:                             ;   in Loop: Header=BB6_5840 Depth=4
	v_bfe_u32 v37, v132, 2, 5
	v_lshlrev_b32_e32 v38, 24, v132
	s_delay_alu instid0(VALU_DEP_2) | instskip(SKIP_1) | instid1(VALU_DEP_1)
	v_cmp_eq_u32_e32 vcc_lo, 0, v37
	v_and_b32_e32 v26, 3, v132
	v_clz_i32_u32_e32 v27, v26
	s_delay_alu instid0(VALU_DEP_1) | instskip(NEXT) | instid1(VALU_DEP_1)
	v_min_u32_e32 v27, 32, v27
	v_subrev_nc_u32_e32 v36, 29, v27
	v_sub_nc_u32_e32 v27, 30, v27
	s_delay_alu instid0(VALU_DEP_1) | instskip(NEXT) | instid1(VALU_DEP_1)
	v_dual_cndmask_b32 v27, v37, v27 :: v_dual_lshlrev_b32 v36, v36, v132
	v_and_b32_e32 v36, 3, v36
	s_delay_alu instid0(VALU_DEP_2) | instskip(NEXT) | instid1(VALU_DEP_2)
	v_lshl_add_u32 v27, v27, 23, 0x37800000
	v_cndmask_b32_e32 v26, v26, v36, vcc_lo
	v_and_b32_e32 v36, 0x80000000, v38
	s_delay_alu instid0(VALU_DEP_2) | instskip(NEXT) | instid1(VALU_DEP_1)
	v_lshlrev_b32_e32 v26, 21, v26
	v_or3_b32 v26, v36, v27, v26
.LBB6_6077:                             ;   in Loop: Header=BB6_5840 Depth=4
	s_or_b32 exec_lo, exec_lo, s36
	v_lshrrev_b32_e32 v27, 16, v8
	s_mov_b32 s14, 0
	s_mov_b32 s37, exec_lo
                                        ; implicit-def: $sgpr36
	s_delay_alu instid0(VALU_DEP_1) | instskip(NEXT) | instid1(VALU_DEP_1)
	v_and_b32_e32 v37, 0xff, v27
	v_cmpx_lt_i16_e32 0x7f, v37
	s_xor_b32 s37, exec_lo, s37
	s_cbranch_execnz .LBB6_6379
; %bb.6078:                             ;   in Loop: Header=BB6_5840 Depth=4
	s_or_saveexec_b32 s37, s37
	v_mov_b32_e32 v36, s36
	s_xor_b32 exec_lo, exec_lo, s37
	s_cbranch_execnz .LBB6_6382
.LBB6_6079:                             ;   in Loop: Header=BB6_5840 Depth=4
	s_or_b32 exec_lo, exec_lo, s37
	s_and_saveexec_b32 s36, s14
	s_cbranch_execz .LBB6_6081
.LBB6_6080:                             ;   in Loop: Header=BB6_5840 Depth=4
	v_bfe_u32 v36, v8, 16, 2
	v_lshlrev_b32_e32 v39, 8, v8
	s_delay_alu instid0(VALU_DEP_2) | instskip(NEXT) | instid1(VALU_DEP_1)
	v_clz_i32_u32_e32 v37, v36
	v_min_u32_e32 v37, 32, v37
	s_delay_alu instid0(VALU_DEP_1) | instskip(SKIP_1) | instid1(VALU_DEP_2)
	v_subrev_nc_u32_e32 v38, 29, v37
	v_sub_nc_u32_e32 v37, 30, v37
	v_lshlrev_b32_e32 v27, v38, v27
	v_bfe_u32 v38, v8, 18, 5
	s_delay_alu instid0(VALU_DEP_2) | instskip(NEXT) | instid1(VALU_DEP_2)
	v_and_b32_e32 v27, 3, v27
	v_cmp_eq_u32_e32 vcc_lo, 0, v38
	v_cndmask_b32_e32 v37, v38, v37, vcc_lo
	s_delay_alu instid0(VALU_DEP_3) | instskip(SKIP_1) | instid1(VALU_DEP_3)
	v_cndmask_b32_e32 v27, v36, v27, vcc_lo
	v_and_b32_e32 v36, 0x80000000, v39
	v_lshl_add_u32 v37, v37, 23, 0x37800000
	s_delay_alu instid0(VALU_DEP_3) | instskip(NEXT) | instid1(VALU_DEP_1)
	v_lshlrev_b32_e32 v27, 21, v27
	v_or3_b32 v36, v36, v37, v27
.LBB6_6081:                             ;   in Loop: Header=BB6_5840 Depth=4
	s_or_b32 exec_lo, exec_lo, s36
	s_delay_alu instid0(VALU_DEP_1) | instskip(SKIP_1) | instid1(VALU_DEP_1)
	v_dual_add_f32 v26, v26, v36 :: v_dual_mov_b32 v149, 0x80
	s_mov_b32 s36, exec_lo
	v_and_b32_e32 v27, 0x7f800000, v26
	s_delay_alu instid0(VALU_DEP_1)
	v_cmpx_ne_u32_e32 0x7f800000, v27
	s_cbranch_execz .LBB6_6089
; %bb.6082:                             ;   in Loop: Header=BB6_5840 Depth=4
	v_mov_b32_e32 v149, 0
	s_mov_b32 s37, exec_lo
	v_cmpx_ne_u32_e32 0, v26
	s_cbranch_execz .LBB6_6088
; %bb.6083:                             ;   in Loop: Header=BB6_5840 Depth=4
	v_bfe_u32 v27, v26, 23, 8
	s_delay_alu instid0(VALU_DEP_1) | instskip(SKIP_1) | instid1(VALU_DEP_2)
	v_sub_nc_u32_e32 v37, 0x70, v27
	v_cmp_gt_u32_e32 vcc_lo, 0x71, v27
	v_dual_cndmask_b32 v37, 0, v37 :: v_dual_and_b32 v36, 0x7fffff, v26
	s_delay_alu instid0(VALU_DEP_1) | instskip(SKIP_2) | instid1(VALU_DEP_4)
	v_or_b32_e32 v38, 0x800000, v36
	v_cmp_eq_u32_e32 vcc_lo, 0, v27
	v_add_nc_u32_e32 v27, 0xffffff91, v27
	v_cndmask_b32_e64 v37, v37, 0x6f, vcc_lo
	s_delay_alu instid0(VALU_DEP_4) | instskip(NEXT) | instid1(VALU_DEP_3)
	v_cndmask_b32_e32 v36, v38, v36, vcc_lo
	v_cndmask_b32_e64 v27, v27, 0xffffff92, vcc_lo
	s_delay_alu instid0(VALU_DEP_3) | instskip(NEXT) | instid1(VALU_DEP_3)
	v_lshl_add_u32 v38, 0x200000, v37, -1
	v_lshrrev_b32_e32 v39, v37, v36
	v_lshlrev_b32_e64 v49, v37, 0x100000
	s_delay_alu instid0(VALU_DEP_4) | instskip(NEXT) | instid1(VALU_DEP_4)
	v_add_nc_u32_e32 v37, v37, v27
	v_and_b32_e32 v36, v38, v36
	s_delay_alu instid0(VALU_DEP_4) | instskip(NEXT) | instid1(VALU_DEP_2)
	v_bfe_u32 v48, v39, 21, 1
	v_cmp_eq_u32_e64 s14, v36, v49
	s_delay_alu instid0(VALU_DEP_2) | instskip(NEXT) | instid1(VALU_DEP_1)
	v_add_nc_u32_e32 v38, -1, v48
	v_cndmask_b32_e64 v36, 0, v38, s14
	v_lshrrev_b32_e32 v38, 23, v39
	s_mov_b32 s14, exec_lo
	s_delay_alu instid0(VALU_DEP_2) | instskip(NEXT) | instid1(VALU_DEP_2)
	v_add_nc_u32_e32 v36, v36, v39
	v_xor_b32_e32 v38, 1, v38
	s_delay_alu instid0(VALU_DEP_2) | instskip(NEXT) | instid1(VALU_DEP_1)
	v_and_b32_e32 v27, 0x1fffff, v36
	v_add_nc_u32_e32 v36, v27, v39
                                        ; implicit-def: $vgpr27
	s_delay_alu instid0(VALU_DEP_3)
	v_cmpx_ne_u32_e64 v37, v38
	s_xor_b32 s14, exec_lo, s14
; %bb.6084:                             ;   in Loop: Header=BB6_5840 Depth=4
	s_delay_alu instid0(VALU_DEP_2) | instskip(SKIP_2) | instid1(VALU_DEP_2)
	v_cmp_lt_u32_e32 vcc_lo, 0xffffff, v36
	v_sub_nc_u32_e32 v27, v37, v38
	v_cndmask_b32_e64 v37, 0, 1, vcc_lo
	v_add_co_ci_u32_e32 v27, vcc_lo, 0, v27, vcc_lo
	s_delay_alu instid0(VALU_DEP_2)
	v_lshrrev_b32_e32 v36, v37, v36
; %bb.6085:                             ;   in Loop: Header=BB6_5840 Depth=4
	s_and_not1_saveexec_b32 s14, s14
; %bb.6086:                             ;   in Loop: Header=BB6_5840 Depth=4
	s_delay_alu instid0(VALU_DEP_1)
	v_bfe_u32 v27, v36, 23, 1
; %bb.6087:                             ;   in Loop: Header=BB6_5840 Depth=4
	s_or_b32 exec_lo, exec_lo, s14
	v_lshrrev_b32_e32 v36, 21, v36
	s_delay_alu instid0(VALU_DEP_2) | instskip(SKIP_2) | instid1(VALU_DEP_2)
	v_cmp_gt_i32_e32 vcc_lo, 32, v27
	v_min_i32_e32 v37, 31, v27
	v_lshrrev_b32_e32 v26, 24, v26
	v_dual_cndmask_b32 v36, 3, v36 :: v_dual_lshlrev_b32 v37, 2, v37
	s_delay_alu instid0(VALU_DEP_2) | instskip(NEXT) | instid1(VALU_DEP_2)
	v_and_b32_e32 v26, 0x80, v26
	v_or_b32_e32 v27, v27, v36
	s_delay_alu instid0(VALU_DEP_1) | instskip(SKIP_1) | instid1(VALU_DEP_1)
	v_cmp_ne_u32_e32 vcc_lo, 0, v27
	v_and_b32_e32 v38, 3, v36
	v_or3_b32 v26, v37, v26, v38
	s_delay_alu instid0(VALU_DEP_1)
	v_cndmask_b32_e32 v149, 0, v26, vcc_lo
.LBB6_6088:                             ;   in Loop: Header=BB6_5840 Depth=4
	s_or_b32 exec_lo, exec_lo, s37
.LBB6_6089:                             ;   in Loop: Header=BB6_5840 Depth=4
	s_delay_alu instid0(SALU_CYCLE_1) | instskip(SKIP_3) | instid1(VALU_DEP_1)
	s_or_b32 exec_lo, exec_lo, s36
	v_and_b32_e32 v27, 0xff, v151
	s_mov_b32 s14, 0
	s_mov_b32 s37, exec_lo
                                        ; implicit-def: $sgpr36
	v_cmpx_lt_i16_e32 0x7f, v27
	s_xor_b32 s37, exec_lo, s37
	s_cbranch_execnz .LBB6_6383
; %bb.6090:                             ;   in Loop: Header=BB6_5840 Depth=4
	s_or_saveexec_b32 s37, s37
	v_mov_b32_e32 v26, s36
	s_xor_b32 exec_lo, exec_lo, s37
	s_cbranch_execnz .LBB6_6386
.LBB6_6091:                             ;   in Loop: Header=BB6_5840 Depth=4
	s_or_b32 exec_lo, exec_lo, s37
	s_and_saveexec_b32 s36, s14
	s_cbranch_execz .LBB6_6093
.LBB6_6092:                             ;   in Loop: Header=BB6_5840 Depth=4
	v_lshlrev_b32_e32 v26, 8, v151
	s_delay_alu instid0(VALU_DEP_1) | instskip(SKIP_1) | instid1(VALU_DEP_2)
	v_and_b32_e32 v36, 0xff00, v26
	v_bfe_u32 v26, v26, 10, 5
	v_bfe_u32 v37, v36, 8, 2
	s_delay_alu instid0(VALU_DEP_2) | instskip(NEXT) | instid1(VALU_DEP_2)
	v_cmp_eq_u32_e32 vcc_lo, 0, v26
	v_clz_i32_u32_e32 v38, v37
	s_delay_alu instid0(VALU_DEP_1) | instskip(NEXT) | instid1(VALU_DEP_1)
	v_min_u32_e32 v38, 32, v38
	v_subrev_nc_u32_e32 v39, 29, v38
	v_sub_nc_u32_e32 v38, 30, v38
	s_delay_alu instid0(VALU_DEP_1) | instskip(NEXT) | instid1(VALU_DEP_1)
	v_dual_cndmask_b32 v26, v26, v38 :: v_dual_lshlrev_b32 v27, v39, v27
	v_and_b32_e32 v27, 3, v27
	s_delay_alu instid0(VALU_DEP_2) | instskip(NEXT) | instid1(VALU_DEP_2)
	v_lshl_add_u32 v26, v26, 23, 0x37800000
	v_dual_cndmask_b32 v27, v37, v27 :: v_dual_lshlrev_b32 v36, 16, v36
	s_delay_alu instid0(VALU_DEP_1) | instskip(NEXT) | instid1(VALU_DEP_2)
	v_lshlrev_b32_e32 v27, 21, v27
	v_and_b32_e32 v36, 0x80000000, v36
	s_delay_alu instid0(VALU_DEP_1)
	v_or3_b32 v26, v36, v26, v27
.LBB6_6093:                             ;   in Loop: Header=BB6_5840 Depth=4
	s_or_b32 exec_lo, exec_lo, s36
	v_lshrrev_b32_e32 v27, 24, v8
	s_mov_b32 s14, 0
	s_mov_b32 s37, exec_lo
                                        ; implicit-def: $sgpr36
	s_delay_alu instid0(VALU_DEP_1)
	v_cmpx_lt_i16_e32 0x7f, v27
	s_xor_b32 s37, exec_lo, s37
	s_cbranch_execnz .LBB6_6387
; %bb.6094:                             ;   in Loop: Header=BB6_5840 Depth=4
	s_or_saveexec_b32 s37, s37
	v_mov_b32_e32 v36, s36
	s_xor_b32 exec_lo, exec_lo, s37
	s_cbranch_execnz .LBB6_6390
.LBB6_6095:                             ;   in Loop: Header=BB6_5840 Depth=4
	s_or_b32 exec_lo, exec_lo, s37
	s_and_saveexec_b32 s36, s14
	s_cbranch_execz .LBB6_6097
.LBB6_6096:                             ;   in Loop: Header=BB6_5840 Depth=4
	v_bfe_u32 v36, v8, 24, 2
	s_delay_alu instid0(VALU_DEP_1) | instskip(NEXT) | instid1(VALU_DEP_1)
	v_clz_i32_u32_e32 v37, v36
	v_min_u32_e32 v37, 32, v37
	s_delay_alu instid0(VALU_DEP_1) | instskip(SKIP_1) | instid1(VALU_DEP_2)
	v_subrev_nc_u32_e32 v38, 29, v37
	v_sub_nc_u32_e32 v37, 30, v37
	v_lshlrev_b32_e32 v27, v38, v27
	v_bfe_u32 v38, v8, 26, 5
	v_and_b32_e32 v8, 0x80000000, v8
	s_delay_alu instid0(VALU_DEP_3) | instskip(NEXT) | instid1(VALU_DEP_3)
	v_and_b32_e32 v27, 3, v27
	v_cmp_eq_u32_e32 vcc_lo, 0, v38
	v_cndmask_b32_e32 v37, v38, v37, vcc_lo
	s_delay_alu instid0(VALU_DEP_3) | instskip(NEXT) | instid1(VALU_DEP_2)
	v_cndmask_b32_e32 v27, v36, v27, vcc_lo
	v_lshl_add_u32 v36, v37, 23, 0x37800000
	s_delay_alu instid0(VALU_DEP_2) | instskip(NEXT) | instid1(VALU_DEP_1)
	v_lshlrev_b32_e32 v27, 21, v27
	v_or3_b32 v36, v8, v36, v27
.LBB6_6097:                             ;   in Loop: Header=BB6_5840 Depth=4
	s_or_b32 exec_lo, exec_lo, s36
	s_delay_alu instid0(VALU_DEP_1) | instskip(NEXT) | instid1(VALU_DEP_1)
	v_add_f32_e32 v26, v26, v36
	v_and_b32_e32 v8, 0x7f800000, v26
	s_delay_alu instid0(VALU_DEP_1)
	v_cmp_ne_u32_e32 vcc_lo, 0x7f800000, v8
	v_mov_b32_e32 v8, 0x80
	s_and_saveexec_b32 s36, vcc_lo
	s_cbranch_execz .LBB6_6105
; %bb.6098:                             ;   in Loop: Header=BB6_5840 Depth=4
	v_mov_b32_e32 v8, 0
	s_mov_b32 s37, exec_lo
	v_cmpx_ne_u32_e32 0, v26
	s_cbranch_execz .LBB6_6104
; %bb.6099:                             ;   in Loop: Header=BB6_5840 Depth=4
	v_bfe_u32 v8, v26, 23, 8
	s_delay_alu instid0(VALU_DEP_1) | instskip(SKIP_1) | instid1(VALU_DEP_2)
	v_sub_nc_u32_e32 v36, 0x70, v8
	v_cmp_gt_u32_e32 vcc_lo, 0x71, v8
	v_dual_cndmask_b32 v36, 0, v36 :: v_dual_and_b32 v27, 0x7fffff, v26
	s_delay_alu instid0(VALU_DEP_1) | instskip(SKIP_2) | instid1(VALU_DEP_4)
	v_or_b32_e32 v37, 0x800000, v27
	v_cmp_eq_u32_e32 vcc_lo, 0, v8
	v_add_nc_u32_e32 v8, 0xffffff91, v8
	v_cndmask_b32_e64 v36, v36, 0x6f, vcc_lo
	s_delay_alu instid0(VALU_DEP_4) | instskip(NEXT) | instid1(VALU_DEP_3)
	v_cndmask_b32_e32 v27, v37, v27, vcc_lo
	v_cndmask_b32_e64 v8, v8, 0xffffff92, vcc_lo
	s_delay_alu instid0(VALU_DEP_3) | instskip(NEXT) | instid1(VALU_DEP_3)
	v_lshl_add_u32 v37, 0x200000, v36, -1
	v_lshrrev_b32_e32 v38, v36, v27
	v_lshlrev_b32_e64 v48, v36, 0x100000
	s_delay_alu instid0(VALU_DEP_4) | instskip(NEXT) | instid1(VALU_DEP_4)
	v_add_nc_u32_e32 v36, v36, v8
	v_and_b32_e32 v27, v37, v27
	s_delay_alu instid0(VALU_DEP_4) | instskip(NEXT) | instid1(VALU_DEP_2)
	v_bfe_u32 v39, v38, 21, 1
	v_cmp_eq_u32_e64 s14, v27, v48
	s_delay_alu instid0(VALU_DEP_2) | instskip(NEXT) | instid1(VALU_DEP_1)
	v_add_nc_u32_e32 v37, -1, v39
	v_cndmask_b32_e64 v27, 0, v37, s14
	v_lshrrev_b32_e32 v37, 23, v38
	s_mov_b32 s14, exec_lo
	s_delay_alu instid0(VALU_DEP_2) | instskip(NEXT) | instid1(VALU_DEP_2)
	v_add_nc_u32_e32 v27, v27, v38
	v_xor_b32_e32 v37, 1, v37
	s_delay_alu instid0(VALU_DEP_2) | instskip(NEXT) | instid1(VALU_DEP_1)
	v_and_b32_e32 v8, 0x1fffff, v27
	v_add_nc_u32_e32 v27, v8, v38
                                        ; implicit-def: $vgpr8
	s_delay_alu instid0(VALU_DEP_3)
	v_cmpx_ne_u32_e64 v36, v37
	s_xor_b32 s14, exec_lo, s14
; %bb.6100:                             ;   in Loop: Header=BB6_5840 Depth=4
	s_delay_alu instid0(VALU_DEP_2) | instskip(SKIP_2) | instid1(VALU_DEP_2)
	v_cmp_lt_u32_e32 vcc_lo, 0xffffff, v27
	v_sub_nc_u32_e32 v8, v36, v37
	v_cndmask_b32_e64 v36, 0, 1, vcc_lo
	v_add_co_ci_u32_e32 v8, vcc_lo, 0, v8, vcc_lo
	s_delay_alu instid0(VALU_DEP_2)
	v_lshrrev_b32_e32 v27, v36, v27
; %bb.6101:                             ;   in Loop: Header=BB6_5840 Depth=4
	s_and_not1_saveexec_b32 s14, s14
; %bb.6102:                             ;   in Loop: Header=BB6_5840 Depth=4
	s_delay_alu instid0(VALU_DEP_1)
	v_bfe_u32 v8, v27, 23, 1
; %bb.6103:                             ;   in Loop: Header=BB6_5840 Depth=4
	s_or_b32 exec_lo, exec_lo, s14
	v_lshrrev_b32_e32 v27, 21, v27
	s_delay_alu instid0(VALU_DEP_2) | instskip(SKIP_2) | instid1(VALU_DEP_2)
	v_cmp_gt_i32_e32 vcc_lo, 32, v8
	v_lshrrev_b32_e32 v26, 24, v26
	v_min_i32_e32 v36, 31, v8
	v_dual_cndmask_b32 v27, 3, v27 :: v_dual_and_b32 v26, 0x80, v26
	s_delay_alu instid0(VALU_DEP_2) | instskip(NEXT) | instid1(VALU_DEP_2)
	v_lshlrev_b32_e32 v36, 2, v36
	v_or_b32_e32 v8, v8, v27
	s_delay_alu instid0(VALU_DEP_1) | instskip(SKIP_1) | instid1(VALU_DEP_1)
	v_cmp_ne_u32_e32 vcc_lo, 0, v8
	v_and_b32_e32 v37, 3, v27
	v_or3_b32 v26, v36, v26, v37
	s_delay_alu instid0(VALU_DEP_1)
	v_cndmask_b32_e32 v8, 0, v26, vcc_lo
.LBB6_6104:                             ;   in Loop: Header=BB6_5840 Depth=4
	s_or_b32 exec_lo, exec_lo, s37
.LBB6_6105:                             ;   in Loop: Header=BB6_5840 Depth=4
	s_delay_alu instid0(SALU_CYCLE_1) | instskip(SKIP_3) | instid1(VALU_DEP_1)
	s_or_b32 exec_lo, exec_lo, s36
	v_or_b32_e32 v26, v161, v150
	s_mov_b32 s14, 0
	s_mov_b32 s37, exec_lo
                                        ; implicit-def: $sgpr36
	v_and_b32_e32 v36, 0xff, v26
	s_delay_alu instid0(VALU_DEP_1)
	v_cmpx_lt_i16_e32 0x7f, v36
	s_xor_b32 s37, exec_lo, s37
	s_cbranch_execnz .LBB6_6391
; %bb.6106:                             ;   in Loop: Header=BB6_5840 Depth=4
	s_or_saveexec_b32 s37, s37
	v_mov_b32_e32 v27, s36
	s_xor_b32 exec_lo, exec_lo, s37
	s_cbranch_execnz .LBB6_6394
.LBB6_6107:                             ;   in Loop: Header=BB6_5840 Depth=4
	s_or_b32 exec_lo, exec_lo, s37
	s_and_saveexec_b32 s36, s14
	s_cbranch_execz .LBB6_6109
.LBB6_6108:                             ;   in Loop: Header=BB6_5840 Depth=4
	v_bfe_u32 v38, v26, 2, 5
	v_lshlrev_b32_e32 v39, 24, v26
	s_delay_alu instid0(VALU_DEP_2) | instskip(SKIP_1) | instid1(VALU_DEP_1)
	v_cmp_eq_u32_e32 vcc_lo, 0, v38
	v_and_b32_e32 v27, 3, v26
	v_clz_i32_u32_e32 v36, v27
	s_delay_alu instid0(VALU_DEP_1) | instskip(NEXT) | instid1(VALU_DEP_1)
	v_min_u32_e32 v36, 32, v36
	v_subrev_nc_u32_e32 v37, 29, v36
	v_sub_nc_u32_e32 v36, 30, v36
	s_delay_alu instid0(VALU_DEP_1) | instskip(NEXT) | instid1(VALU_DEP_1)
	v_dual_cndmask_b32 v36, v38, v36 :: v_dual_lshlrev_b32 v37, v37, v26
	v_and_b32_e32 v37, 3, v37
	s_delay_alu instid0(VALU_DEP_2) | instskip(NEXT) | instid1(VALU_DEP_2)
	v_lshl_add_u32 v36, v36, 23, 0x37800000
	v_cndmask_b32_e32 v27, v27, v37, vcc_lo
	v_and_b32_e32 v37, 0x80000000, v39
	s_delay_alu instid0(VALU_DEP_2) | instskip(NEXT) | instid1(VALU_DEP_1)
	v_lshlrev_b32_e32 v27, 21, v27
	v_or3_b32 v27, v37, v36, v27
.LBB6_6109:                             ;   in Loop: Header=BB6_5840 Depth=4
	s_or_b32 exec_lo, exec_lo, s36
	v_and_b32_e32 v37, 0xff, v9
	s_mov_b32 s14, 0
	s_mov_b32 s37, exec_lo
                                        ; implicit-def: $sgpr36
	s_delay_alu instid0(VALU_DEP_1)
	v_cmpx_lt_i16_e32 0x7f, v37
	s_xor_b32 s37, exec_lo, s37
	s_cbranch_execnz .LBB6_6395
; %bb.6110:                             ;   in Loop: Header=BB6_5840 Depth=4
	s_or_saveexec_b32 s37, s37
	v_mov_b32_e32 v36, s36
	s_xor_b32 exec_lo, exec_lo, s37
	s_cbranch_execnz .LBB6_6398
.LBB6_6111:                             ;   in Loop: Header=BB6_5840 Depth=4
	s_or_b32 exec_lo, exec_lo, s37
	s_and_saveexec_b32 s36, s14
	s_cbranch_execz .LBB6_6113
.LBB6_6112:                             ;   in Loop: Header=BB6_5840 Depth=4
	v_and_b32_e32 v36, 3, v9
	v_bfe_u32 v39, v9, 2, 5
	v_lshlrev_b32_e32 v48, 24, v9
	s_delay_alu instid0(VALU_DEP_3) | instskip(NEXT) | instid1(VALU_DEP_3)
	v_clz_i32_u32_e32 v37, v36
	v_cmp_eq_u32_e32 vcc_lo, 0, v39
	s_delay_alu instid0(VALU_DEP_2) | instskip(NEXT) | instid1(VALU_DEP_1)
	v_min_u32_e32 v37, 32, v37
	v_subrev_nc_u32_e32 v38, 29, v37
	v_sub_nc_u32_e32 v37, 30, v37
	s_delay_alu instid0(VALU_DEP_2) | instskip(NEXT) | instid1(VALU_DEP_1)
	v_lshlrev_b32_e32 v38, v38, v9
	v_dual_cndmask_b32 v37, v39, v37 :: v_dual_and_b32 v38, 3, v38
	s_delay_alu instid0(VALU_DEP_1) | instskip(NEXT) | instid1(VALU_DEP_2)
	v_lshl_add_u32 v37, v37, 23, 0x37800000
	v_cndmask_b32_e32 v36, v36, v38, vcc_lo
	v_and_b32_e32 v38, 0x80000000, v48
	s_delay_alu instid0(VALU_DEP_2) | instskip(NEXT) | instid1(VALU_DEP_1)
	v_lshlrev_b32_e32 v36, 21, v36
	v_or3_b32 v36, v38, v37, v36
.LBB6_6113:                             ;   in Loop: Header=BB6_5840 Depth=4
	s_or_b32 exec_lo, exec_lo, s36
	s_delay_alu instid0(VALU_DEP_1) | instskip(SKIP_1) | instid1(VALU_DEP_1)
	v_dual_add_f32 v27, v27, v36 :: v_dual_mov_b32 v132, 0x80
	s_mov_b32 s36, exec_lo
	v_and_b32_e32 v36, 0x7f800000, v27
	s_delay_alu instid0(VALU_DEP_1)
	v_cmpx_ne_u32_e32 0x7f800000, v36
	s_cbranch_execz .LBB6_6121
; %bb.6114:                             ;   in Loop: Header=BB6_5840 Depth=4
	v_mov_b32_e32 v132, 0
	s_mov_b32 s37, exec_lo
	v_cmpx_ne_u32_e32 0, v27
	s_cbranch_execz .LBB6_6120
; %bb.6115:                             ;   in Loop: Header=BB6_5840 Depth=4
	v_bfe_u32 v36, v27, 23, 8
	s_delay_alu instid0(VALU_DEP_1) | instskip(SKIP_1) | instid1(VALU_DEP_2)
	v_sub_nc_u32_e32 v38, 0x70, v36
	v_cmp_gt_u32_e32 vcc_lo, 0x71, v36
	v_dual_cndmask_b32 v38, 0, v38 :: v_dual_and_b32 v37, 0x7fffff, v27
	s_delay_alu instid0(VALU_DEP_1) | instskip(SKIP_2) | instid1(VALU_DEP_4)
	v_or_b32_e32 v39, 0x800000, v37
	v_cmp_eq_u32_e32 vcc_lo, 0, v36
	v_add_nc_u32_e32 v36, 0xffffff91, v36
	v_cndmask_b32_e64 v38, v38, 0x6f, vcc_lo
	s_delay_alu instid0(VALU_DEP_4) | instskip(NEXT) | instid1(VALU_DEP_3)
	v_cndmask_b32_e32 v37, v39, v37, vcc_lo
	v_cndmask_b32_e64 v36, v36, 0xffffff92, vcc_lo
	s_delay_alu instid0(VALU_DEP_3) | instskip(NEXT) | instid1(VALU_DEP_3)
	v_lshl_add_u32 v39, 0x200000, v38, -1
	v_lshrrev_b32_e32 v48, v38, v37
	v_lshlrev_b32_e64 v50, v38, 0x100000
	s_delay_alu instid0(VALU_DEP_4) | instskip(NEXT) | instid1(VALU_DEP_4)
	v_add_nc_u32_e32 v38, v38, v36
	v_and_b32_e32 v37, v39, v37
	s_delay_alu instid0(VALU_DEP_4) | instskip(NEXT) | instid1(VALU_DEP_2)
	v_bfe_u32 v49, v48, 21, 1
	v_cmp_eq_u32_e64 s14, v37, v50
	s_delay_alu instid0(VALU_DEP_2) | instskip(NEXT) | instid1(VALU_DEP_1)
	v_add_nc_u32_e32 v39, -1, v49
	v_cndmask_b32_e64 v37, 0, v39, s14
	v_lshrrev_b32_e32 v39, 23, v48
	s_mov_b32 s14, exec_lo
	s_delay_alu instid0(VALU_DEP_2) | instskip(NEXT) | instid1(VALU_DEP_2)
	v_add_nc_u32_e32 v37, v37, v48
	v_xor_b32_e32 v39, 1, v39
	s_delay_alu instid0(VALU_DEP_2) | instskip(NEXT) | instid1(VALU_DEP_1)
	v_and_b32_e32 v36, 0x1fffff, v37
	v_add_nc_u32_e32 v37, v36, v48
                                        ; implicit-def: $vgpr36
	s_delay_alu instid0(VALU_DEP_3)
	v_cmpx_ne_u32_e64 v38, v39
	s_xor_b32 s14, exec_lo, s14
; %bb.6116:                             ;   in Loop: Header=BB6_5840 Depth=4
	s_delay_alu instid0(VALU_DEP_2) | instskip(SKIP_2) | instid1(VALU_DEP_2)
	v_cmp_lt_u32_e32 vcc_lo, 0xffffff, v37
	v_sub_nc_u32_e32 v36, v38, v39
	v_cndmask_b32_e64 v38, 0, 1, vcc_lo
	v_add_co_ci_u32_e32 v36, vcc_lo, 0, v36, vcc_lo
	s_delay_alu instid0(VALU_DEP_2)
	v_lshrrev_b32_e32 v37, v38, v37
; %bb.6117:                             ;   in Loop: Header=BB6_5840 Depth=4
	s_and_not1_saveexec_b32 s14, s14
; %bb.6118:                             ;   in Loop: Header=BB6_5840 Depth=4
	s_delay_alu instid0(VALU_DEP_1)
	v_bfe_u32 v36, v37, 23, 1
; %bb.6119:                             ;   in Loop: Header=BB6_5840 Depth=4
	s_or_b32 exec_lo, exec_lo, s14
	v_lshrrev_b32_e32 v37, 21, v37
	s_delay_alu instid0(VALU_DEP_2) | instskip(SKIP_2) | instid1(VALU_DEP_2)
	v_cmp_gt_i32_e32 vcc_lo, 32, v36
	v_min_i32_e32 v38, 31, v36
	v_lshrrev_b32_e32 v27, 24, v27
	v_dual_cndmask_b32 v37, 3, v37 :: v_dual_lshlrev_b32 v38, 2, v38
	s_delay_alu instid0(VALU_DEP_2) | instskip(NEXT) | instid1(VALU_DEP_2)
	v_and_b32_e32 v27, 0x80, v27
	v_or_b32_e32 v36, v36, v37
	s_delay_alu instid0(VALU_DEP_1) | instskip(SKIP_1) | instid1(VALU_DEP_1)
	v_cmp_ne_u32_e32 vcc_lo, 0, v36
	v_and_b32_e32 v39, 3, v37
	v_or3_b32 v27, v38, v27, v39
	s_delay_alu instid0(VALU_DEP_1)
	v_cndmask_b32_e32 v132, 0, v27, vcc_lo
.LBB6_6120:                             ;   in Loop: Header=BB6_5840 Depth=4
	s_or_b32 exec_lo, exec_lo, s37
.LBB6_6121:                             ;   in Loop: Header=BB6_5840 Depth=4
	s_delay_alu instid0(SALU_CYCLE_1) | instskip(SKIP_3) | instid1(VALU_DEP_1)
	s_or_b32 exec_lo, exec_lo, s36
	v_lshrrev_b16 v36, 8, v26
	s_mov_b32 s14, 0
	s_mov_b32 s37, exec_lo
                                        ; implicit-def: $sgpr36
	v_cmpx_lt_i16_e32 0x7f, v36
	s_xor_b32 s37, exec_lo, s37
	s_cbranch_execnz .LBB6_6399
; %bb.6122:                             ;   in Loop: Header=BB6_5840 Depth=4
	s_or_saveexec_b32 s37, s37
	v_mov_b32_e32 v27, s36
	s_xor_b32 exec_lo, exec_lo, s37
	s_cbranch_execnz .LBB6_6402
.LBB6_6123:                             ;   in Loop: Header=BB6_5840 Depth=4
	s_or_b32 exec_lo, exec_lo, s37
	s_and_saveexec_b32 s36, s14
	s_cbranch_execz .LBB6_6125
.LBB6_6124:                             ;   in Loop: Header=BB6_5840 Depth=4
	v_and_b32_e32 v27, 0xffff, v36
	s_delay_alu instid0(VALU_DEP_1) | instskip(NEXT) | instid1(VALU_DEP_1)
	v_and_b32_e32 v37, 3, v27
	v_clz_i32_u32_e32 v38, v37
	s_delay_alu instid0(VALU_DEP_1) | instskip(NEXT) | instid1(VALU_DEP_1)
	v_min_u32_e32 v38, 32, v38
	v_subrev_nc_u32_e32 v39, 29, v38
	v_sub_nc_u32_e32 v38, 30, v38
	s_delay_alu instid0(VALU_DEP_2) | instskip(SKIP_1) | instid1(VALU_DEP_2)
	v_lshlrev_b32_e32 v39, v39, v27
	v_bfe_u32 v27, v27, 2, 5
	v_and_b32_e32 v39, 3, v39
	s_delay_alu instid0(VALU_DEP_2) | instskip(SKIP_1) | instid1(VALU_DEP_1)
	v_cmp_eq_u32_e32 vcc_lo, 0, v27
	v_dual_cndmask_b32 v27, v27, v38 :: v_dual_lshlrev_b32 v36, 24, v36
	v_dual_cndmask_b32 v37, v37, v39 :: v_dual_and_b32 v36, 0x80000000, v36
	s_delay_alu instid0(VALU_DEP_2) | instskip(NEXT) | instid1(VALU_DEP_2)
	v_lshl_add_u32 v27, v27, 23, 0x37800000
	v_lshlrev_b32_e32 v37, 21, v37
	s_delay_alu instid0(VALU_DEP_1)
	v_or3_b32 v27, v36, v27, v37
.LBB6_6125:                             ;   in Loop: Header=BB6_5840 Depth=4
	s_or_b32 exec_lo, exec_lo, s36
	v_lshrrev_b16 v36, 8, v9
	s_mov_b32 s14, 0
	s_mov_b32 s37, exec_lo
                                        ; implicit-def: $sgpr36
	s_delay_alu instid0(VALU_DEP_1)
	v_cmpx_lt_i16_e32 0x7f, v36
	s_xor_b32 s37, exec_lo, s37
	s_cbranch_execnz .LBB6_6403
; %bb.6126:                             ;   in Loop: Header=BB6_5840 Depth=4
	s_or_saveexec_b32 s37, s37
	v_mov_b32_e32 v37, s36
	s_xor_b32 exec_lo, exec_lo, s37
	s_cbranch_execnz .LBB6_6406
.LBB6_6127:                             ;   in Loop: Header=BB6_5840 Depth=4
	s_or_b32 exec_lo, exec_lo, s37
	s_and_saveexec_b32 s36, s14
	s_cbranch_execz .LBB6_6129
.LBB6_6128:                             ;   in Loop: Header=BB6_5840 Depth=4
	v_and_b32_e32 v37, 0xffff, v36
	v_lshlrev_b32_e32 v36, 24, v36
	s_delay_alu instid0(VALU_DEP_2) | instskip(NEXT) | instid1(VALU_DEP_2)
	v_and_b32_e32 v38, 3, v37
	v_and_b32_e32 v36, 0x80000000, v36
	s_delay_alu instid0(VALU_DEP_2) | instskip(NEXT) | instid1(VALU_DEP_1)
	v_clz_i32_u32_e32 v39, v38
	v_min_u32_e32 v39, 32, v39
	s_delay_alu instid0(VALU_DEP_1) | instskip(SKIP_1) | instid1(VALU_DEP_2)
	v_subrev_nc_u32_e32 v48, 29, v39
	v_sub_nc_u32_e32 v39, 30, v39
	v_lshlrev_b32_e32 v48, v48, v37
	v_bfe_u32 v37, v37, 2, 5
	s_delay_alu instid0(VALU_DEP_2) | instskip(NEXT) | instid1(VALU_DEP_2)
	v_and_b32_e32 v48, 3, v48
	v_cmp_eq_u32_e32 vcc_lo, 0, v37
	s_delay_alu instid0(VALU_DEP_2) | instskip(NEXT) | instid1(VALU_DEP_1)
	v_dual_cndmask_b32 v37, v37, v39 :: v_dual_cndmask_b32 v38, v38, v48
	v_lshl_add_u32 v37, v37, 23, 0x37800000
	s_delay_alu instid0(VALU_DEP_2) | instskip(NEXT) | instid1(VALU_DEP_1)
	v_lshlrev_b32_e32 v38, 21, v38
	v_or3_b32 v37, v36, v37, v38
.LBB6_6129:                             ;   in Loop: Header=BB6_5840 Depth=4
	s_or_b32 exec_lo, exec_lo, s36
	s_delay_alu instid0(VALU_DEP_1) | instskip(SKIP_2) | instid1(VALU_DEP_2)
	v_add_f32_e32 v27, v27, v37
	v_mov_b32_e32 v115, 0x8000
	s_mov_b32 s36, exec_lo
	v_and_b32_e32 v36, 0x7f800000, v27
	s_delay_alu instid0(VALU_DEP_1)
	v_cmpx_ne_u32_e32 0x7f800000, v36
	s_cbranch_execz .LBB6_6137
; %bb.6130:                             ;   in Loop: Header=BB6_5840 Depth=4
	v_mov_b32_e32 v115, 0
	s_mov_b32 s37, exec_lo
	v_cmpx_ne_u32_e32 0, v27
	s_cbranch_execz .LBB6_6136
; %bb.6131:                             ;   in Loop: Header=BB6_5840 Depth=4
	v_bfe_u32 v36, v27, 23, 8
	s_delay_alu instid0(VALU_DEP_1) | instskip(SKIP_1) | instid1(VALU_DEP_2)
	v_sub_nc_u32_e32 v38, 0x70, v36
	v_cmp_gt_u32_e32 vcc_lo, 0x71, v36
	v_dual_cndmask_b32 v38, 0, v38 :: v_dual_and_b32 v37, 0x7fffff, v27
	s_delay_alu instid0(VALU_DEP_1) | instskip(SKIP_2) | instid1(VALU_DEP_4)
	v_or_b32_e32 v39, 0x800000, v37
	v_cmp_eq_u32_e32 vcc_lo, 0, v36
	v_add_nc_u32_e32 v36, 0xffffff91, v36
	v_cndmask_b32_e64 v38, v38, 0x6f, vcc_lo
	s_delay_alu instid0(VALU_DEP_4) | instskip(NEXT) | instid1(VALU_DEP_3)
	v_cndmask_b32_e32 v37, v39, v37, vcc_lo
	v_cndmask_b32_e64 v36, v36, 0xffffff92, vcc_lo
	s_delay_alu instid0(VALU_DEP_3) | instskip(NEXT) | instid1(VALU_DEP_3)
	v_lshl_add_u32 v39, 0x200000, v38, -1
	v_lshrrev_b32_e32 v48, v38, v37
	v_lshlrev_b32_e64 v50, v38, 0x100000
	s_delay_alu instid0(VALU_DEP_4) | instskip(NEXT) | instid1(VALU_DEP_4)
	v_add_nc_u32_e32 v38, v38, v36
	v_and_b32_e32 v37, v39, v37
	s_delay_alu instid0(VALU_DEP_4) | instskip(NEXT) | instid1(VALU_DEP_2)
	v_bfe_u32 v49, v48, 21, 1
	v_cmp_eq_u32_e64 s14, v37, v50
	s_delay_alu instid0(VALU_DEP_2) | instskip(NEXT) | instid1(VALU_DEP_1)
	v_add_nc_u32_e32 v39, -1, v49
	v_cndmask_b32_e64 v37, 0, v39, s14
	v_lshrrev_b32_e32 v39, 23, v48
	s_mov_b32 s14, exec_lo
	s_delay_alu instid0(VALU_DEP_2) | instskip(NEXT) | instid1(VALU_DEP_2)
	v_add_nc_u32_e32 v37, v37, v48
	v_xor_b32_e32 v39, 1, v39
	s_delay_alu instid0(VALU_DEP_2) | instskip(NEXT) | instid1(VALU_DEP_1)
	v_and_b32_e32 v36, 0x1fffff, v37
	v_add_nc_u32_e32 v37, v36, v48
                                        ; implicit-def: $vgpr36
	s_delay_alu instid0(VALU_DEP_3)
	v_cmpx_ne_u32_e64 v38, v39
	s_xor_b32 s14, exec_lo, s14
; %bb.6132:                             ;   in Loop: Header=BB6_5840 Depth=4
	s_delay_alu instid0(VALU_DEP_2) | instskip(SKIP_2) | instid1(VALU_DEP_2)
	v_cmp_lt_u32_e32 vcc_lo, 0xffffff, v37
	v_sub_nc_u32_e32 v36, v38, v39
	v_cndmask_b32_e64 v38, 0, 1, vcc_lo
	v_add_co_ci_u32_e32 v36, vcc_lo, 0, v36, vcc_lo
	s_delay_alu instid0(VALU_DEP_2)
	v_lshrrev_b32_e32 v37, v38, v37
; %bb.6133:                             ;   in Loop: Header=BB6_5840 Depth=4
	s_and_not1_saveexec_b32 s14, s14
; %bb.6134:                             ;   in Loop: Header=BB6_5840 Depth=4
	s_delay_alu instid0(VALU_DEP_1)
	v_bfe_u32 v36, v37, 23, 1
; %bb.6135:                             ;   in Loop: Header=BB6_5840 Depth=4
	s_or_b32 exec_lo, exec_lo, s14
	v_lshrrev_b32_e32 v37, 21, v37
	s_delay_alu instid0(VALU_DEP_2) | instskip(SKIP_2) | instid1(VALU_DEP_2)
	v_cmp_gt_i32_e32 vcc_lo, 32, v36
	v_min_i32_e32 v38, 31, v36
	v_lshrrev_b32_e32 v27, 24, v27
	v_dual_cndmask_b32 v37, 3, v37 :: v_dual_lshlrev_b32 v38, 2, v38
	s_delay_alu instid0(VALU_DEP_2) | instskip(NEXT) | instid1(VALU_DEP_2)
	v_and_b32_e32 v27, 0x80, v27
	v_or_b32_e32 v36, v36, v37
	v_and_b32_e32 v39, 3, v37
	s_delay_alu instid0(VALU_DEP_2) | instskip(SKIP_1) | instid1(VALU_DEP_1)
	v_cmp_ne_u32_e32 vcc_lo, 0, v36
	v_and_b32_e32 v38, 0xfc, v38
	v_or3_b32 v27, v27, v38, v39
	s_delay_alu instid0(VALU_DEP_1) | instskip(NEXT) | instid1(VALU_DEP_1)
	v_lshlrev_b32_e32 v27, 8, v27
	v_cndmask_b32_e32 v115, 0, v27, vcc_lo
.LBB6_6136:                             ;   in Loop: Header=BB6_5840 Depth=4
	s_or_b32 exec_lo, exec_lo, s37
.LBB6_6137:                             ;   in Loop: Header=BB6_5840 Depth=4
	s_delay_alu instid0(SALU_CYCLE_1) | instskip(SKIP_3) | instid1(VALU_DEP_1)
	s_or_b32 exec_lo, exec_lo, s36
	v_or_b32_e32 v36, v160, v129
	s_mov_b32 s14, 0
	s_mov_b32 s37, exec_lo
                                        ; implicit-def: $sgpr36
	v_and_b32_e32 v37, 0xff, v36
	s_delay_alu instid0(VALU_DEP_1)
	v_cmpx_lt_i16_e32 0x7f, v37
	s_xor_b32 s37, exec_lo, s37
	s_cbranch_execnz .LBB6_6407
; %bb.6138:                             ;   in Loop: Header=BB6_5840 Depth=4
	s_or_saveexec_b32 s37, s37
	v_mov_b32_e32 v27, s36
	s_xor_b32 exec_lo, exec_lo, s37
	s_cbranch_execnz .LBB6_6410
.LBB6_6139:                             ;   in Loop: Header=BB6_5840 Depth=4
	s_or_b32 exec_lo, exec_lo, s37
	v_lshl_or_b32 v26, v36, 16, v26
	s_and_saveexec_b32 s36, s14
	s_cbranch_execz .LBB6_6141
.LBB6_6140:                             ;   in Loop: Header=BB6_5840 Depth=4
	s_delay_alu instid0(VALU_DEP_1) | instskip(SKIP_2) | instid1(VALU_DEP_3)
	v_bfe_u32 v27, v26, 16, 2
	v_lshrrev_b32_e32 v37, 16, v26
	v_lshlrev_b32_e32 v39, 8, v26
	v_clz_i32_u32_e32 v36, v27
	s_delay_alu instid0(VALU_DEP_1) | instskip(NEXT) | instid1(VALU_DEP_1)
	v_min_u32_e32 v36, 32, v36
	v_subrev_nc_u32_e32 v38, 29, v36
	v_sub_nc_u32_e32 v36, 30, v36
	s_delay_alu instid0(VALU_DEP_2) | instskip(SKIP_1) | instid1(VALU_DEP_1)
	v_lshlrev_b32_e32 v37, v38, v37
	v_bfe_u32 v38, v26, 18, 5
	v_cmp_eq_u32_e32 vcc_lo, 0, v38
	s_delay_alu instid0(VALU_DEP_3) | instskip(NEXT) | instid1(VALU_DEP_1)
	v_dual_cndmask_b32 v36, v38, v36 :: v_dual_and_b32 v37, 3, v37
	v_cndmask_b32_e32 v27, v27, v37, vcc_lo
	v_and_b32_e32 v37, 0x80000000, v39
	s_delay_alu instid0(VALU_DEP_3) | instskip(NEXT) | instid1(VALU_DEP_3)
	v_lshl_add_u32 v36, v36, 23, 0x37800000
	v_lshlrev_b32_e32 v27, 21, v27
	s_delay_alu instid0(VALU_DEP_1)
	v_or3_b32 v27, v37, v36, v27
.LBB6_6141:                             ;   in Loop: Header=BB6_5840 Depth=4
	s_or_b32 exec_lo, exec_lo, s36
	v_lshrrev_b32_e32 v36, 16, v9
	s_mov_b32 s14, 0
	s_mov_b32 s37, exec_lo
                                        ; implicit-def: $sgpr36
	s_delay_alu instid0(VALU_DEP_1) | instskip(NEXT) | instid1(VALU_DEP_1)
	v_and_b32_e32 v38, 0xff, v36
	v_cmpx_lt_i16_e32 0x7f, v38
	s_xor_b32 s37, exec_lo, s37
	s_cbranch_execnz .LBB6_6411
; %bb.6142:                             ;   in Loop: Header=BB6_5840 Depth=4
	s_or_saveexec_b32 s37, s37
	v_mov_b32_e32 v37, s36
	s_xor_b32 exec_lo, exec_lo, s37
	s_cbranch_execnz .LBB6_6414
.LBB6_6143:                             ;   in Loop: Header=BB6_5840 Depth=4
	s_or_b32 exec_lo, exec_lo, s37
	s_and_saveexec_b32 s36, s14
	s_cbranch_execz .LBB6_6145
.LBB6_6144:                             ;   in Loop: Header=BB6_5840 Depth=4
	v_bfe_u32 v37, v9, 16, 2
	v_lshlrev_b32_e32 v48, 8, v9
	s_delay_alu instid0(VALU_DEP_2) | instskip(NEXT) | instid1(VALU_DEP_1)
	v_clz_i32_u32_e32 v38, v37
	v_min_u32_e32 v38, 32, v38
	s_delay_alu instid0(VALU_DEP_1) | instskip(SKIP_1) | instid1(VALU_DEP_2)
	v_subrev_nc_u32_e32 v39, 29, v38
	v_sub_nc_u32_e32 v38, 30, v38
	v_lshlrev_b32_e32 v36, v39, v36
	v_bfe_u32 v39, v9, 18, 5
	s_delay_alu instid0(VALU_DEP_2) | instskip(NEXT) | instid1(VALU_DEP_2)
	v_and_b32_e32 v36, 3, v36
	v_cmp_eq_u32_e32 vcc_lo, 0, v39
	v_cndmask_b32_e32 v38, v39, v38, vcc_lo
	s_delay_alu instid0(VALU_DEP_3) | instskip(SKIP_1) | instid1(VALU_DEP_3)
	v_cndmask_b32_e32 v36, v37, v36, vcc_lo
	v_and_b32_e32 v37, 0x80000000, v48
	v_lshl_add_u32 v38, v38, 23, 0x37800000
	s_delay_alu instid0(VALU_DEP_3) | instskip(NEXT) | instid1(VALU_DEP_1)
	v_lshlrev_b32_e32 v36, 21, v36
	v_or3_b32 v37, v37, v38, v36
.LBB6_6145:                             ;   in Loop: Header=BB6_5840 Depth=4
	s_or_b32 exec_lo, exec_lo, s36
	s_delay_alu instid0(VALU_DEP_1) | instskip(SKIP_2) | instid1(VALU_DEP_2)
	v_add_f32_e32 v27, v27, v37
	v_mov_b32_e32 v129, 0x80
	s_mov_b32 s36, exec_lo
	v_and_b32_e32 v36, 0x7f800000, v27
	s_delay_alu instid0(VALU_DEP_1)
	v_cmpx_ne_u32_e32 0x7f800000, v36
	s_cbranch_execz .LBB6_6153
; %bb.6146:                             ;   in Loop: Header=BB6_5840 Depth=4
	v_mov_b32_e32 v129, 0
	s_mov_b32 s37, exec_lo
	v_cmpx_ne_u32_e32 0, v27
	s_cbranch_execz .LBB6_6152
; %bb.6147:                             ;   in Loop: Header=BB6_5840 Depth=4
	v_bfe_u32 v36, v27, 23, 8
	s_delay_alu instid0(VALU_DEP_1) | instskip(SKIP_1) | instid1(VALU_DEP_2)
	v_sub_nc_u32_e32 v38, 0x70, v36
	v_cmp_gt_u32_e32 vcc_lo, 0x71, v36
	v_dual_cndmask_b32 v38, 0, v38 :: v_dual_and_b32 v37, 0x7fffff, v27
	s_delay_alu instid0(VALU_DEP_1) | instskip(SKIP_2) | instid1(VALU_DEP_4)
	v_or_b32_e32 v39, 0x800000, v37
	v_cmp_eq_u32_e32 vcc_lo, 0, v36
	v_add_nc_u32_e32 v36, 0xffffff91, v36
	v_cndmask_b32_e64 v38, v38, 0x6f, vcc_lo
	s_delay_alu instid0(VALU_DEP_4) | instskip(NEXT) | instid1(VALU_DEP_3)
	v_cndmask_b32_e32 v37, v39, v37, vcc_lo
	v_cndmask_b32_e64 v36, v36, 0xffffff92, vcc_lo
	s_delay_alu instid0(VALU_DEP_3) | instskip(NEXT) | instid1(VALU_DEP_3)
	v_lshl_add_u32 v39, 0x200000, v38, -1
	v_lshrrev_b32_e32 v48, v38, v37
	v_lshlrev_b32_e64 v50, v38, 0x100000
	s_delay_alu instid0(VALU_DEP_4) | instskip(NEXT) | instid1(VALU_DEP_4)
	v_add_nc_u32_e32 v38, v38, v36
	v_and_b32_e32 v37, v39, v37
	s_delay_alu instid0(VALU_DEP_4) | instskip(NEXT) | instid1(VALU_DEP_2)
	v_bfe_u32 v49, v48, 21, 1
	v_cmp_eq_u32_e64 s14, v37, v50
	s_delay_alu instid0(VALU_DEP_2) | instskip(NEXT) | instid1(VALU_DEP_1)
	v_add_nc_u32_e32 v39, -1, v49
	v_cndmask_b32_e64 v37, 0, v39, s14
	v_lshrrev_b32_e32 v39, 23, v48
	s_mov_b32 s14, exec_lo
	s_delay_alu instid0(VALU_DEP_2) | instskip(NEXT) | instid1(VALU_DEP_2)
	v_add_nc_u32_e32 v37, v37, v48
	v_xor_b32_e32 v39, 1, v39
	s_delay_alu instid0(VALU_DEP_2) | instskip(NEXT) | instid1(VALU_DEP_1)
	v_and_b32_e32 v36, 0x1fffff, v37
	v_add_nc_u32_e32 v37, v36, v48
                                        ; implicit-def: $vgpr36
	s_delay_alu instid0(VALU_DEP_3)
	v_cmpx_ne_u32_e64 v38, v39
	s_xor_b32 s14, exec_lo, s14
; %bb.6148:                             ;   in Loop: Header=BB6_5840 Depth=4
	s_delay_alu instid0(VALU_DEP_2) | instskip(SKIP_2) | instid1(VALU_DEP_2)
	v_cmp_lt_u32_e32 vcc_lo, 0xffffff, v37
	v_sub_nc_u32_e32 v36, v38, v39
	v_cndmask_b32_e64 v38, 0, 1, vcc_lo
	v_add_co_ci_u32_e32 v36, vcc_lo, 0, v36, vcc_lo
	s_delay_alu instid0(VALU_DEP_2)
	v_lshrrev_b32_e32 v37, v38, v37
; %bb.6149:                             ;   in Loop: Header=BB6_5840 Depth=4
	s_and_not1_saveexec_b32 s14, s14
; %bb.6150:                             ;   in Loop: Header=BB6_5840 Depth=4
	s_delay_alu instid0(VALU_DEP_1)
	v_bfe_u32 v36, v37, 23, 1
; %bb.6151:                             ;   in Loop: Header=BB6_5840 Depth=4
	s_or_b32 exec_lo, exec_lo, s14
	v_lshrrev_b32_e32 v37, 21, v37
	s_delay_alu instid0(VALU_DEP_2) | instskip(SKIP_2) | instid1(VALU_DEP_2)
	v_cmp_gt_i32_e32 vcc_lo, 32, v36
	v_min_i32_e32 v38, 31, v36
	v_lshrrev_b32_e32 v27, 24, v27
	v_dual_cndmask_b32 v37, 3, v37 :: v_dual_lshlrev_b32 v38, 2, v38
	s_delay_alu instid0(VALU_DEP_2) | instskip(NEXT) | instid1(VALU_DEP_2)
	v_and_b32_e32 v27, 0x80, v27
	v_or_b32_e32 v36, v36, v37
	v_and_b32_e32 v39, 3, v37
	s_delay_alu instid0(VALU_DEP_2) | instskip(SKIP_1) | instid1(VALU_DEP_1)
	v_cmp_ne_u32_e32 vcc_lo, 0, v36
	v_and_b32_e32 v38, 0xfc, v38
	v_or3_b32 v27, v38, v27, v39
	s_delay_alu instid0(VALU_DEP_1)
	v_cndmask_b32_e32 v129, 0, v27, vcc_lo
.LBB6_6152:                             ;   in Loop: Header=BB6_5840 Depth=4
	s_or_b32 exec_lo, exec_lo, s37
.LBB6_6153:                             ;   in Loop: Header=BB6_5840 Depth=4
	s_delay_alu instid0(SALU_CYCLE_1) | instskip(SKIP_3) | instid1(VALU_DEP_1)
	s_or_b32 exec_lo, exec_lo, s36
	v_lshrrev_b32_e32 v36, 24, v26
	s_mov_b32 s14, 0
	s_mov_b32 s37, exec_lo
                                        ; implicit-def: $sgpr36
	v_cmpx_lt_i16_e32 0x7f, v36
	s_xor_b32 s37, exec_lo, s37
	s_cbranch_execnz .LBB6_6415
; %bb.6154:                             ;   in Loop: Header=BB6_5840 Depth=4
	s_or_saveexec_b32 s37, s37
	v_mov_b32_e32 v27, s36
	s_xor_b32 exec_lo, exec_lo, s37
	s_cbranch_execnz .LBB6_6418
.LBB6_6155:                             ;   in Loop: Header=BB6_5840 Depth=4
	s_or_b32 exec_lo, exec_lo, s37
	s_and_saveexec_b32 s36, s14
	s_cbranch_execz .LBB6_6157
.LBB6_6156:                             ;   in Loop: Header=BB6_5840 Depth=4
	v_bfe_u32 v27, v26, 24, 2
	s_delay_alu instid0(VALU_DEP_1) | instskip(NEXT) | instid1(VALU_DEP_1)
	v_clz_i32_u32_e32 v37, v27
	v_min_u32_e32 v37, 32, v37
	s_delay_alu instid0(VALU_DEP_1) | instskip(SKIP_1) | instid1(VALU_DEP_2)
	v_subrev_nc_u32_e32 v38, 29, v37
	v_sub_nc_u32_e32 v37, 30, v37
	v_lshlrev_b32_e32 v36, v38, v36
	v_bfe_u32 v38, v26, 26, 5
	v_and_b32_e32 v26, 0x80000000, v26
	s_delay_alu instid0(VALU_DEP_2) | instskip(NEXT) | instid1(VALU_DEP_4)
	v_cmp_eq_u32_e32 vcc_lo, 0, v38
	v_dual_cndmask_b32 v37, v38, v37 :: v_dual_and_b32 v36, 3, v36
	s_delay_alu instid0(VALU_DEP_1) | instskip(NEXT) | instid1(VALU_DEP_2)
	v_cndmask_b32_e32 v27, v27, v36, vcc_lo
	v_lshl_add_u32 v36, v37, 23, 0x37800000
	s_delay_alu instid0(VALU_DEP_2) | instskip(NEXT) | instid1(VALU_DEP_1)
	v_lshlrev_b32_e32 v27, 21, v27
	v_or3_b32 v27, v26, v36, v27
.LBB6_6157:                             ;   in Loop: Header=BB6_5840 Depth=4
	s_or_b32 exec_lo, exec_lo, s36
	v_lshrrev_b32_e32 v26, 24, v9
	s_mov_b32 s14, 0
	s_mov_b32 s37, exec_lo
                                        ; implicit-def: $sgpr36
	s_delay_alu instid0(VALU_DEP_1)
	v_cmpx_lt_i16_e32 0x7f, v26
	s_xor_b32 s37, exec_lo, s37
	s_cbranch_execnz .LBB6_6419
; %bb.6158:                             ;   in Loop: Header=BB6_5840 Depth=4
	s_or_saveexec_b32 s37, s37
	v_mov_b32_e32 v36, s36
	s_xor_b32 exec_lo, exec_lo, s37
	s_cbranch_execnz .LBB6_6422
.LBB6_6159:                             ;   in Loop: Header=BB6_5840 Depth=4
	s_or_b32 exec_lo, exec_lo, s37
	s_and_saveexec_b32 s36, s14
	s_cbranch_execz .LBB6_6161
.LBB6_6160:                             ;   in Loop: Header=BB6_5840 Depth=4
	v_bfe_u32 v36, v9, 24, 2
	s_delay_alu instid0(VALU_DEP_1) | instskip(NEXT) | instid1(VALU_DEP_1)
	v_clz_i32_u32_e32 v37, v36
	v_min_u32_e32 v37, 32, v37
	s_delay_alu instid0(VALU_DEP_1) | instskip(SKIP_1) | instid1(VALU_DEP_2)
	v_subrev_nc_u32_e32 v38, 29, v37
	v_sub_nc_u32_e32 v37, 30, v37
	v_lshlrev_b32_e32 v26, v38, v26
	v_bfe_u32 v38, v9, 26, 5
	v_and_b32_e32 v9, 0x80000000, v9
	s_delay_alu instid0(VALU_DEP_2) | instskip(NEXT) | instid1(VALU_DEP_4)
	v_cmp_eq_u32_e32 vcc_lo, 0, v38
	v_dual_cndmask_b32 v37, v38, v37 :: v_dual_and_b32 v26, 3, v26
	s_delay_alu instid0(VALU_DEP_1) | instskip(NEXT) | instid1(VALU_DEP_2)
	v_cndmask_b32_e32 v26, v36, v26, vcc_lo
	v_lshl_add_u32 v36, v37, 23, 0x37800000
	s_delay_alu instid0(VALU_DEP_2) | instskip(NEXT) | instid1(VALU_DEP_1)
	v_lshlrev_b32_e32 v26, 21, v26
	v_or3_b32 v36, v9, v36, v26
.LBB6_6161:                             ;   in Loop: Header=BB6_5840 Depth=4
	s_or_b32 exec_lo, exec_lo, s36
	s_delay_alu instid0(VALU_DEP_1) | instskip(NEXT) | instid1(VALU_DEP_1)
	v_add_f32_e32 v26, v27, v36
	v_and_b32_e32 v9, 0x7f800000, v26
	s_delay_alu instid0(VALU_DEP_1)
	v_cmp_ne_u32_e32 vcc_lo, 0x7f800000, v9
	v_mov_b32_e32 v9, 0x8000
	s_and_saveexec_b32 s36, vcc_lo
	s_cbranch_execz .LBB6_6169
; %bb.6162:                             ;   in Loop: Header=BB6_5840 Depth=4
	v_mov_b32_e32 v9, 0
	s_mov_b32 s37, exec_lo
	v_cmpx_ne_u32_e32 0, v26
	s_cbranch_execz .LBB6_6168
; %bb.6163:                             ;   in Loop: Header=BB6_5840 Depth=4
	v_bfe_u32 v9, v26, 23, 8
	s_delay_alu instid0(VALU_DEP_1) | instskip(SKIP_1) | instid1(VALU_DEP_2)
	v_sub_nc_u32_e32 v36, 0x70, v9
	v_cmp_gt_u32_e32 vcc_lo, 0x71, v9
	v_dual_cndmask_b32 v36, 0, v36 :: v_dual_and_b32 v27, 0x7fffff, v26
	s_delay_alu instid0(VALU_DEP_1) | instskip(SKIP_2) | instid1(VALU_DEP_4)
	v_or_b32_e32 v37, 0x800000, v27
	v_cmp_eq_u32_e32 vcc_lo, 0, v9
	v_add_nc_u32_e32 v9, 0xffffff91, v9
	v_cndmask_b32_e64 v36, v36, 0x6f, vcc_lo
	s_delay_alu instid0(VALU_DEP_2) | instskip(SKIP_1) | instid1(VALU_DEP_3)
	v_cndmask_b32_e64 v9, v9, 0xffffff92, vcc_lo
	v_cndmask_b32_e32 v27, v37, v27, vcc_lo
	v_lshl_add_u32 v37, 0x200000, v36, -1
	v_lshlrev_b32_e64 v48, v36, 0x100000
	s_delay_alu instid0(VALU_DEP_3) | instskip(SKIP_1) | instid1(VALU_DEP_4)
	v_lshrrev_b32_e32 v38, v36, v27
	v_add_nc_u32_e32 v36, v36, v9
	v_and_b32_e32 v27, v37, v27
	s_delay_alu instid0(VALU_DEP_3) | instskip(NEXT) | instid1(VALU_DEP_2)
	v_bfe_u32 v39, v38, 21, 1
	v_cmp_eq_u32_e64 s14, v27, v48
	s_delay_alu instid0(VALU_DEP_2) | instskip(NEXT) | instid1(VALU_DEP_1)
	v_add_nc_u32_e32 v37, -1, v39
	v_cndmask_b32_e64 v27, 0, v37, s14
	v_lshrrev_b32_e32 v37, 23, v38
	s_mov_b32 s14, exec_lo
	s_delay_alu instid0(VALU_DEP_2) | instskip(NEXT) | instid1(VALU_DEP_2)
	v_add_nc_u32_e32 v27, v27, v38
	v_xor_b32_e32 v37, 1, v37
	s_delay_alu instid0(VALU_DEP_2) | instskip(NEXT) | instid1(VALU_DEP_1)
	v_and_b32_e32 v9, 0x1fffff, v27
	v_add_nc_u32_e32 v27, v9, v38
                                        ; implicit-def: $vgpr9
	s_delay_alu instid0(VALU_DEP_3)
	v_cmpx_ne_u32_e64 v36, v37
	s_xor_b32 s14, exec_lo, s14
; %bb.6164:                             ;   in Loop: Header=BB6_5840 Depth=4
	s_delay_alu instid0(VALU_DEP_2) | instskip(SKIP_2) | instid1(VALU_DEP_2)
	v_cmp_lt_u32_e32 vcc_lo, 0xffffff, v27
	v_sub_nc_u32_e32 v9, v36, v37
	v_cndmask_b32_e64 v36, 0, 1, vcc_lo
	v_add_co_ci_u32_e32 v9, vcc_lo, 0, v9, vcc_lo
	s_delay_alu instid0(VALU_DEP_2)
	v_lshrrev_b32_e32 v27, v36, v27
; %bb.6165:                             ;   in Loop: Header=BB6_5840 Depth=4
	s_and_not1_saveexec_b32 s14, s14
; %bb.6166:                             ;   in Loop: Header=BB6_5840 Depth=4
	s_delay_alu instid0(VALU_DEP_1)
	v_bfe_u32 v9, v27, 23, 1
; %bb.6167:                             ;   in Loop: Header=BB6_5840 Depth=4
	s_or_b32 exec_lo, exec_lo, s14
	v_lshrrev_b32_e32 v27, 21, v27
	s_delay_alu instid0(VALU_DEP_2) | instskip(SKIP_2) | instid1(VALU_DEP_2)
	v_cmp_gt_i32_e32 vcc_lo, 32, v9
	v_min_i32_e32 v36, 31, v9
	v_lshrrev_b32_e32 v26, 24, v26
	v_dual_cndmask_b32 v27, 3, v27 :: v_dual_lshlrev_b32 v36, 2, v36
	s_delay_alu instid0(VALU_DEP_2) | instskip(NEXT) | instid1(VALU_DEP_2)
	v_and_b32_e32 v26, 0x80, v26
	v_or_b32_e32 v9, v9, v27
	v_and_b32_e32 v37, 3, v27
	s_delay_alu instid0(VALU_DEP_2) | instskip(SKIP_1) | instid1(VALU_DEP_1)
	v_cmp_ne_u32_e32 vcc_lo, 0, v9
	v_and_b32_e32 v36, 0xfc, v36
	v_or3_b32 v26, v26, v36, v37
	s_delay_alu instid0(VALU_DEP_1) | instskip(NEXT) | instid1(VALU_DEP_1)
	v_lshlrev_b32_e32 v26, 8, v26
	v_cndmask_b32_e32 v9, 0, v26, vcc_lo
.LBB6_6168:                             ;   in Loop: Header=BB6_5840 Depth=4
	s_or_b32 exec_lo, exec_lo, s37
.LBB6_6169:                             ;   in Loop: Header=BB6_5840 Depth=4
	s_delay_alu instid0(SALU_CYCLE_1) | instskip(SKIP_3) | instid1(VALU_DEP_1)
	s_or_b32 exec_lo, exec_lo, s36
	v_and_b32_e32 v27, 0xff, v144
	s_mov_b32 s14, 0
	s_mov_b32 s37, exec_lo
                                        ; implicit-def: $sgpr36
	v_cmpx_lt_i16_e32 0x7f, v27
	s_xor_b32 s37, exec_lo, s37
	s_cbranch_execnz .LBB6_6423
; %bb.6170:                             ;   in Loop: Header=BB6_5840 Depth=4
	s_or_saveexec_b32 s37, s37
	v_mov_b32_e32 v26, s36
	s_xor_b32 exec_lo, exec_lo, s37
	s_cbranch_execnz .LBB6_6426
.LBB6_6171:                             ;   in Loop: Header=BB6_5840 Depth=4
	s_or_b32 exec_lo, exec_lo, s37
	s_and_saveexec_b32 s36, s14
	s_cbranch_execz .LBB6_6173
.LBB6_6172:                             ;   in Loop: Header=BB6_5840 Depth=4
	v_bfe_u32 v37, v144, 2, 5
	v_lshlrev_b32_e32 v38, 24, v144
	s_delay_alu instid0(VALU_DEP_2) | instskip(SKIP_1) | instid1(VALU_DEP_1)
	v_cmp_eq_u32_e32 vcc_lo, 0, v37
	v_and_b32_e32 v26, 3, v144
	v_clz_i32_u32_e32 v27, v26
	s_delay_alu instid0(VALU_DEP_1) | instskip(NEXT) | instid1(VALU_DEP_1)
	v_min_u32_e32 v27, 32, v27
	v_subrev_nc_u32_e32 v36, 29, v27
	v_sub_nc_u32_e32 v27, 30, v27
	s_delay_alu instid0(VALU_DEP_1) | instskip(NEXT) | instid1(VALU_DEP_1)
	v_dual_cndmask_b32 v27, v37, v27 :: v_dual_lshlrev_b32 v36, v36, v144
	v_and_b32_e32 v36, 3, v36
	s_delay_alu instid0(VALU_DEP_2) | instskip(NEXT) | instid1(VALU_DEP_2)
	v_lshl_add_u32 v27, v27, 23, 0x37800000
	v_cndmask_b32_e32 v26, v26, v36, vcc_lo
	v_and_b32_e32 v36, 0x80000000, v38
	s_delay_alu instid0(VALU_DEP_2) | instskip(NEXT) | instid1(VALU_DEP_1)
	v_lshlrev_b32_e32 v26, 21, v26
	v_or3_b32 v26, v36, v27, v26
.LBB6_6173:                             ;   in Loop: Header=BB6_5840 Depth=4
	s_or_b32 exec_lo, exec_lo, s36
	v_and_b32_e32 v36, 0xff, v10
	s_mov_b32 s14, 0
	s_mov_b32 s37, exec_lo
                                        ; implicit-def: $sgpr36
	s_delay_alu instid0(VALU_DEP_1)
	v_cmpx_lt_i16_e32 0x7f, v36
	s_xor_b32 s37, exec_lo, s37
	s_cbranch_execnz .LBB6_6427
; %bb.6174:                             ;   in Loop: Header=BB6_5840 Depth=4
	s_or_saveexec_b32 s37, s37
	v_mov_b32_e32 v27, s36
	s_xor_b32 exec_lo, exec_lo, s37
	s_cbranch_execnz .LBB6_6430
.LBB6_6175:                             ;   in Loop: Header=BB6_5840 Depth=4
	s_or_b32 exec_lo, exec_lo, s37
	s_and_saveexec_b32 s36, s14
	s_cbranch_execz .LBB6_6177
.LBB6_6176:                             ;   in Loop: Header=BB6_5840 Depth=4
	v_bfe_u32 v38, v10, 2, 5
	v_lshlrev_b32_e32 v39, 24, v10
	s_delay_alu instid0(VALU_DEP_2) | instskip(SKIP_1) | instid1(VALU_DEP_1)
	v_cmp_eq_u32_e32 vcc_lo, 0, v38
	v_and_b32_e32 v27, 3, v10
	v_clz_i32_u32_e32 v36, v27
	s_delay_alu instid0(VALU_DEP_1) | instskip(NEXT) | instid1(VALU_DEP_1)
	v_min_u32_e32 v36, 32, v36
	v_subrev_nc_u32_e32 v37, 29, v36
	v_sub_nc_u32_e32 v36, 30, v36
	s_delay_alu instid0(VALU_DEP_1) | instskip(NEXT) | instid1(VALU_DEP_1)
	v_dual_cndmask_b32 v36, v38, v36 :: v_dual_lshlrev_b32 v37, v37, v10
	v_and_b32_e32 v37, 3, v37
	s_delay_alu instid0(VALU_DEP_2) | instskip(NEXT) | instid1(VALU_DEP_2)
	v_lshl_add_u32 v36, v36, 23, 0x37800000
	v_cndmask_b32_e32 v27, v27, v37, vcc_lo
	v_and_b32_e32 v37, 0x80000000, v39
	s_delay_alu instid0(VALU_DEP_2) | instskip(NEXT) | instid1(VALU_DEP_1)
	v_lshlrev_b32_e32 v27, 21, v27
	v_or3_b32 v27, v37, v36, v27
.LBB6_6177:                             ;   in Loop: Header=BB6_5840 Depth=4
	s_or_b32 exec_lo, exec_lo, s36
	s_delay_alu instid0(VALU_DEP_1) | instskip(SKIP_2) | instid1(VALU_DEP_2)
	v_add_f32_e32 v26, v26, v27
	v_mov_b32_e32 v36, 0x80
	s_mov_b32 s36, exec_lo
	v_and_b32_e32 v27, 0x7f800000, v26
	s_delay_alu instid0(VALU_DEP_1)
	v_cmpx_ne_u32_e32 0x7f800000, v27
	s_cbranch_execz .LBB6_6185
; %bb.6178:                             ;   in Loop: Header=BB6_5840 Depth=4
	v_mov_b32_e32 v36, 0
	s_mov_b32 s37, exec_lo
	v_cmpx_ne_u32_e32 0, v26
	s_cbranch_execz .LBB6_6184
; %bb.6179:                             ;   in Loop: Header=BB6_5840 Depth=4
	v_bfe_u32 v27, v26, 23, 8
	s_delay_alu instid0(VALU_DEP_1) | instskip(SKIP_1) | instid1(VALU_DEP_2)
	v_sub_nc_u32_e32 v37, 0x70, v27
	v_cmp_gt_u32_e32 vcc_lo, 0x71, v27
	v_dual_cndmask_b32 v37, 0, v37 :: v_dual_and_b32 v36, 0x7fffff, v26
	s_delay_alu instid0(VALU_DEP_1) | instskip(SKIP_2) | instid1(VALU_DEP_4)
	v_or_b32_e32 v38, 0x800000, v36
	v_cmp_eq_u32_e32 vcc_lo, 0, v27
	v_add_nc_u32_e32 v27, 0xffffff91, v27
	v_cndmask_b32_e64 v37, v37, 0x6f, vcc_lo
	s_delay_alu instid0(VALU_DEP_4) | instskip(NEXT) | instid1(VALU_DEP_3)
	v_cndmask_b32_e32 v36, v38, v36, vcc_lo
	v_cndmask_b32_e64 v27, v27, 0xffffff92, vcc_lo
	s_delay_alu instid0(VALU_DEP_3) | instskip(NEXT) | instid1(VALU_DEP_3)
	v_lshl_add_u32 v38, 0x200000, v37, -1
	v_lshrrev_b32_e32 v39, v37, v36
	v_lshlrev_b32_e64 v49, v37, 0x100000
	s_delay_alu instid0(VALU_DEP_4) | instskip(NEXT) | instid1(VALU_DEP_4)
	v_add_nc_u32_e32 v37, v37, v27
	v_and_b32_e32 v36, v38, v36
	s_delay_alu instid0(VALU_DEP_4) | instskip(NEXT) | instid1(VALU_DEP_2)
	v_bfe_u32 v48, v39, 21, 1
	v_cmp_eq_u32_e64 s14, v36, v49
	s_delay_alu instid0(VALU_DEP_2) | instskip(NEXT) | instid1(VALU_DEP_1)
	v_add_nc_u32_e32 v38, -1, v48
	v_cndmask_b32_e64 v36, 0, v38, s14
	v_lshrrev_b32_e32 v38, 23, v39
	s_mov_b32 s14, exec_lo
	s_delay_alu instid0(VALU_DEP_2) | instskip(NEXT) | instid1(VALU_DEP_2)
	v_add_nc_u32_e32 v36, v36, v39
	v_xor_b32_e32 v38, 1, v38
	s_delay_alu instid0(VALU_DEP_2) | instskip(NEXT) | instid1(VALU_DEP_1)
	v_and_b32_e32 v27, 0x1fffff, v36
	v_add_nc_u32_e32 v36, v27, v39
                                        ; implicit-def: $vgpr27
	s_delay_alu instid0(VALU_DEP_3)
	v_cmpx_ne_u32_e64 v37, v38
	s_xor_b32 s14, exec_lo, s14
; %bb.6180:                             ;   in Loop: Header=BB6_5840 Depth=4
	s_delay_alu instid0(VALU_DEP_2) | instskip(SKIP_2) | instid1(VALU_DEP_2)
	v_cmp_lt_u32_e32 vcc_lo, 0xffffff, v36
	v_sub_nc_u32_e32 v27, v37, v38
	v_cndmask_b32_e64 v37, 0, 1, vcc_lo
	v_add_co_ci_u32_e32 v27, vcc_lo, 0, v27, vcc_lo
	s_delay_alu instid0(VALU_DEP_2)
	v_lshrrev_b32_e32 v36, v37, v36
; %bb.6181:                             ;   in Loop: Header=BB6_5840 Depth=4
	s_and_not1_saveexec_b32 s14, s14
; %bb.6182:                             ;   in Loop: Header=BB6_5840 Depth=4
	s_delay_alu instid0(VALU_DEP_1)
	v_bfe_u32 v27, v36, 23, 1
; %bb.6183:                             ;   in Loop: Header=BB6_5840 Depth=4
	s_or_b32 exec_lo, exec_lo, s14
	v_lshrrev_b32_e32 v36, 21, v36
	s_delay_alu instid0(VALU_DEP_2) | instskip(SKIP_2) | instid1(VALU_DEP_4)
	v_cmp_gt_i32_e32 vcc_lo, 32, v27
	v_lshrrev_b32_e32 v26, 24, v26
	v_min_i32_e32 v37, 31, v27
	v_cndmask_b32_e32 v36, 3, v36, vcc_lo
	s_delay_alu instid0(VALU_DEP_3) | instskip(NEXT) | instid1(VALU_DEP_3)
	v_and_b32_e32 v26, 0x80, v26
	v_lshlrev_b32_e32 v37, 2, v37
	s_delay_alu instid0(VALU_DEP_3) | instskip(SKIP_1) | instid1(VALU_DEP_2)
	v_and_b32_e32 v38, 3, v36
	v_or_b32_e32 v27, v27, v36
	v_or3_b32 v26, v37, v26, v38
	s_delay_alu instid0(VALU_DEP_2) | instskip(NEXT) | instid1(VALU_DEP_2)
	v_cmp_ne_u32_e32 vcc_lo, 0, v27
	v_cndmask_b32_e32 v36, 0, v26, vcc_lo
.LBB6_6184:                             ;   in Loop: Header=BB6_5840 Depth=4
	s_or_b32 exec_lo, exec_lo, s37
.LBB6_6185:                             ;   in Loop: Header=BB6_5840 Depth=4
	s_delay_alu instid0(SALU_CYCLE_1) | instskip(SKIP_3) | instid1(VALU_DEP_1)
	s_or_b32 exec_lo, exec_lo, s36
	v_and_b32_e32 v27, 0xff, v103
	s_mov_b32 s14, 0
	s_mov_b32 s37, exec_lo
                                        ; implicit-def: $sgpr36
	v_cmpx_lt_i16_e32 0x7f, v27
	s_xor_b32 s37, exec_lo, s37
	s_cbranch_execnz .LBB6_6431
; %bb.6186:                             ;   in Loop: Header=BB6_5840 Depth=4
	s_or_saveexec_b32 s37, s37
	v_mov_b32_e32 v26, s36
	s_xor_b32 exec_lo, exec_lo, s37
	s_cbranch_execnz .LBB6_6434
.LBB6_6187:                             ;   in Loop: Header=BB6_5840 Depth=4
	s_or_b32 exec_lo, exec_lo, s37
	s_and_saveexec_b32 s36, s14
	s_cbranch_execz .LBB6_6189
.LBB6_6188:                             ;   in Loop: Header=BB6_5840 Depth=4
	v_and_b32_e32 v26, 3, v103
	v_bfe_u32 v38, v103, 2, 5
	s_delay_alu instid0(VALU_DEP_2) | instskip(NEXT) | instid1(VALU_DEP_2)
	v_clz_i32_u32_e32 v27, v26
	v_cmp_eq_u32_e32 vcc_lo, 0, v38
	s_delay_alu instid0(VALU_DEP_2) | instskip(NEXT) | instid1(VALU_DEP_1)
	v_min_u32_e32 v27, 32, v27
	v_subrev_nc_u32_e32 v37, 29, v27
	v_sub_nc_u32_e32 v27, 30, v27
	s_delay_alu instid0(VALU_DEP_2) | instskip(NEXT) | instid1(VALU_DEP_1)
	v_lshlrev_b32_e32 v37, v37, v103
	v_and_b32_e32 v37, 3, v37
	s_delay_alu instid0(VALU_DEP_1) | instskip(NEXT) | instid1(VALU_DEP_4)
	v_dual_cndmask_b32 v26, v26, v37 :: v_dual_lshlrev_b32 v39, 24, v103
	v_cndmask_b32_e32 v27, v38, v27, vcc_lo
	s_delay_alu instid0(VALU_DEP_2) | instskip(NEXT) | instid1(VALU_DEP_3)
	v_and_b32_e32 v37, 0x80000000, v39
	v_lshlrev_b32_e32 v26, 21, v26
	s_delay_alu instid0(VALU_DEP_3) | instskip(NEXT) | instid1(VALU_DEP_1)
	v_lshl_add_u32 v27, v27, 23, 0x37800000
	v_or3_b32 v26, v37, v27, v26
.LBB6_6189:                             ;   in Loop: Header=BB6_5840 Depth=4
	s_or_b32 exec_lo, exec_lo, s36
	v_lshrrev_b16 v27, 8, v10
	s_mov_b32 s14, 0
	s_mov_b32 s37, exec_lo
                                        ; implicit-def: $sgpr36
	s_delay_alu instid0(VALU_DEP_1)
	v_cmpx_lt_i16_e32 0x7f, v27
	s_xor_b32 s37, exec_lo, s37
	s_cbranch_execnz .LBB6_6435
; %bb.6190:                             ;   in Loop: Header=BB6_5840 Depth=4
	s_or_saveexec_b32 s37, s37
	v_mov_b32_e32 v37, s36
	s_xor_b32 exec_lo, exec_lo, s37
	s_cbranch_execnz .LBB6_6438
.LBB6_6191:                             ;   in Loop: Header=BB6_5840 Depth=4
	s_or_b32 exec_lo, exec_lo, s37
	s_and_saveexec_b32 s36, s14
	s_cbranch_execz .LBB6_6193
.LBB6_6192:                             ;   in Loop: Header=BB6_5840 Depth=4
	v_and_b32_e32 v37, 0xffff, v27
	v_lshlrev_b32_e32 v27, 24, v27
	s_delay_alu instid0(VALU_DEP_2) | instskip(NEXT) | instid1(VALU_DEP_2)
	v_and_b32_e32 v38, 3, v37
	v_and_b32_e32 v27, 0x80000000, v27
	s_delay_alu instid0(VALU_DEP_2) | instskip(NEXT) | instid1(VALU_DEP_1)
	v_clz_i32_u32_e32 v39, v38
	v_min_u32_e32 v39, 32, v39
	s_delay_alu instid0(VALU_DEP_1) | instskip(SKIP_1) | instid1(VALU_DEP_2)
	v_subrev_nc_u32_e32 v48, 29, v39
	v_sub_nc_u32_e32 v39, 30, v39
	v_lshlrev_b32_e32 v48, v48, v37
	v_bfe_u32 v37, v37, 2, 5
	s_delay_alu instid0(VALU_DEP_2) | instskip(NEXT) | instid1(VALU_DEP_2)
	v_and_b32_e32 v48, 3, v48
	v_cmp_eq_u32_e32 vcc_lo, 0, v37
	s_delay_alu instid0(VALU_DEP_2) | instskip(NEXT) | instid1(VALU_DEP_1)
	v_dual_cndmask_b32 v37, v37, v39 :: v_dual_cndmask_b32 v38, v38, v48
	v_lshl_add_u32 v37, v37, 23, 0x37800000
	s_delay_alu instid0(VALU_DEP_2) | instskip(NEXT) | instid1(VALU_DEP_1)
	v_lshlrev_b32_e32 v38, 21, v38
	v_or3_b32 v37, v27, v37, v38
.LBB6_6193:                             ;   in Loop: Header=BB6_5840 Depth=4
	s_or_b32 exec_lo, exec_lo, s36
	s_delay_alu instid0(VALU_DEP_1) | instskip(NEXT) | instid1(VALU_DEP_1)
	v_add_f32_e32 v27, v26, v37
	v_and_b32_e32 v26, 0x7f800000, v27
	s_delay_alu instid0(VALU_DEP_1)
	v_cmp_ne_u32_e32 vcc_lo, 0x7f800000, v26
	v_mov_b32_e32 v26, 0x80
	s_and_saveexec_b32 s36, vcc_lo
	s_cbranch_execz .LBB6_6201
; %bb.6194:                             ;   in Loop: Header=BB6_5840 Depth=4
	v_mov_b32_e32 v26, 0
	s_mov_b32 s37, exec_lo
	v_cmpx_ne_u32_e32 0, v27
	s_cbranch_execz .LBB6_6200
; %bb.6195:                             ;   in Loop: Header=BB6_5840 Depth=4
	v_bfe_u32 v26, v27, 23, 8
	s_delay_alu instid0(VALU_DEP_1) | instskip(SKIP_1) | instid1(VALU_DEP_2)
	v_sub_nc_u32_e32 v38, 0x70, v26
	v_cmp_gt_u32_e32 vcc_lo, 0x71, v26
	v_dual_cndmask_b32 v38, 0, v38 :: v_dual_and_b32 v37, 0x7fffff, v27
	s_delay_alu instid0(VALU_DEP_1) | instskip(SKIP_2) | instid1(VALU_DEP_4)
	v_or_b32_e32 v39, 0x800000, v37
	v_cmp_eq_u32_e32 vcc_lo, 0, v26
	v_add_nc_u32_e32 v26, 0xffffff91, v26
	v_cndmask_b32_e64 v38, v38, 0x6f, vcc_lo
	s_delay_alu instid0(VALU_DEP_4) | instskip(NEXT) | instid1(VALU_DEP_3)
	v_cndmask_b32_e32 v37, v39, v37, vcc_lo
	v_cndmask_b32_e64 v26, v26, 0xffffff92, vcc_lo
	s_delay_alu instid0(VALU_DEP_3) | instskip(NEXT) | instid1(VALU_DEP_3)
	v_lshl_add_u32 v39, 0x200000, v38, -1
	v_lshrrev_b32_e32 v48, v38, v37
	v_lshlrev_b32_e64 v50, v38, 0x100000
	s_delay_alu instid0(VALU_DEP_4) | instskip(NEXT) | instid1(VALU_DEP_4)
	v_add_nc_u32_e32 v38, v38, v26
	v_and_b32_e32 v37, v39, v37
	s_delay_alu instid0(VALU_DEP_4) | instskip(NEXT) | instid1(VALU_DEP_2)
	v_bfe_u32 v49, v48, 21, 1
	v_cmp_eq_u32_e64 s14, v37, v50
	s_delay_alu instid0(VALU_DEP_2) | instskip(NEXT) | instid1(VALU_DEP_1)
	v_add_nc_u32_e32 v39, -1, v49
	v_cndmask_b32_e64 v37, 0, v39, s14
	v_lshrrev_b32_e32 v39, 23, v48
	s_mov_b32 s14, exec_lo
	s_delay_alu instid0(VALU_DEP_2) | instskip(NEXT) | instid1(VALU_DEP_2)
	v_add_nc_u32_e32 v37, v37, v48
	v_xor_b32_e32 v39, 1, v39
	s_delay_alu instid0(VALU_DEP_2) | instskip(NEXT) | instid1(VALU_DEP_1)
	v_and_b32_e32 v26, 0x1fffff, v37
	v_add_nc_u32_e32 v37, v26, v48
                                        ; implicit-def: $vgpr26
	s_delay_alu instid0(VALU_DEP_3)
	v_cmpx_ne_u32_e64 v38, v39
	s_xor_b32 s14, exec_lo, s14
; %bb.6196:                             ;   in Loop: Header=BB6_5840 Depth=4
	s_delay_alu instid0(VALU_DEP_2) | instskip(SKIP_2) | instid1(VALU_DEP_2)
	v_cmp_lt_u32_e32 vcc_lo, 0xffffff, v37
	v_sub_nc_u32_e32 v26, v38, v39
	v_cndmask_b32_e64 v38, 0, 1, vcc_lo
	v_add_co_ci_u32_e32 v26, vcc_lo, 0, v26, vcc_lo
	s_delay_alu instid0(VALU_DEP_2)
	v_lshrrev_b32_e32 v37, v38, v37
; %bb.6197:                             ;   in Loop: Header=BB6_5840 Depth=4
	s_and_not1_saveexec_b32 s14, s14
; %bb.6198:                             ;   in Loop: Header=BB6_5840 Depth=4
	s_delay_alu instid0(VALU_DEP_1)
	v_bfe_u32 v26, v37, 23, 1
; %bb.6199:                             ;   in Loop: Header=BB6_5840 Depth=4
	s_or_b32 exec_lo, exec_lo, s14
	v_lshrrev_b32_e32 v37, 21, v37
	s_delay_alu instid0(VALU_DEP_2) | instskip(SKIP_2) | instid1(VALU_DEP_2)
	v_cmp_gt_i32_e32 vcc_lo, 32, v26
	v_min_i32_e32 v38, 31, v26
	v_lshrrev_b32_e32 v27, 24, v27
	v_dual_cndmask_b32 v37, 3, v37 :: v_dual_lshlrev_b32 v38, 2, v38
	s_delay_alu instid0(VALU_DEP_2) | instskip(NEXT) | instid1(VALU_DEP_2)
	v_and_b32_e32 v27, 0x80, v27
	v_or_b32_e32 v26, v26, v37
	s_delay_alu instid0(VALU_DEP_1) | instskip(SKIP_1) | instid1(VALU_DEP_1)
	v_cmp_ne_u32_e32 vcc_lo, 0, v26
	v_and_b32_e32 v39, 3, v37
	v_or3_b32 v27, v38, v27, v39
	s_delay_alu instid0(VALU_DEP_1)
	v_cndmask_b32_e32 v26, 0, v27, vcc_lo
.LBB6_6200:                             ;   in Loop: Header=BB6_5840 Depth=4
	s_or_b32 exec_lo, exec_lo, s37
.LBB6_6201:                             ;   in Loop: Header=BB6_5840 Depth=4
	s_delay_alu instid0(SALU_CYCLE_1) | instskip(SKIP_3) | instid1(VALU_DEP_1)
	s_or_b32 exec_lo, exec_lo, s36
	v_and_b32_e32 v37, 0xff, v96
	s_mov_b32 s14, 0
	s_mov_b32 s37, exec_lo
                                        ; implicit-def: $sgpr36
	v_cmpx_lt_i16_e32 0x7f, v37
	s_xor_b32 s37, exec_lo, s37
	s_cbranch_execnz .LBB6_6439
; %bb.6202:                             ;   in Loop: Header=BB6_5840 Depth=4
	s_or_saveexec_b32 s37, s37
	v_mov_b32_e32 v27, s36
	s_xor_b32 exec_lo, exec_lo, s37
	s_cbranch_execnz .LBB6_6442
.LBB6_6203:                             ;   in Loop: Header=BB6_5840 Depth=4
	s_or_b32 exec_lo, exec_lo, s37
	s_and_saveexec_b32 s36, s14
	s_cbranch_execz .LBB6_6205
.LBB6_6204:                             ;   in Loop: Header=BB6_5840 Depth=4
	v_and_b32_e32 v27, 3, v96
	v_bfe_u32 v39, v96, 2, 5
	s_delay_alu instid0(VALU_DEP_2) | instskip(NEXT) | instid1(VALU_DEP_2)
	v_clz_i32_u32_e32 v37, v27
	v_cmp_eq_u32_e32 vcc_lo, 0, v39
	s_delay_alu instid0(VALU_DEP_2) | instskip(NEXT) | instid1(VALU_DEP_1)
	v_min_u32_e32 v37, 32, v37
	v_subrev_nc_u32_e32 v38, 29, v37
	v_sub_nc_u32_e32 v37, 30, v37
	s_delay_alu instid0(VALU_DEP_1) | instskip(NEXT) | instid1(VALU_DEP_1)
	v_dual_cndmask_b32 v37, v39, v37 :: v_dual_lshlrev_b32 v38, v38, v96
	v_and_b32_e32 v38, 3, v38
	v_lshlrev_b32_e32 v48, 24, v96
	s_delay_alu instid0(VALU_DEP_3) | instskip(NEXT) | instid1(VALU_DEP_2)
	v_lshl_add_u32 v37, v37, 23, 0x37800000
	v_dual_cndmask_b32 v27, v27, v38 :: v_dual_and_b32 v38, 0x80000000, v48
	s_delay_alu instid0(VALU_DEP_1) | instskip(NEXT) | instid1(VALU_DEP_1)
	v_lshlrev_b32_e32 v27, 21, v27
	v_or3_b32 v27, v38, v37, v27
.LBB6_6205:                             ;   in Loop: Header=BB6_5840 Depth=4
	s_or_b32 exec_lo, exec_lo, s36
	v_lshrrev_b32_e32 v37, 16, v10
	s_mov_b32 s14, 0
	s_mov_b32 s37, exec_lo
                                        ; implicit-def: $sgpr36
	s_delay_alu instid0(VALU_DEP_1) | instskip(NEXT) | instid1(VALU_DEP_1)
	v_and_b32_e32 v39, 0xff, v37
	v_cmpx_lt_i16_e32 0x7f, v39
	s_xor_b32 s37, exec_lo, s37
	s_cbranch_execnz .LBB6_6443
; %bb.6206:                             ;   in Loop: Header=BB6_5840 Depth=4
	s_or_saveexec_b32 s37, s37
	v_mov_b32_e32 v38, s36
	s_xor_b32 exec_lo, exec_lo, s37
	s_cbranch_execnz .LBB6_6446
.LBB6_6207:                             ;   in Loop: Header=BB6_5840 Depth=4
	s_or_b32 exec_lo, exec_lo, s37
	s_and_saveexec_b32 s36, s14
	s_cbranch_execz .LBB6_6209
.LBB6_6208:                             ;   in Loop: Header=BB6_5840 Depth=4
	v_bfe_u32 v38, v10, 16, 2
	v_lshlrev_b32_e32 v49, 8, v10
	s_delay_alu instid0(VALU_DEP_2) | instskip(NEXT) | instid1(VALU_DEP_1)
	v_clz_i32_u32_e32 v39, v38
	v_min_u32_e32 v39, 32, v39
	s_delay_alu instid0(VALU_DEP_1) | instskip(SKIP_1) | instid1(VALU_DEP_2)
	v_subrev_nc_u32_e32 v48, 29, v39
	v_sub_nc_u32_e32 v39, 30, v39
	v_lshlrev_b32_e32 v37, v48, v37
	v_bfe_u32 v48, v10, 18, 5
	s_delay_alu instid0(VALU_DEP_2) | instskip(NEXT) | instid1(VALU_DEP_2)
	v_and_b32_e32 v37, 3, v37
	v_cmp_eq_u32_e32 vcc_lo, 0, v48
	v_cndmask_b32_e32 v39, v48, v39, vcc_lo
	s_delay_alu instid0(VALU_DEP_3) | instskip(SKIP_1) | instid1(VALU_DEP_3)
	v_cndmask_b32_e32 v37, v38, v37, vcc_lo
	v_and_b32_e32 v38, 0x80000000, v49
	v_lshl_add_u32 v39, v39, 23, 0x37800000
	s_delay_alu instid0(VALU_DEP_3) | instskip(NEXT) | instid1(VALU_DEP_1)
	v_lshlrev_b32_e32 v37, 21, v37
	v_or3_b32 v38, v38, v39, v37
.LBB6_6209:                             ;   in Loop: Header=BB6_5840 Depth=4
	s_or_b32 exec_lo, exec_lo, s36
	s_delay_alu instid0(VALU_DEP_1) | instskip(NEXT) | instid1(VALU_DEP_1)
	v_add_f32_e32 v37, v27, v38
	v_and_b32_e32 v27, 0x7f800000, v37
	s_delay_alu instid0(VALU_DEP_1)
	v_cmp_ne_u32_e32 vcc_lo, 0x7f800000, v27
	v_mov_b32_e32 v27, 0x80
	s_and_saveexec_b32 s36, vcc_lo
	s_cbranch_execz .LBB6_6217
; %bb.6210:                             ;   in Loop: Header=BB6_5840 Depth=4
	v_mov_b32_e32 v27, 0
	s_mov_b32 s37, exec_lo
	v_cmpx_ne_u32_e32 0, v37
	s_cbranch_execz .LBB6_6216
; %bb.6211:                             ;   in Loop: Header=BB6_5840 Depth=4
	v_bfe_u32 v27, v37, 23, 8
	s_delay_alu instid0(VALU_DEP_1) | instskip(SKIP_1) | instid1(VALU_DEP_2)
	v_sub_nc_u32_e32 v39, 0x70, v27
	v_cmp_gt_u32_e32 vcc_lo, 0x71, v27
	v_dual_cndmask_b32 v39, 0, v39 :: v_dual_and_b32 v38, 0x7fffff, v37
	s_delay_alu instid0(VALU_DEP_1) | instskip(SKIP_2) | instid1(VALU_DEP_4)
	v_or_b32_e32 v48, 0x800000, v38
	v_cmp_eq_u32_e32 vcc_lo, 0, v27
	v_add_nc_u32_e32 v27, 0xffffff91, v27
	v_cndmask_b32_e64 v39, v39, 0x6f, vcc_lo
	s_delay_alu instid0(VALU_DEP_4) | instskip(NEXT) | instid1(VALU_DEP_3)
	v_cndmask_b32_e32 v38, v48, v38, vcc_lo
	v_cndmask_b32_e64 v27, v27, 0xffffff92, vcc_lo
	s_delay_alu instid0(VALU_DEP_3) | instskip(NEXT) | instid1(VALU_DEP_3)
	v_lshl_add_u32 v48, 0x200000, v39, -1
	v_lshrrev_b32_e32 v49, v39, v38
	v_lshlrev_b32_e64 v51, v39, 0x100000
	s_delay_alu instid0(VALU_DEP_4) | instskip(NEXT) | instid1(VALU_DEP_4)
	v_add_nc_u32_e32 v39, v39, v27
	v_and_b32_e32 v38, v48, v38
	s_delay_alu instid0(VALU_DEP_4) | instskip(NEXT) | instid1(VALU_DEP_2)
	v_bfe_u32 v50, v49, 21, 1
	v_cmp_eq_u32_e64 s14, v38, v51
	s_delay_alu instid0(VALU_DEP_2) | instskip(NEXT) | instid1(VALU_DEP_1)
	v_add_nc_u32_e32 v48, -1, v50
	v_cndmask_b32_e64 v38, 0, v48, s14
	v_lshrrev_b32_e32 v48, 23, v49
	s_mov_b32 s14, exec_lo
	s_delay_alu instid0(VALU_DEP_2) | instskip(NEXT) | instid1(VALU_DEP_2)
	v_add_nc_u32_e32 v38, v38, v49
	v_xor_b32_e32 v48, 1, v48
	s_delay_alu instid0(VALU_DEP_2) | instskip(NEXT) | instid1(VALU_DEP_1)
	v_and_b32_e32 v27, 0x1fffff, v38
	v_add_nc_u32_e32 v38, v27, v49
                                        ; implicit-def: $vgpr27
	s_delay_alu instid0(VALU_DEP_3)
	v_cmpx_ne_u32_e64 v39, v48
	s_xor_b32 s14, exec_lo, s14
; %bb.6212:                             ;   in Loop: Header=BB6_5840 Depth=4
	s_delay_alu instid0(VALU_DEP_2) | instskip(SKIP_2) | instid1(VALU_DEP_2)
	v_cmp_lt_u32_e32 vcc_lo, 0xffffff, v38
	v_sub_nc_u32_e32 v27, v39, v48
	v_cndmask_b32_e64 v39, 0, 1, vcc_lo
	v_add_co_ci_u32_e32 v27, vcc_lo, 0, v27, vcc_lo
	s_delay_alu instid0(VALU_DEP_2)
	v_lshrrev_b32_e32 v38, v39, v38
; %bb.6213:                             ;   in Loop: Header=BB6_5840 Depth=4
	s_and_not1_saveexec_b32 s14, s14
; %bb.6214:                             ;   in Loop: Header=BB6_5840 Depth=4
	s_delay_alu instid0(VALU_DEP_1)
	v_bfe_u32 v27, v38, 23, 1
; %bb.6215:                             ;   in Loop: Header=BB6_5840 Depth=4
	s_or_b32 exec_lo, exec_lo, s14
	v_lshrrev_b32_e32 v38, 21, v38
	s_delay_alu instid0(VALU_DEP_2) | instskip(SKIP_2) | instid1(VALU_DEP_2)
	v_cmp_gt_i32_e32 vcc_lo, 32, v27
	v_lshrrev_b32_e32 v37, 24, v37
	v_min_i32_e32 v39, 31, v27
	v_dual_cndmask_b32 v38, 3, v38 :: v_dual_and_b32 v37, 0x80, v37
	s_delay_alu instid0(VALU_DEP_2) | instskip(NEXT) | instid1(VALU_DEP_2)
	v_lshlrev_b32_e32 v39, 2, v39
	v_or_b32_e32 v27, v27, v38
	s_delay_alu instid0(VALU_DEP_1) | instskip(SKIP_1) | instid1(VALU_DEP_1)
	v_cmp_ne_u32_e32 vcc_lo, 0, v27
	v_and_b32_e32 v48, 3, v38
	v_or3_b32 v37, v39, v37, v48
	s_delay_alu instid0(VALU_DEP_1)
	v_cndmask_b32_e32 v27, 0, v37, vcc_lo
.LBB6_6216:                             ;   in Loop: Header=BB6_5840 Depth=4
	s_or_b32 exec_lo, exec_lo, s37
.LBB6_6217:                             ;   in Loop: Header=BB6_5840 Depth=4
	s_delay_alu instid0(SALU_CYCLE_1) | instskip(SKIP_3) | instid1(VALU_DEP_1)
	s_or_b32 exec_lo, exec_lo, s36
	v_and_b32_e32 v38, 0xff, v83
	s_mov_b32 s14, 0
	s_mov_b32 s37, exec_lo
                                        ; implicit-def: $sgpr36
	v_cmpx_lt_i16_e32 0x7f, v38
	s_xor_b32 s37, exec_lo, s37
	s_cbranch_execnz .LBB6_6447
; %bb.6218:                             ;   in Loop: Header=BB6_5840 Depth=4
	s_or_saveexec_b32 s37, s37
	v_mov_b32_e32 v37, s36
	s_xor_b32 exec_lo, exec_lo, s37
	s_cbranch_execnz .LBB6_6450
.LBB6_6219:                             ;   in Loop: Header=BB6_5840 Depth=4
	s_or_b32 exec_lo, exec_lo, s37
	s_and_saveexec_b32 s36, s14
	s_cbranch_execz .LBB6_6221
.LBB6_6220:                             ;   in Loop: Header=BB6_5840 Depth=4
	v_lshlrev_b32_e32 v37, 8, v83
	s_delay_alu instid0(VALU_DEP_1) | instskip(SKIP_1) | instid1(VALU_DEP_2)
	v_and_b32_e32 v39, 0xff00, v37
	v_bfe_u32 v37, v37, 10, 5
	v_bfe_u32 v48, v39, 8, 2
	s_delay_alu instid0(VALU_DEP_2) | instskip(SKIP_1) | instid1(VALU_DEP_3)
	v_cmp_eq_u32_e32 vcc_lo, 0, v37
	v_lshlrev_b32_e32 v39, 16, v39
	v_clz_i32_u32_e32 v49, v48
	s_delay_alu instid0(VALU_DEP_2) | instskip(NEXT) | instid1(VALU_DEP_2)
	v_and_b32_e32 v39, 0x80000000, v39
	v_min_u32_e32 v49, 32, v49
	s_delay_alu instid0(VALU_DEP_1) | instskip(SKIP_1) | instid1(VALU_DEP_1)
	v_subrev_nc_u32_e32 v50, 29, v49
	v_sub_nc_u32_e32 v49, 30, v49
	v_dual_cndmask_b32 v37, v37, v49 :: v_dual_lshlrev_b32 v38, v50, v38
	s_delay_alu instid0(VALU_DEP_1) | instskip(NEXT) | instid1(VALU_DEP_2)
	v_and_b32_e32 v38, 3, v38
	v_lshl_add_u32 v37, v37, 23, 0x37800000
	s_delay_alu instid0(VALU_DEP_2) | instskip(NEXT) | instid1(VALU_DEP_1)
	v_cndmask_b32_e32 v38, v48, v38, vcc_lo
	v_lshlrev_b32_e32 v38, 21, v38
	s_delay_alu instid0(VALU_DEP_1)
	v_or3_b32 v37, v39, v37, v38
.LBB6_6221:                             ;   in Loop: Header=BB6_5840 Depth=4
	s_or_b32 exec_lo, exec_lo, s36
	v_lshrrev_b32_e32 v38, 24, v10
	s_mov_b32 s14, 0
	s_mov_b32 s37, exec_lo
                                        ; implicit-def: $sgpr36
	s_delay_alu instid0(VALU_DEP_1)
	v_cmpx_lt_i16_e32 0x7f, v38
	s_xor_b32 s37, exec_lo, s37
	s_cbranch_execnz .LBB6_6451
; %bb.6222:                             ;   in Loop: Header=BB6_5840 Depth=4
	s_or_saveexec_b32 s37, s37
	v_mov_b32_e32 v39, s36
	s_xor_b32 exec_lo, exec_lo, s37
	s_cbranch_execnz .LBB6_6454
.LBB6_6223:                             ;   in Loop: Header=BB6_5840 Depth=4
	s_or_b32 exec_lo, exec_lo, s37
	s_and_saveexec_b32 s36, s14
	s_cbranch_execz .LBB6_6225
.LBB6_6224:                             ;   in Loop: Header=BB6_5840 Depth=4
	v_bfe_u32 v39, v10, 24, 2
	s_delay_alu instid0(VALU_DEP_1) | instskip(NEXT) | instid1(VALU_DEP_1)
	v_clz_i32_u32_e32 v48, v39
	v_min_u32_e32 v48, 32, v48
	s_delay_alu instid0(VALU_DEP_1) | instskip(SKIP_1) | instid1(VALU_DEP_2)
	v_subrev_nc_u32_e32 v49, 29, v48
	v_sub_nc_u32_e32 v48, 30, v48
	v_lshlrev_b32_e32 v38, v49, v38
	v_bfe_u32 v49, v10, 26, 5
	v_and_b32_e32 v10, 0x80000000, v10
	s_delay_alu instid0(VALU_DEP_3) | instskip(NEXT) | instid1(VALU_DEP_3)
	v_and_b32_e32 v38, 3, v38
	v_cmp_eq_u32_e32 vcc_lo, 0, v49
	v_cndmask_b32_e32 v48, v49, v48, vcc_lo
	s_delay_alu instid0(VALU_DEP_3) | instskip(NEXT) | instid1(VALU_DEP_2)
	v_cndmask_b32_e32 v38, v39, v38, vcc_lo
	v_lshl_add_u32 v39, v48, 23, 0x37800000
	s_delay_alu instid0(VALU_DEP_2) | instskip(NEXT) | instid1(VALU_DEP_1)
	v_lshlrev_b32_e32 v38, 21, v38
	v_or3_b32 v39, v10, v39, v38
.LBB6_6225:                             ;   in Loop: Header=BB6_5840 Depth=4
	s_or_b32 exec_lo, exec_lo, s36
	s_delay_alu instid0(VALU_DEP_1) | instskip(NEXT) | instid1(VALU_DEP_1)
	v_add_f32_e32 v37, v37, v39
	v_and_b32_e32 v10, 0x7f800000, v37
	s_delay_alu instid0(VALU_DEP_1)
	v_cmp_ne_u32_e32 vcc_lo, 0x7f800000, v10
	v_mov_b32_e32 v10, 0x80
	s_and_saveexec_b32 s36, vcc_lo
	s_cbranch_execz .LBB6_6233
; %bb.6226:                             ;   in Loop: Header=BB6_5840 Depth=4
	v_mov_b32_e32 v10, 0
	s_mov_b32 s37, exec_lo
	v_cmpx_ne_u32_e32 0, v37
	s_cbranch_execz .LBB6_6232
; %bb.6227:                             ;   in Loop: Header=BB6_5840 Depth=4
	v_bfe_u32 v10, v37, 23, 8
	s_delay_alu instid0(VALU_DEP_1) | instskip(SKIP_1) | instid1(VALU_DEP_2)
	v_sub_nc_u32_e32 v39, 0x70, v10
	v_cmp_gt_u32_e32 vcc_lo, 0x71, v10
	v_dual_cndmask_b32 v39, 0, v39 :: v_dual_and_b32 v38, 0x7fffff, v37
	s_delay_alu instid0(VALU_DEP_1) | instskip(SKIP_2) | instid1(VALU_DEP_4)
	v_or_b32_e32 v48, 0x800000, v38
	v_cmp_eq_u32_e32 vcc_lo, 0, v10
	v_add_nc_u32_e32 v10, 0xffffff91, v10
	v_cndmask_b32_e64 v39, v39, 0x6f, vcc_lo
	s_delay_alu instid0(VALU_DEP_4) | instskip(NEXT) | instid1(VALU_DEP_3)
	v_cndmask_b32_e32 v38, v48, v38, vcc_lo
	v_cndmask_b32_e64 v10, v10, 0xffffff92, vcc_lo
	s_delay_alu instid0(VALU_DEP_3) | instskip(NEXT) | instid1(VALU_DEP_3)
	v_lshl_add_u32 v48, 0x200000, v39, -1
	v_lshrrev_b32_e32 v49, v39, v38
	v_lshlrev_b32_e64 v51, v39, 0x100000
	s_delay_alu instid0(VALU_DEP_4) | instskip(NEXT) | instid1(VALU_DEP_4)
	v_add_nc_u32_e32 v39, v39, v10
	v_and_b32_e32 v38, v48, v38
	s_delay_alu instid0(VALU_DEP_4) | instskip(NEXT) | instid1(VALU_DEP_2)
	v_bfe_u32 v50, v49, 21, 1
	v_cmp_eq_u32_e64 s14, v38, v51
	s_delay_alu instid0(VALU_DEP_2) | instskip(NEXT) | instid1(VALU_DEP_1)
	v_add_nc_u32_e32 v48, -1, v50
	v_cndmask_b32_e64 v38, 0, v48, s14
	v_lshrrev_b32_e32 v48, 23, v49
	s_mov_b32 s14, exec_lo
	s_delay_alu instid0(VALU_DEP_2) | instskip(NEXT) | instid1(VALU_DEP_2)
	v_add_nc_u32_e32 v38, v38, v49
	v_xor_b32_e32 v48, 1, v48
	s_delay_alu instid0(VALU_DEP_2) | instskip(NEXT) | instid1(VALU_DEP_1)
	v_and_b32_e32 v10, 0x1fffff, v38
	v_add_nc_u32_e32 v38, v10, v49
                                        ; implicit-def: $vgpr10
	s_delay_alu instid0(VALU_DEP_3)
	v_cmpx_ne_u32_e64 v39, v48
	s_xor_b32 s14, exec_lo, s14
; %bb.6228:                             ;   in Loop: Header=BB6_5840 Depth=4
	s_delay_alu instid0(VALU_DEP_2) | instskip(SKIP_2) | instid1(VALU_DEP_2)
	v_cmp_lt_u32_e32 vcc_lo, 0xffffff, v38
	v_sub_nc_u32_e32 v10, v39, v48
	v_cndmask_b32_e64 v39, 0, 1, vcc_lo
	v_add_co_ci_u32_e32 v10, vcc_lo, 0, v10, vcc_lo
	s_delay_alu instid0(VALU_DEP_2)
	v_lshrrev_b32_e32 v38, v39, v38
; %bb.6229:                             ;   in Loop: Header=BB6_5840 Depth=4
	s_and_not1_saveexec_b32 s14, s14
; %bb.6230:                             ;   in Loop: Header=BB6_5840 Depth=4
	s_delay_alu instid0(VALU_DEP_1)
	v_bfe_u32 v10, v38, 23, 1
; %bb.6231:                             ;   in Loop: Header=BB6_5840 Depth=4
	s_or_b32 exec_lo, exec_lo, s14
	v_lshrrev_b32_e32 v38, 21, v38
	s_delay_alu instid0(VALU_DEP_2) | instskip(SKIP_2) | instid1(VALU_DEP_2)
	v_cmp_gt_i32_e32 vcc_lo, 32, v10
	v_lshrrev_b32_e32 v37, 24, v37
	v_min_i32_e32 v39, 31, v10
	v_dual_cndmask_b32 v38, 3, v38 :: v_dual_and_b32 v37, 0x80, v37
	s_delay_alu instid0(VALU_DEP_1) | instskip(SKIP_1) | instid1(VALU_DEP_2)
	v_or_b32_e32 v10, v10, v38
	v_and_b32_e32 v48, 3, v38
	v_cmp_ne_u32_e32 vcc_lo, 0, v10
	v_lshlrev_b32_e32 v39, 2, v39
	s_delay_alu instid0(VALU_DEP_1) | instskip(NEXT) | instid1(VALU_DEP_1)
	v_or3_b32 v37, v39, v37, v48
	v_cndmask_b32_e32 v10, 0, v37, vcc_lo
.LBB6_6232:                             ;   in Loop: Header=BB6_5840 Depth=4
	s_or_b32 exec_lo, exec_lo, s37
.LBB6_6233:                             ;   in Loop: Header=BB6_5840 Depth=4
	s_delay_alu instid0(SALU_CYCLE_1) | instskip(SKIP_3) | instid1(VALU_DEP_1)
	s_or_b32 exec_lo, exec_lo, s36
	v_or_b32_e32 v38, v133, v82
	s_mov_b32 s14, 0
	s_mov_b32 s37, exec_lo
                                        ; implicit-def: $sgpr36
	v_and_b32_e32 v39, 0xff, v38
	s_delay_alu instid0(VALU_DEP_1)
	v_cmpx_lt_i16_e32 0x7f, v39
	s_xor_b32 s37, exec_lo, s37
	s_cbranch_execnz .LBB6_6455
; %bb.6234:                             ;   in Loop: Header=BB6_5840 Depth=4
	s_or_saveexec_b32 s37, s37
	v_mov_b32_e32 v37, s36
	s_xor_b32 exec_lo, exec_lo, s37
	s_cbranch_execnz .LBB6_6458
.LBB6_6235:                             ;   in Loop: Header=BB6_5840 Depth=4
	s_or_b32 exec_lo, exec_lo, s37
	s_and_saveexec_b32 s36, s14
	s_cbranch_execz .LBB6_6237
.LBB6_6236:                             ;   in Loop: Header=BB6_5840 Depth=4
	v_and_b32_e32 v37, 3, v38
	v_bfe_u32 v49, v38, 2, 5
	s_delay_alu instid0(VALU_DEP_2) | instskip(NEXT) | instid1(VALU_DEP_2)
	v_clz_i32_u32_e32 v39, v37
	v_cmp_eq_u32_e32 vcc_lo, 0, v49
	s_delay_alu instid0(VALU_DEP_2) | instskip(NEXT) | instid1(VALU_DEP_1)
	v_min_u32_e32 v39, 32, v39
	v_subrev_nc_u32_e32 v48, 29, v39
	v_sub_nc_u32_e32 v39, 30, v39
	s_delay_alu instid0(VALU_DEP_1) | instskip(NEXT) | instid1(VALU_DEP_1)
	v_dual_cndmask_b32 v39, v49, v39 :: v_dual_lshlrev_b32 v48, v48, v38
	v_and_b32_e32 v48, 3, v48
	v_lshlrev_b32_e32 v50, 24, v38
	s_delay_alu instid0(VALU_DEP_3) | instskip(NEXT) | instid1(VALU_DEP_2)
	v_lshl_add_u32 v39, v39, 23, 0x37800000
	v_dual_cndmask_b32 v37, v37, v48 :: v_dual_and_b32 v48, 0x80000000, v50
	s_delay_alu instid0(VALU_DEP_1) | instskip(NEXT) | instid1(VALU_DEP_1)
	v_lshlrev_b32_e32 v37, 21, v37
	v_or3_b32 v37, v48, v39, v37
.LBB6_6237:                             ;   in Loop: Header=BB6_5840 Depth=4
	s_or_b32 exec_lo, exec_lo, s36
	v_and_b32_e32 v48, 0xff, v11
	s_mov_b32 s14, 0
	s_mov_b32 s37, exec_lo
                                        ; implicit-def: $sgpr36
	s_delay_alu instid0(VALU_DEP_1)
	v_cmpx_lt_i16_e32 0x7f, v48
	s_xor_b32 s37, exec_lo, s37
	s_cbranch_execnz .LBB6_6459
; %bb.6238:                             ;   in Loop: Header=BB6_5840 Depth=4
	s_or_saveexec_b32 s37, s37
	v_mov_b32_e32 v39, s36
	s_xor_b32 exec_lo, exec_lo, s37
	s_cbranch_execnz .LBB6_6462
.LBB6_6239:                             ;   in Loop: Header=BB6_5840 Depth=4
	s_or_b32 exec_lo, exec_lo, s37
	s_and_saveexec_b32 s36, s14
	s_cbranch_execz .LBB6_6241
.LBB6_6240:                             ;   in Loop: Header=BB6_5840 Depth=4
	v_bfe_u32 v50, v11, 2, 5
	v_lshlrev_b32_e32 v51, 24, v11
	s_delay_alu instid0(VALU_DEP_2) | instskip(SKIP_1) | instid1(VALU_DEP_1)
	v_cmp_eq_u32_e32 vcc_lo, 0, v50
	v_and_b32_e32 v39, 3, v11
	v_clz_i32_u32_e32 v48, v39
	s_delay_alu instid0(VALU_DEP_1) | instskip(NEXT) | instid1(VALU_DEP_1)
	v_min_u32_e32 v48, 32, v48
	v_subrev_nc_u32_e32 v49, 29, v48
	v_sub_nc_u32_e32 v48, 30, v48
	s_delay_alu instid0(VALU_DEP_1) | instskip(NEXT) | instid1(VALU_DEP_1)
	v_dual_cndmask_b32 v48, v50, v48 :: v_dual_lshlrev_b32 v49, v49, v11
	v_and_b32_e32 v49, 3, v49
	s_delay_alu instid0(VALU_DEP_2) | instskip(NEXT) | instid1(VALU_DEP_2)
	v_lshl_add_u32 v48, v48, 23, 0x37800000
	v_cndmask_b32_e32 v39, v39, v49, vcc_lo
	v_and_b32_e32 v49, 0x80000000, v51
	s_delay_alu instid0(VALU_DEP_2) | instskip(NEXT) | instid1(VALU_DEP_1)
	v_lshlrev_b32_e32 v39, 21, v39
	v_or3_b32 v39, v49, v48, v39
.LBB6_6241:                             ;   in Loop: Header=BB6_5840 Depth=4
	s_or_b32 exec_lo, exec_lo, s36
	s_delay_alu instid0(VALU_DEP_1) | instskip(NEXT) | instid1(VALU_DEP_1)
	v_add_f32_e32 v39, v37, v39
	v_and_b32_e32 v37, 0x7f800000, v39
	s_delay_alu instid0(VALU_DEP_1)
	v_cmp_ne_u32_e32 vcc_lo, 0x7f800000, v37
	v_mov_b32_e32 v37, 0x80
	s_and_saveexec_b32 s36, vcc_lo
	s_cbranch_execz .LBB6_6249
; %bb.6242:                             ;   in Loop: Header=BB6_5840 Depth=4
	v_mov_b32_e32 v37, 0
	s_mov_b32 s37, exec_lo
	v_cmpx_ne_u32_e32 0, v39
	s_cbranch_execz .LBB6_6248
; %bb.6243:                             ;   in Loop: Header=BB6_5840 Depth=4
	v_bfe_u32 v37, v39, 23, 8
	s_delay_alu instid0(VALU_DEP_1) | instskip(SKIP_1) | instid1(VALU_DEP_2)
	v_sub_nc_u32_e32 v49, 0x70, v37
	v_cmp_gt_u32_e32 vcc_lo, 0x71, v37
	v_dual_cndmask_b32 v49, 0, v49 :: v_dual_and_b32 v48, 0x7fffff, v39
	s_delay_alu instid0(VALU_DEP_1) | instskip(SKIP_2) | instid1(VALU_DEP_4)
	v_or_b32_e32 v50, 0x800000, v48
	v_cmp_eq_u32_e32 vcc_lo, 0, v37
	v_add_nc_u32_e32 v37, 0xffffff91, v37
	v_cndmask_b32_e64 v49, v49, 0x6f, vcc_lo
	s_delay_alu instid0(VALU_DEP_4) | instskip(NEXT) | instid1(VALU_DEP_3)
	v_cndmask_b32_e32 v48, v50, v48, vcc_lo
	v_cndmask_b32_e64 v37, v37, 0xffffff92, vcc_lo
	s_delay_alu instid0(VALU_DEP_3) | instskip(NEXT) | instid1(VALU_DEP_3)
	v_lshl_add_u32 v51, 0x200000, v49, -1
	v_lshrrev_b32_e32 v50, v49, v48
	v_lshlrev_b32_e64 v53, v49, 0x100000
	s_delay_alu instid0(VALU_DEP_4) | instskip(NEXT) | instid1(VALU_DEP_4)
	v_add_nc_u32_e32 v49, v49, v37
	v_and_b32_e32 v48, v51, v48
	s_delay_alu instid0(VALU_DEP_4) | instskip(NEXT) | instid1(VALU_DEP_2)
	v_bfe_u32 v52, v50, 21, 1
	v_cmp_eq_u32_e64 s14, v48, v53
	s_delay_alu instid0(VALU_DEP_2) | instskip(NEXT) | instid1(VALU_DEP_1)
	v_add_nc_u32_e32 v51, -1, v52
	v_cndmask_b32_e64 v48, 0, v51, s14
	v_lshrrev_b32_e32 v51, 23, v50
	s_mov_b32 s14, exec_lo
	s_delay_alu instid0(VALU_DEP_2) | instskip(NEXT) | instid1(VALU_DEP_2)
	v_add_nc_u32_e32 v48, v48, v50
	v_xor_b32_e32 v52, 1, v51
	s_delay_alu instid0(VALU_DEP_2) | instskip(NEXT) | instid1(VALU_DEP_1)
	v_and_b32_e32 v37, 0x1fffff, v48
	v_add_nc_u32_e32 v48, v37, v50
                                        ; implicit-def: $vgpr37
	s_delay_alu instid0(VALU_DEP_3)
	v_cmpx_ne_u32_e64 v49, v52
	s_xor_b32 s14, exec_lo, s14
; %bb.6244:                             ;   in Loop: Header=BB6_5840 Depth=4
	s_delay_alu instid0(VALU_DEP_2) | instskip(SKIP_2) | instid1(VALU_DEP_2)
	v_cmp_lt_u32_e32 vcc_lo, 0xffffff, v48
	v_sub_nc_u32_e32 v37, v49, v52
	v_cndmask_b32_e64 v49, 0, 1, vcc_lo
	v_add_co_ci_u32_e32 v37, vcc_lo, 0, v37, vcc_lo
	s_delay_alu instid0(VALU_DEP_2)
	v_lshrrev_b32_e32 v48, v49, v48
; %bb.6245:                             ;   in Loop: Header=BB6_5840 Depth=4
	s_and_not1_saveexec_b32 s14, s14
; %bb.6246:                             ;   in Loop: Header=BB6_5840 Depth=4
	s_delay_alu instid0(VALU_DEP_1)
	v_bfe_u32 v37, v48, 23, 1
; %bb.6247:                             ;   in Loop: Header=BB6_5840 Depth=4
	s_or_b32 exec_lo, exec_lo, s14
	v_lshrrev_b32_e32 v48, 21, v48
	s_delay_alu instid0(VALU_DEP_2) | instskip(SKIP_2) | instid1(VALU_DEP_2)
	v_cmp_gt_i32_e32 vcc_lo, 32, v37
	v_lshrrev_b32_e32 v39, 24, v39
	v_min_i32_e32 v49, 31, v37
	v_dual_cndmask_b32 v48, 3, v48 :: v_dual_and_b32 v39, 0x80, v39
	s_delay_alu instid0(VALU_DEP_2) | instskip(NEXT) | instid1(VALU_DEP_2)
	v_lshlrev_b32_e32 v49, 2, v49
	v_or_b32_e32 v37, v37, v48
	s_delay_alu instid0(VALU_DEP_1) | instskip(SKIP_1) | instid1(VALU_DEP_1)
	v_cmp_ne_u32_e32 vcc_lo, 0, v37
	v_and_b32_e32 v50, 3, v48
	v_or3_b32 v39, v49, v39, v50
	s_delay_alu instid0(VALU_DEP_1)
	v_cndmask_b32_e32 v37, 0, v39, vcc_lo
.LBB6_6248:                             ;   in Loop: Header=BB6_5840 Depth=4
	s_or_b32 exec_lo, exec_lo, s37
.LBB6_6249:                             ;   in Loop: Header=BB6_5840 Depth=4
	s_delay_alu instid0(SALU_CYCLE_1) | instskip(SKIP_3) | instid1(VALU_DEP_1)
	s_or_b32 exec_lo, exec_lo, s36
	v_lshrrev_b16 v48, 8, v38
	s_mov_b32 s14, 0
	s_mov_b32 s37, exec_lo
                                        ; implicit-def: $sgpr36
	v_cmpx_lt_i16_e32 0x7f, v48
	s_xor_b32 s37, exec_lo, s37
	s_cbranch_execnz .LBB6_6463
; %bb.6250:                             ;   in Loop: Header=BB6_5840 Depth=4
	s_or_saveexec_b32 s37, s37
	v_mov_b32_e32 v39, s36
	s_xor_b32 exec_lo, exec_lo, s37
	s_cbranch_execnz .LBB6_6466
.LBB6_6251:                             ;   in Loop: Header=BB6_5840 Depth=4
	s_or_b32 exec_lo, exec_lo, s37
	s_and_saveexec_b32 s36, s14
	s_cbranch_execz .LBB6_6253
.LBB6_6252:                             ;   in Loop: Header=BB6_5840 Depth=4
	v_and_b32_e32 v39, 0xffff, v48
	s_delay_alu instid0(VALU_DEP_1) | instskip(NEXT) | instid1(VALU_DEP_1)
	v_and_b32_e32 v49, 3, v39
	v_clz_i32_u32_e32 v50, v49
	s_delay_alu instid0(VALU_DEP_1) | instskip(NEXT) | instid1(VALU_DEP_1)
	v_min_u32_e32 v50, 32, v50
	v_subrev_nc_u32_e32 v51, 29, v50
	v_sub_nc_u32_e32 v50, 30, v50
	s_delay_alu instid0(VALU_DEP_2) | instskip(SKIP_1) | instid1(VALU_DEP_2)
	v_lshlrev_b32_e32 v51, v51, v39
	v_bfe_u32 v39, v39, 2, 5
	v_and_b32_e32 v51, 3, v51
	s_delay_alu instid0(VALU_DEP_2) | instskip(SKIP_1) | instid1(VALU_DEP_1)
	v_cmp_eq_u32_e32 vcc_lo, 0, v39
	v_dual_cndmask_b32 v39, v39, v50 :: v_dual_lshlrev_b32 v48, 24, v48
	v_dual_cndmask_b32 v49, v49, v51 :: v_dual_and_b32 v48, 0x80000000, v48
	s_delay_alu instid0(VALU_DEP_2) | instskip(NEXT) | instid1(VALU_DEP_2)
	v_lshl_add_u32 v39, v39, 23, 0x37800000
	v_lshlrev_b32_e32 v49, 21, v49
	s_delay_alu instid0(VALU_DEP_1)
	v_or3_b32 v39, v48, v39, v49
.LBB6_6253:                             ;   in Loop: Header=BB6_5840 Depth=4
	s_or_b32 exec_lo, exec_lo, s36
	v_lshrrev_b16 v48, 8, v11
	s_mov_b32 s14, 0
	s_mov_b32 s37, exec_lo
                                        ; implicit-def: $sgpr36
	s_delay_alu instid0(VALU_DEP_1)
	v_cmpx_lt_i16_e32 0x7f, v48
	s_xor_b32 s37, exec_lo, s37
	s_cbranch_execnz .LBB6_6467
; %bb.6254:                             ;   in Loop: Header=BB6_5840 Depth=4
	s_or_saveexec_b32 s37, s37
	v_mov_b32_e32 v49, s36
	s_xor_b32 exec_lo, exec_lo, s37
	s_cbranch_execnz .LBB6_6470
.LBB6_6255:                             ;   in Loop: Header=BB6_5840 Depth=4
	s_or_b32 exec_lo, exec_lo, s37
	s_and_saveexec_b32 s36, s14
	s_cbranch_execz .LBB6_6257
.LBB6_6256:                             ;   in Loop: Header=BB6_5840 Depth=4
	v_and_b32_e32 v49, 0xffff, v48
	v_lshlrev_b32_e32 v48, 24, v48
	s_delay_alu instid0(VALU_DEP_2) | instskip(NEXT) | instid1(VALU_DEP_2)
	v_and_b32_e32 v50, 3, v49
	v_and_b32_e32 v48, 0x80000000, v48
	s_delay_alu instid0(VALU_DEP_2) | instskip(NEXT) | instid1(VALU_DEP_1)
	v_clz_i32_u32_e32 v51, v50
	v_min_u32_e32 v51, 32, v51
	s_delay_alu instid0(VALU_DEP_1) | instskip(SKIP_1) | instid1(VALU_DEP_2)
	v_subrev_nc_u32_e32 v52, 29, v51
	v_sub_nc_u32_e32 v51, 30, v51
	v_lshlrev_b32_e32 v52, v52, v49
	v_bfe_u32 v49, v49, 2, 5
	s_delay_alu instid0(VALU_DEP_2) | instskip(NEXT) | instid1(VALU_DEP_2)
	v_and_b32_e32 v52, 3, v52
	v_cmp_eq_u32_e32 vcc_lo, 0, v49
	s_delay_alu instid0(VALU_DEP_2) | instskip(NEXT) | instid1(VALU_DEP_1)
	v_dual_cndmask_b32 v49, v49, v51 :: v_dual_cndmask_b32 v50, v50, v52
	v_lshl_add_u32 v49, v49, 23, 0x37800000
	s_delay_alu instid0(VALU_DEP_2) | instskip(NEXT) | instid1(VALU_DEP_1)
	v_lshlrev_b32_e32 v50, 21, v50
	v_or3_b32 v49, v48, v49, v50
.LBB6_6257:                             ;   in Loop: Header=BB6_5840 Depth=4
	s_or_b32 exec_lo, exec_lo, s36
	s_delay_alu instid0(VALU_DEP_1) | instskip(NEXT) | instid1(VALU_DEP_1)
	v_add_f32_e32 v48, v39, v49
	v_and_b32_e32 v39, 0x7f800000, v48
	s_delay_alu instid0(VALU_DEP_1)
	v_cmp_ne_u32_e32 vcc_lo, 0x7f800000, v39
	v_mov_b32_e32 v39, 0x8000
	s_and_saveexec_b32 s36, vcc_lo
	s_cbranch_execz .LBB6_6265
; %bb.6258:                             ;   in Loop: Header=BB6_5840 Depth=4
	v_mov_b32_e32 v39, 0
	s_mov_b32 s37, exec_lo
	v_cmpx_ne_u32_e32 0, v48
	s_cbranch_execz .LBB6_6264
; %bb.6259:                             ;   in Loop: Header=BB6_5840 Depth=4
	v_bfe_u32 v39, v48, 23, 8
	s_delay_alu instid0(VALU_DEP_1) | instskip(SKIP_1) | instid1(VALU_DEP_2)
	v_sub_nc_u32_e32 v50, 0x70, v39
	v_cmp_gt_u32_e32 vcc_lo, 0x71, v39
	v_dual_cndmask_b32 v50, 0, v50 :: v_dual_and_b32 v49, 0x7fffff, v48
	s_delay_alu instid0(VALU_DEP_1) | instskip(SKIP_2) | instid1(VALU_DEP_4)
	v_or_b32_e32 v51, 0x800000, v49
	v_cmp_eq_u32_e32 vcc_lo, 0, v39
	v_add_nc_u32_e32 v39, 0xffffff91, v39
	v_cndmask_b32_e64 v50, v50, 0x6f, vcc_lo
	s_delay_alu instid0(VALU_DEP_2) | instskip(SKIP_1) | instid1(VALU_DEP_3)
	v_cndmask_b32_e64 v39, v39, 0xffffff92, vcc_lo
	v_cndmask_b32_e32 v49, v51, v49, vcc_lo
	v_lshl_add_u32 v52, 0x200000, v50, -1
	v_lshlrev_b32_e64 v54, v50, 0x100000
	s_delay_alu instid0(VALU_DEP_3) | instskip(NEXT) | instid1(VALU_DEP_3)
	v_lshrrev_b32_e32 v51, v50, v49
	v_and_b32_e32 v49, v52, v49
	s_delay_alu instid0(VALU_DEP_2) | instskip(NEXT) | instid1(VALU_DEP_2)
	v_bfe_u32 v53, v51, 21, 1
	v_cmp_eq_u32_e64 s14, v49, v54
	s_delay_alu instid0(VALU_DEP_2) | instskip(SKIP_1) | instid1(VALU_DEP_2)
	v_add_nc_u32_e32 v52, -1, v53
	v_lshrrev_b32_e32 v53, 23, v51
	v_cndmask_b32_e64 v49, 0, v52, s14
	v_add_nc_u32_e32 v52, v50, v39
	s_delay_alu instid0(VALU_DEP_3) | instskip(SKIP_1) | instid1(VALU_DEP_3)
	v_xor_b32_e32 v53, 1, v53
	s_mov_b32 s14, exec_lo
	v_add_nc_u32_e32 v49, v49, v51
	s_delay_alu instid0(VALU_DEP_1) | instskip(NEXT) | instid1(VALU_DEP_1)
	v_and_b32_e32 v39, 0x1fffff, v49
	v_add_nc_u32_e32 v49, v39, v51
                                        ; implicit-def: $vgpr39
	v_cmpx_ne_u32_e64 v52, v53
	s_xor_b32 s14, exec_lo, s14
; %bb.6260:                             ;   in Loop: Header=BB6_5840 Depth=4
	s_delay_alu instid0(VALU_DEP_2) | instskip(SKIP_2) | instid1(VALU_DEP_2)
	v_cmp_lt_u32_e32 vcc_lo, 0xffffff, v49
	v_sub_nc_u32_e32 v39, v52, v53
	v_cndmask_b32_e64 v50, 0, 1, vcc_lo
	v_add_co_ci_u32_e32 v39, vcc_lo, 0, v39, vcc_lo
	s_delay_alu instid0(VALU_DEP_2)
	v_lshrrev_b32_e32 v49, v50, v49
; %bb.6261:                             ;   in Loop: Header=BB6_5840 Depth=4
	s_and_not1_saveexec_b32 s14, s14
; %bb.6262:                             ;   in Loop: Header=BB6_5840 Depth=4
	s_delay_alu instid0(VALU_DEP_1)
	v_bfe_u32 v39, v49, 23, 1
; %bb.6263:                             ;   in Loop: Header=BB6_5840 Depth=4
	s_or_b32 exec_lo, exec_lo, s14
	v_lshrrev_b32_e32 v49, 21, v49
	s_delay_alu instid0(VALU_DEP_2) | instskip(SKIP_2) | instid1(VALU_DEP_2)
	v_cmp_gt_i32_e32 vcc_lo, 32, v39
	v_min_i32_e32 v50, 31, v39
	v_lshrrev_b32_e32 v48, 24, v48
	v_dual_cndmask_b32 v49, 3, v49 :: v_dual_lshlrev_b32 v50, 2, v50
	s_delay_alu instid0(VALU_DEP_2) | instskip(NEXT) | instid1(VALU_DEP_2)
	v_and_b32_e32 v48, 0x80, v48
	v_or_b32_e32 v39, v39, v49
	v_and_b32_e32 v51, 3, v49
	s_delay_alu instid0(VALU_DEP_2) | instskip(SKIP_1) | instid1(VALU_DEP_1)
	v_cmp_ne_u32_e32 vcc_lo, 0, v39
	v_and_b32_e32 v50, 0xfc, v50
	v_or3_b32 v48, v48, v50, v51
	s_delay_alu instid0(VALU_DEP_1) | instskip(NEXT) | instid1(VALU_DEP_1)
	v_lshlrev_b32_e32 v48, 8, v48
	v_cndmask_b32_e32 v39, 0, v48, vcc_lo
.LBB6_6264:                             ;   in Loop: Header=BB6_5840 Depth=4
	s_or_b32 exec_lo, exec_lo, s37
.LBB6_6265:                             ;   in Loop: Header=BB6_5840 Depth=4
	s_delay_alu instid0(SALU_CYCLE_1) | instskip(SKIP_3) | instid1(VALU_DEP_1)
	s_or_b32 exec_lo, exec_lo, s36
	v_or_b32_e32 v48, v85, v81
	s_mov_b32 s14, 0
	s_mov_b32 s37, exec_lo
                                        ; implicit-def: $sgpr36
	v_and_b32_e32 v52, 0xff, v48
	s_delay_alu instid0(VALU_DEP_1)
	v_cmpx_lt_i16_e32 0x7f, v52
	s_xor_b32 s37, exec_lo, s37
	s_cbranch_execnz .LBB6_6471
; %bb.6266:                             ;   in Loop: Header=BB6_5840 Depth=4
	s_or_saveexec_b32 s37, s37
	v_mov_b32_e32 v49, s36
	s_xor_b32 exec_lo, exec_lo, s37
	s_cbranch_execnz .LBB6_6474
.LBB6_6267:                             ;   in Loop: Header=BB6_5840 Depth=4
	s_or_b32 exec_lo, exec_lo, s37
	v_lshl_or_b32 v48, v48, 16, v38
	s_and_saveexec_b32 s36, s14
	s_cbranch_execz .LBB6_6269
.LBB6_6268:                             ;   in Loop: Header=BB6_5840 Depth=4
	s_delay_alu instid0(VALU_DEP_1) | instskip(SKIP_2) | instid1(VALU_DEP_3)
	v_bfe_u32 v38, v48, 16, 2
	v_lshrrev_b32_e32 v50, 16, v48
	v_lshlrev_b32_e32 v52, 8, v48
	v_clz_i32_u32_e32 v49, v38
	s_delay_alu instid0(VALU_DEP_1) | instskip(NEXT) | instid1(VALU_DEP_1)
	v_min_u32_e32 v49, 32, v49
	v_subrev_nc_u32_e32 v51, 29, v49
	v_sub_nc_u32_e32 v49, 30, v49
	s_delay_alu instid0(VALU_DEP_2) | instskip(SKIP_1) | instid1(VALU_DEP_1)
	v_lshlrev_b32_e32 v50, v51, v50
	v_bfe_u32 v51, v48, 18, 5
	v_cmp_eq_u32_e32 vcc_lo, 0, v51
	s_delay_alu instid0(VALU_DEP_3) | instskip(NEXT) | instid1(VALU_DEP_1)
	v_dual_cndmask_b32 v49, v51, v49 :: v_dual_and_b32 v50, 3, v50
	v_cndmask_b32_e32 v38, v38, v50, vcc_lo
	v_and_b32_e32 v50, 0x80000000, v52
	s_delay_alu instid0(VALU_DEP_3) | instskip(NEXT) | instid1(VALU_DEP_3)
	v_lshl_add_u32 v49, v49, 23, 0x37800000
	v_lshlrev_b32_e32 v38, 21, v38
	s_delay_alu instid0(VALU_DEP_1)
	v_or3_b32 v49, v50, v49, v38
.LBB6_6269:                             ;   in Loop: Header=BB6_5840 Depth=4
	s_or_b32 exec_lo, exec_lo, s36
	v_lshrrev_b32_e32 v38, 16, v11
	s_mov_b32 s14, 0
	s_mov_b32 s37, exec_lo
                                        ; implicit-def: $sgpr36
	s_delay_alu instid0(VALU_DEP_1) | instskip(NEXT) | instid1(VALU_DEP_1)
	v_and_b32_e32 v53, 0xff, v38
	v_cmpx_lt_i16_e32 0x7f, v53
	s_xor_b32 s37, exec_lo, s37
	s_cbranch_execnz .LBB6_6475
; %bb.6270:                             ;   in Loop: Header=BB6_5840 Depth=4
	s_or_saveexec_b32 s37, s37
	v_mov_b32_e32 v52, s36
	s_xor_b32 exec_lo, exec_lo, s37
	s_cbranch_execnz .LBB6_6478
.LBB6_6271:                             ;   in Loop: Header=BB6_5840 Depth=4
	s_or_b32 exec_lo, exec_lo, s37
	s_and_saveexec_b32 s36, s14
	s_cbranch_execz .LBB6_6273
.LBB6_6272:                             ;   in Loop: Header=BB6_5840 Depth=4
	v_bfe_u32 v50, v11, 16, 2
	s_delay_alu instid0(VALU_DEP_1) | instskip(NEXT) | instid1(VALU_DEP_1)
	v_clz_i32_u32_e32 v51, v50
	v_min_u32_e32 v51, 32, v51
	s_delay_alu instid0(VALU_DEP_1) | instskip(SKIP_1) | instid1(VALU_DEP_2)
	v_subrev_nc_u32_e32 v52, 29, v51
	v_sub_nc_u32_e32 v51, 30, v51
	v_lshlrev_b32_e32 v38, v52, v38
	v_bfe_u32 v52, v11, 18, 5
	s_delay_alu instid0(VALU_DEP_1) | instskip(NEXT) | instid1(VALU_DEP_3)
	v_cmp_eq_u32_e32 vcc_lo, 0, v52
	v_dual_cndmask_b32 v51, v52, v51 :: v_dual_and_b32 v38, 3, v38
	s_delay_alu instid0(VALU_DEP_1) | instskip(NEXT) | instid1(VALU_DEP_2)
	v_dual_cndmask_b32 v38, v50, v38 :: v_dual_lshlrev_b32 v53, 8, v11
	v_lshl_add_u32 v51, v51, 23, 0x37800000
	s_delay_alu instid0(VALU_DEP_2) | instskip(NEXT) | instid1(VALU_DEP_3)
	v_and_b32_e32 v50, 0x80000000, v53
	v_lshlrev_b32_e32 v38, 21, v38
	s_delay_alu instid0(VALU_DEP_1)
	v_or3_b32 v52, v50, v51, v38
.LBB6_6273:                             ;   in Loop: Header=BB6_5840 Depth=4
	s_or_b32 exec_lo, exec_lo, s36
	s_delay_alu instid0(VALU_DEP_1) | instskip(NEXT) | instid1(VALU_DEP_1)
	v_add_f32_e32 v49, v49, v52
	v_and_b32_e32 v38, 0x7f800000, v49
	s_delay_alu instid0(VALU_DEP_1)
	v_cmp_ne_u32_e32 vcc_lo, 0x7f800000, v38
	v_mov_b32_e32 v38, 0x80
	s_and_saveexec_b32 s36, vcc_lo
	s_cbranch_execz .LBB6_6281
; %bb.6274:                             ;   in Loop: Header=BB6_5840 Depth=4
	v_mov_b32_e32 v38, 0
	s_mov_b32 s37, exec_lo
	v_cmpx_ne_u32_e32 0, v49
	s_cbranch_execz .LBB6_6280
; %bb.6275:                             ;   in Loop: Header=BB6_5840 Depth=4
	v_bfe_u32 v38, v49, 23, 8
	s_delay_alu instid0(VALU_DEP_1) | instskip(SKIP_1) | instid1(VALU_DEP_2)
	v_sub_nc_u32_e32 v51, 0x70, v38
	v_cmp_gt_u32_e32 vcc_lo, 0x71, v38
	v_dual_cndmask_b32 v51, 0, v51 :: v_dual_and_b32 v50, 0x7fffff, v49
	s_delay_alu instid0(VALU_DEP_1) | instskip(SKIP_2) | instid1(VALU_DEP_4)
	v_or_b32_e32 v52, 0x800000, v50
	v_cmp_eq_u32_e32 vcc_lo, 0, v38
	v_add_nc_u32_e32 v38, 0xffffff91, v38
	v_cndmask_b32_e64 v51, v51, 0x6f, vcc_lo
	s_delay_alu instid0(VALU_DEP_4) | instskip(NEXT) | instid1(VALU_DEP_3)
	v_cndmask_b32_e32 v50, v52, v50, vcc_lo
	v_cndmask_b32_e64 v38, v38, 0xffffff92, vcc_lo
	s_delay_alu instid0(VALU_DEP_3) | instskip(NEXT) | instid1(VALU_DEP_3)
	v_lshl_add_u32 v53, 0x200000, v51, -1
	v_lshrrev_b32_e32 v52, v51, v50
	v_lshlrev_b32_e64 v55, v51, 0x100000
	s_delay_alu instid0(VALU_DEP_3) | instskip(NEXT) | instid1(VALU_DEP_3)
	v_and_b32_e32 v50, v53, v50
	v_bfe_u32 v54, v52, 21, 1
	s_delay_alu instid0(VALU_DEP_2) | instskip(NEXT) | instid1(VALU_DEP_2)
	v_cmp_eq_u32_e64 s14, v50, v55
	v_add_nc_u32_e32 v53, -1, v54
	v_lshrrev_b32_e32 v54, 23, v52
	s_delay_alu instid0(VALU_DEP_2) | instskip(SKIP_1) | instid1(VALU_DEP_3)
	v_cndmask_b32_e64 v50, 0, v53, s14
	v_add_nc_u32_e32 v53, v51, v38
	v_xor_b32_e32 v54, 1, v54
	s_mov_b32 s14, exec_lo
	s_delay_alu instid0(VALU_DEP_3) | instskip(NEXT) | instid1(VALU_DEP_1)
	v_add_nc_u32_e32 v50, v50, v52
	v_and_b32_e32 v38, 0x1fffff, v50
	s_delay_alu instid0(VALU_DEP_1)
	v_add_nc_u32_e32 v52, v38, v52
                                        ; implicit-def: $vgpr38
	v_cmpx_ne_u32_e64 v53, v54
	s_xor_b32 s14, exec_lo, s14
; %bb.6276:                             ;   in Loop: Header=BB6_5840 Depth=4
	s_delay_alu instid0(VALU_DEP_2) | instskip(SKIP_2) | instid1(VALU_DEP_2)
	v_cmp_lt_u32_e32 vcc_lo, 0xffffff, v52
	v_sub_nc_u32_e32 v38, v53, v54
	v_cndmask_b32_e64 v50, 0, 1, vcc_lo
	v_add_co_ci_u32_e32 v38, vcc_lo, 0, v38, vcc_lo
	s_delay_alu instid0(VALU_DEP_2)
	v_lshrrev_b32_e32 v52, v50, v52
; %bb.6277:                             ;   in Loop: Header=BB6_5840 Depth=4
	s_and_not1_saveexec_b32 s14, s14
; %bb.6278:                             ;   in Loop: Header=BB6_5840 Depth=4
	s_delay_alu instid0(VALU_DEP_1)
	v_bfe_u32 v38, v52, 23, 1
; %bb.6279:                             ;   in Loop: Header=BB6_5840 Depth=4
	s_or_b32 exec_lo, exec_lo, s14
	v_lshrrev_b32_e32 v50, 21, v52
	s_delay_alu instid0(VALU_DEP_2) | instskip(SKIP_2) | instid1(VALU_DEP_2)
	v_cmp_gt_i32_e32 vcc_lo, 32, v38
	v_min_i32_e32 v51, 31, v38
	v_lshrrev_b32_e32 v49, 24, v49
	v_dual_cndmask_b32 v50, 3, v50 :: v_dual_lshlrev_b32 v51, 2, v51
	s_delay_alu instid0(VALU_DEP_2) | instskip(NEXT) | instid1(VALU_DEP_2)
	v_and_b32_e32 v49, 0x80, v49
	v_or_b32_e32 v38, v38, v50
	v_and_b32_e32 v52, 3, v50
	s_delay_alu instid0(VALU_DEP_2) | instskip(SKIP_1) | instid1(VALU_DEP_1)
	v_cmp_ne_u32_e32 vcc_lo, 0, v38
	v_and_b32_e32 v51, 0xfc, v51
	v_or3_b32 v49, v51, v49, v52
	s_delay_alu instid0(VALU_DEP_1)
	v_cndmask_b32_e32 v38, 0, v49, vcc_lo
.LBB6_6280:                             ;   in Loop: Header=BB6_5840 Depth=4
	s_or_b32 exec_lo, exec_lo, s37
.LBB6_6281:                             ;   in Loop: Header=BB6_5840 Depth=4
	s_delay_alu instid0(SALU_CYCLE_1) | instskip(SKIP_3) | instid1(VALU_DEP_1)
	s_or_b32 exec_lo, exec_lo, s36
	v_lshrrev_b32_e32 v52, 24, v48
	s_mov_b32 s14, 0
	s_mov_b32 s37, exec_lo
                                        ; implicit-def: $sgpr36
	v_cmpx_lt_i16_e32 0x7f, v52
	s_xor_b32 s37, exec_lo, s37
	s_cbranch_execnz .LBB6_6479
; %bb.6282:                             ;   in Loop: Header=BB6_5840 Depth=4
	s_or_saveexec_b32 s37, s37
	v_mov_b32_e32 v49, s36
	s_xor_b32 exec_lo, exec_lo, s37
	s_cbranch_execnz .LBB6_6482
.LBB6_6283:                             ;   in Loop: Header=BB6_5840 Depth=4
	s_or_b32 exec_lo, exec_lo, s37
	s_and_saveexec_b32 s36, s14
	s_cbranch_execz .LBB6_6285
.LBB6_6284:                             ;   in Loop: Header=BB6_5840 Depth=4
	v_bfe_u32 v49, v48, 24, 2
	s_delay_alu instid0(VALU_DEP_1) | instskip(NEXT) | instid1(VALU_DEP_1)
	v_clz_i32_u32_e32 v50, v49
	v_min_u32_e32 v50, 32, v50
	s_delay_alu instid0(VALU_DEP_1) | instskip(SKIP_1) | instid1(VALU_DEP_2)
	v_subrev_nc_u32_e32 v51, 29, v50
	v_sub_nc_u32_e32 v50, 30, v50
	v_lshlrev_b32_e32 v51, v51, v52
	v_bfe_u32 v52, v48, 26, 5
	v_and_b32_e32 v48, 0x80000000, v48
	s_delay_alu instid0(VALU_DEP_2) | instskip(NEXT) | instid1(VALU_DEP_4)
	v_cmp_eq_u32_e32 vcc_lo, 0, v52
	v_dual_cndmask_b32 v50, v52, v50 :: v_dual_and_b32 v51, 3, v51
	s_delay_alu instid0(VALU_DEP_1) | instskip(NEXT) | instid1(VALU_DEP_2)
	v_lshl_add_u32 v50, v50, 23, 0x37800000
	v_cndmask_b32_e32 v49, v49, v51, vcc_lo
	s_delay_alu instid0(VALU_DEP_1) | instskip(NEXT) | instid1(VALU_DEP_1)
	v_lshlrev_b32_e32 v49, 21, v49
	v_or3_b32 v49, v48, v50, v49
.LBB6_6285:                             ;   in Loop: Header=BB6_5840 Depth=4
	s_or_b32 exec_lo, exec_lo, s36
	v_lshrrev_b32_e32 v48, 24, v11
	s_mov_b32 s14, 0
	s_mov_b32 s37, exec_lo
                                        ; implicit-def: $sgpr36
	s_delay_alu instid0(VALU_DEP_1)
	v_cmpx_lt_i16_e32 0x7f, v48
	s_xor_b32 s37, exec_lo, s37
	s_cbranch_execnz .LBB6_6483
; %bb.6286:                             ;   in Loop: Header=BB6_5840 Depth=4
	s_or_saveexec_b32 s37, s37
	v_mov_b32_e32 v52, s36
	s_xor_b32 exec_lo, exec_lo, s37
	s_cbranch_execnz .LBB6_6486
.LBB6_6287:                             ;   in Loop: Header=BB6_5840 Depth=4
	s_or_b32 exec_lo, exec_lo, s37
	s_and_saveexec_b32 s36, s14
	s_cbranch_execz .LBB6_6289
.LBB6_6288:                             ;   in Loop: Header=BB6_5840 Depth=4
	v_bfe_u32 v50, v11, 24, 2
	s_delay_alu instid0(VALU_DEP_1) | instskip(NEXT) | instid1(VALU_DEP_1)
	v_clz_i32_u32_e32 v51, v50
	v_min_u32_e32 v51, 32, v51
	s_delay_alu instid0(VALU_DEP_1) | instskip(SKIP_1) | instid1(VALU_DEP_2)
	v_subrev_nc_u32_e32 v52, 29, v51
	v_sub_nc_u32_e32 v51, 30, v51
	v_lshlrev_b32_e32 v48, v52, v48
	v_bfe_u32 v52, v11, 26, 5
	v_and_b32_e32 v11, 0x80000000, v11
	s_delay_alu instid0(VALU_DEP_2) | instskip(NEXT) | instid1(VALU_DEP_4)
	v_cmp_eq_u32_e32 vcc_lo, 0, v52
	v_dual_cndmask_b32 v51, v52, v51 :: v_dual_and_b32 v48, 3, v48
	s_delay_alu instid0(VALU_DEP_1) | instskip(NEXT) | instid1(VALU_DEP_2)
	v_cndmask_b32_e32 v48, v50, v48, vcc_lo
	v_lshl_add_u32 v50, v51, 23, 0x37800000
	s_delay_alu instid0(VALU_DEP_2) | instskip(NEXT) | instid1(VALU_DEP_1)
	v_lshlrev_b32_e32 v48, 21, v48
	v_or3_b32 v52, v11, v50, v48
.LBB6_6289:                             ;   in Loop: Header=BB6_5840 Depth=4
	s_or_b32 exec_lo, exec_lo, s36
	s_delay_alu instid0(VALU_DEP_1) | instskip(NEXT) | instid1(VALU_DEP_1)
	v_add_f32_e32 v11, v49, v52
	v_and_b32_e32 v48, 0x7f800000, v11
	s_delay_alu instid0(VALU_DEP_1)
	v_cmp_ne_u32_e32 vcc_lo, 0x7f800000, v48
	v_mov_b32_e32 v48, 0x8000
	s_and_saveexec_b32 s36, vcc_lo
	s_cbranch_execz .LBB6_5839
; %bb.6290:                             ;   in Loop: Header=BB6_5840 Depth=4
	v_mov_b32_e32 v48, 0
	s_mov_b32 s37, exec_lo
	v_cmpx_ne_u32_e32 0, v11
	s_cbranch_execz .LBB6_5838
; %bb.6291:                             ;   in Loop: Header=BB6_5840 Depth=4
	v_bfe_u32 v48, v11, 23, 8
	s_delay_alu instid0(VALU_DEP_1) | instskip(SKIP_1) | instid1(VALU_DEP_2)
	v_sub_nc_u32_e32 v50, 0x70, v48
	v_cmp_gt_u32_e32 vcc_lo, 0x71, v48
	v_dual_cndmask_b32 v50, 0, v50 :: v_dual_and_b32 v49, 0x7fffff, v11
	s_delay_alu instid0(VALU_DEP_1) | instskip(SKIP_2) | instid1(VALU_DEP_4)
	v_or_b32_e32 v51, 0x800000, v49
	v_cmp_eq_u32_e32 vcc_lo, 0, v48
	v_add_nc_u32_e32 v48, 0xffffff91, v48
	v_cndmask_b32_e64 v50, v50, 0x6f, vcc_lo
	s_delay_alu instid0(VALU_DEP_4) | instskip(NEXT) | instid1(VALU_DEP_3)
	v_cndmask_b32_e32 v49, v51, v49, vcc_lo
	v_cndmask_b32_e64 v48, v48, 0xffffff92, vcc_lo
	s_delay_alu instid0(VALU_DEP_3) | instskip(NEXT) | instid1(VALU_DEP_3)
	v_lshl_add_u32 v52, 0x200000, v50, -1
	v_lshrrev_b32_e32 v51, v50, v49
	v_lshlrev_b32_e64 v54, v50, 0x100000
	s_delay_alu instid0(VALU_DEP_3) | instskip(NEXT) | instid1(VALU_DEP_3)
	v_and_b32_e32 v49, v52, v49
	v_bfe_u32 v53, v51, 21, 1
	s_delay_alu instid0(VALU_DEP_2) | instskip(NEXT) | instid1(VALU_DEP_2)
	v_cmp_eq_u32_e64 s14, v49, v54
	v_add_nc_u32_e32 v52, -1, v53
	v_lshrrev_b32_e32 v53, 23, v51
	s_delay_alu instid0(VALU_DEP_2) | instskip(SKIP_1) | instid1(VALU_DEP_3)
	v_cndmask_b32_e64 v49, 0, v52, s14
	v_add_nc_u32_e32 v52, v50, v48
	v_xor_b32_e32 v53, 1, v53
	s_mov_b32 s14, exec_lo
	s_delay_alu instid0(VALU_DEP_3) | instskip(NEXT) | instid1(VALU_DEP_1)
	v_add_nc_u32_e32 v49, v49, v51
	v_and_b32_e32 v48, 0x1fffff, v49
	s_delay_alu instid0(VALU_DEP_1)
	v_add_nc_u32_e32 v49, v48, v51
                                        ; implicit-def: $vgpr48
	v_cmpx_ne_u32_e64 v52, v53
	s_xor_b32 s14, exec_lo, s14
; %bb.6292:                             ;   in Loop: Header=BB6_5840 Depth=4
	s_delay_alu instid0(VALU_DEP_2) | instskip(SKIP_2) | instid1(VALU_DEP_2)
	v_cmp_lt_u32_e32 vcc_lo, 0xffffff, v49
	v_sub_nc_u32_e32 v48, v52, v53
	v_cndmask_b32_e64 v50, 0, 1, vcc_lo
	v_add_co_ci_u32_e32 v48, vcc_lo, 0, v48, vcc_lo
	s_delay_alu instid0(VALU_DEP_2)
	v_lshrrev_b32_e32 v49, v50, v49
; %bb.6293:                             ;   in Loop: Header=BB6_5840 Depth=4
	s_and_not1_saveexec_b32 s14, s14
	s_cbranch_execz .LBB6_5837
; %bb.6294:                             ;   in Loop: Header=BB6_5840 Depth=4
	s_delay_alu instid0(VALU_DEP_1)
	v_bfe_u32 v48, v49, 23, 1
	s_branch .LBB6_5837
.LBB6_6295:                             ;   in Loop: Header=BB6_5840 Depth=4
	s_mov_b32 s14, -1
	s_mov_b32 s39, exec_lo
                                        ; implicit-def: $sgpr37
	v_cmpx_eq_u16_e32 0x80, v27
; %bb.6296:                             ;   in Loop: Header=BB6_5840 Depth=4
	s_mov_b32 s37, 0x7f800001
	s_xor_b32 s14, exec_lo, -1
; %bb.6297:                             ;   in Loop: Header=BB6_5840 Depth=4
	s_or_b32 exec_lo, exec_lo, s39
	s_delay_alu instid0(SALU_CYCLE_1)
	s_and_b32 s14, s14, exec_lo
                                        ; implicit-def: $vgpr27
	s_or_saveexec_b32 s38, s38
	v_mov_b32_e32 v26, s37
	s_xor_b32 exec_lo, exec_lo, s38
	s_cbranch_execz .LBB6_5851
.LBB6_6298:                             ;   in Loop: Header=BB6_5840 Depth=4
	v_cmp_ne_u16_e32 vcc_lo, 0, v27
	v_mov_b32_e32 v26, 0
	s_and_not1_b32 s14, s14, exec_lo
	s_and_b32 vcc_lo, vcc_lo, exec_lo
	s_delay_alu instid0(SALU_CYCLE_1)
	s_or_b32 s14, s14, vcc_lo
	s_or_b32 exec_lo, exec_lo, s38
	s_and_saveexec_b32 s37, s14
	s_cbranch_execnz .LBB6_5852
	s_branch .LBB6_5853
.LBB6_6299:                             ;   in Loop: Header=BB6_5840 Depth=4
	s_mov_b32 s14, -1
	s_mov_b32 s39, exec_lo
                                        ; implicit-def: $sgpr37
	v_cmpx_eq_u16_e32 0x80, v26
; %bb.6300:                             ;   in Loop: Header=BB6_5840 Depth=4
	s_mov_b32 s37, 0x7f800001
	s_xor_b32 s14, exec_lo, -1
; %bb.6301:                             ;   in Loop: Header=BB6_5840 Depth=4
	s_or_b32 exec_lo, exec_lo, s39
	s_delay_alu instid0(SALU_CYCLE_1)
	s_and_b32 s14, s14, exec_lo
	s_or_saveexec_b32 s38, s38
	v_mov_b32_e32 v27, s37
	s_xor_b32 exec_lo, exec_lo, s38
	s_cbranch_execz .LBB6_5863
.LBB6_6302:                             ;   in Loop: Header=BB6_5840 Depth=4
	v_cmp_ne_u16_e32 vcc_lo, 0, v26
	v_mov_b32_e32 v27, 0
	s_and_not1_b32 s14, s14, exec_lo
	s_and_b32 vcc_lo, vcc_lo, exec_lo
	s_delay_alu instid0(SALU_CYCLE_1)
	s_or_b32 s14, s14, vcc_lo
	s_or_b32 exec_lo, exec_lo, s38
	s_and_saveexec_b32 s37, s14
	s_cbranch_execnz .LBB6_5864
	s_branch .LBB6_5865
.LBB6_6303:                             ;   in Loop: Header=BB6_5840 Depth=4
	s_mov_b32 s14, -1
	s_mov_b32 s39, exec_lo
                                        ; implicit-def: $sgpr37
	v_cmpx_eq_u16_e32 0x80, v36
; %bb.6304:                             ;   in Loop: Header=BB6_5840 Depth=4
	s_mov_b32 s37, 0x7f800001
	s_xor_b32 s14, exec_lo, -1
; %bb.6305:                             ;   in Loop: Header=BB6_5840 Depth=4
	s_or_b32 exec_lo, exec_lo, s39
	s_delay_alu instid0(SALU_CYCLE_1)
	s_and_b32 s14, s14, exec_lo
                                        ; implicit-def: $vgpr36
	s_or_saveexec_b32 s38, s38
	v_mov_b32_e32 v27, s37
	s_xor_b32 exec_lo, exec_lo, s38
	s_cbranch_execz .LBB6_5875
.LBB6_6306:                             ;   in Loop: Header=BB6_5840 Depth=4
	v_cmp_ne_u16_e32 vcc_lo, 0, v36
	v_mov_b32_e32 v27, 0
	s_and_not1_b32 s14, s14, exec_lo
	s_and_b32 vcc_lo, vcc_lo, exec_lo
	s_delay_alu instid0(SALU_CYCLE_1)
	s_or_b32 s14, s14, vcc_lo
	s_or_b32 exec_lo, exec_lo, s38
	s_and_saveexec_b32 s37, s14
	s_cbranch_execnz .LBB6_5876
	s_branch .LBB6_5877
.LBB6_6307:                             ;   in Loop: Header=BB6_5840 Depth=4
	s_mov_b32 s14, -1
	s_mov_b32 s39, exec_lo
                                        ; implicit-def: $sgpr37
	v_cmpx_eq_u16_e32 0x80, v26
; %bb.6308:                             ;   in Loop: Header=BB6_5840 Depth=4
	s_mov_b32 s37, 0x7f800001
	s_xor_b32 s14, exec_lo, -1
; %bb.6309:                             ;   in Loop: Header=BB6_5840 Depth=4
	s_or_b32 exec_lo, exec_lo, s39
	s_delay_alu instid0(SALU_CYCLE_1)
	s_and_b32 s14, s14, exec_lo
	s_or_saveexec_b32 s38, s38
	v_mov_b32_e32 v27, s37
	s_xor_b32 exec_lo, exec_lo, s38
	s_cbranch_execz .LBB6_5887
.LBB6_6310:                             ;   in Loop: Header=BB6_5840 Depth=4
	v_cmp_ne_u16_e32 vcc_lo, 0, v26
	v_mov_b32_e32 v27, 0
	s_and_not1_b32 s14, s14, exec_lo
	s_and_b32 vcc_lo, vcc_lo, exec_lo
	s_delay_alu instid0(SALU_CYCLE_1)
	s_or_b32 s14, s14, vcc_lo
	s_or_b32 exec_lo, exec_lo, s38
	s_and_saveexec_b32 s37, s14
	s_cbranch_execnz .LBB6_5888
	s_branch .LBB6_5889
.LBB6_6311:                             ;   in Loop: Header=BB6_5840 Depth=4
	s_mov_b32 s14, -1
	s_mov_b32 s39, exec_lo
                                        ; implicit-def: $sgpr37
	v_cmpx_eq_u16_e32 0x80, v26
; %bb.6312:                             ;   in Loop: Header=BB6_5840 Depth=4
	s_mov_b32 s37, 0x7f800001
	s_xor_b32 s14, exec_lo, -1
; %bb.6313:                             ;   in Loop: Header=BB6_5840 Depth=4
	s_or_b32 exec_lo, exec_lo, s39
	s_delay_alu instid0(SALU_CYCLE_1)
	s_and_b32 s14, s14, exec_lo
                                        ; implicit-def: $vgpr26
	s_or_saveexec_b32 s38, s38
	v_mov_b32_e32 v8, s37
	s_xor_b32 exec_lo, exec_lo, s38
	s_cbranch_execz .LBB6_5899
.LBB6_6314:                             ;   in Loop: Header=BB6_5840 Depth=4
	v_cmp_ne_u16_e32 vcc_lo, 0, v26
	v_mov_b32_e32 v8, 0
	s_and_not1_b32 s14, s14, exec_lo
	s_and_b32 vcc_lo, vcc_lo, exec_lo
	s_delay_alu instid0(SALU_CYCLE_1)
	s_or_b32 s14, s14, vcc_lo
	s_or_b32 exec_lo, exec_lo, s38
	s_and_saveexec_b32 s37, s14
	s_cbranch_execnz .LBB6_5900
	s_branch .LBB6_5901
.LBB6_6315:                             ;   in Loop: Header=BB6_5840 Depth=4
	s_mov_b32 s14, -1
	s_mov_b32 s39, exec_lo
                                        ; implicit-def: $sgpr37
	v_cmpx_eq_u16_e32 0x80, v8
; %bb.6316:                             ;   in Loop: Header=BB6_5840 Depth=4
	s_mov_b32 s37, 0x7f800001
	s_xor_b32 s14, exec_lo, -1
; %bb.6317:                             ;   in Loop: Header=BB6_5840 Depth=4
	s_or_b32 exec_lo, exec_lo, s39
	s_delay_alu instid0(SALU_CYCLE_1)
	s_and_b32 s14, s14, exec_lo
	s_or_saveexec_b32 s38, s38
	v_mov_b32_e32 v26, s37
	s_xor_b32 exec_lo, exec_lo, s38
	s_cbranch_execz .LBB6_5911
.LBB6_6318:                             ;   in Loop: Header=BB6_5840 Depth=4
	v_cmp_ne_u16_e32 vcc_lo, 0, v8
	v_mov_b32_e32 v26, 0
	s_and_not1_b32 s14, s14, exec_lo
	s_and_b32 vcc_lo, vcc_lo, exec_lo
	s_delay_alu instid0(SALU_CYCLE_1)
	s_or_b32 s14, s14, vcc_lo
	s_or_b32 exec_lo, exec_lo, s38
	s_and_saveexec_b32 s37, s14
	s_cbranch_execnz .LBB6_5912
	s_branch .LBB6_5913
.LBB6_6319:                             ;   in Loop: Header=BB6_5840 Depth=4
	s_mov_b32 s14, -1
	s_mov_b32 s39, exec_lo
                                        ; implicit-def: $sgpr37
	v_cmpx_eq_u16_e32 0x80, v27
; %bb.6320:                             ;   in Loop: Header=BB6_5840 Depth=4
	s_mov_b32 s37, 0x7f800001
	s_xor_b32 s14, exec_lo, -1
; %bb.6321:                             ;   in Loop: Header=BB6_5840 Depth=4
	s_or_b32 exec_lo, exec_lo, s39
	s_delay_alu instid0(SALU_CYCLE_1)
	s_and_b32 s14, s14, exec_lo
                                        ; implicit-def: $vgpr27
	s_or_saveexec_b32 s38, s38
	v_mov_b32_e32 v26, s37
	s_xor_b32 exec_lo, exec_lo, s38
	s_cbranch_execz .LBB6_5923
.LBB6_6322:                             ;   in Loop: Header=BB6_5840 Depth=4
	v_cmp_ne_u16_e32 vcc_lo, 0, v27
	v_mov_b32_e32 v26, 0
	s_and_not1_b32 s14, s14, exec_lo
	s_and_b32 vcc_lo, vcc_lo, exec_lo
	s_delay_alu instid0(SALU_CYCLE_1)
	s_or_b32 s14, s14, vcc_lo
	s_or_b32 exec_lo, exec_lo, s38
	s_and_saveexec_b32 s37, s14
	s_cbranch_execnz .LBB6_5924
	s_branch .LBB6_5925
.LBB6_6323:                             ;   in Loop: Header=BB6_5840 Depth=4
	s_mov_b32 s14, -1
	s_mov_b32 s39, exec_lo
                                        ; implicit-def: $sgpr37
	v_cmpx_eq_u16_e32 0x80, v8
; %bb.6324:                             ;   in Loop: Header=BB6_5840 Depth=4
	s_mov_b32 s37, 0x7f800001
	s_xor_b32 s14, exec_lo, -1
; %bb.6325:                             ;   in Loop: Header=BB6_5840 Depth=4
	s_or_b32 exec_lo, exec_lo, s39
	s_delay_alu instid0(SALU_CYCLE_1)
	s_and_b32 s14, s14, exec_lo
	s_or_saveexec_b32 s38, s38
	v_mov_b32_e32 v26, s37
	s_xor_b32 exec_lo, exec_lo, s38
	s_cbranch_execz .LBB6_5935
.LBB6_6326:                             ;   in Loop: Header=BB6_5840 Depth=4
	v_cmp_ne_u16_e32 vcc_lo, 0, v8
	v_mov_b32_e32 v26, 0
	s_and_not1_b32 s14, s14, exec_lo
	s_and_b32 vcc_lo, vcc_lo, exec_lo
	s_delay_alu instid0(SALU_CYCLE_1)
	s_or_b32 s14, s14, vcc_lo
	s_or_b32 exec_lo, exec_lo, s38
	s_and_saveexec_b32 s37, s14
	s_cbranch_execnz .LBB6_5936
	s_branch .LBB6_5937
.LBB6_6327:                             ;   in Loop: Header=BB6_5840 Depth=4
	s_mov_b32 s14, -1
	s_mov_b32 s39, exec_lo
                                        ; implicit-def: $sgpr37
	v_cmpx_eq_u16_e32 0x80, v9
; %bb.6328:                             ;   in Loop: Header=BB6_5840 Depth=4
	s_mov_b32 s37, 0x7f800001
	s_xor_b32 s14, exec_lo, -1
; %bb.6329:                             ;   in Loop: Header=BB6_5840 Depth=4
	s_or_b32 exec_lo, exec_lo, s39
	s_delay_alu instid0(SALU_CYCLE_1)
	s_and_b32 s14, s14, exec_lo
                                        ; implicit-def: $vgpr9
	s_or_saveexec_b32 s38, s38
	v_mov_b32_e32 v8, s37
	s_xor_b32 exec_lo, exec_lo, s38
	s_cbranch_execz .LBB6_5947
.LBB6_6330:                             ;   in Loop: Header=BB6_5840 Depth=4
	v_cmp_ne_u16_e32 vcc_lo, 0, v9
	v_mov_b32_e32 v8, 0
	s_and_not1_b32 s14, s14, exec_lo
	s_and_b32 vcc_lo, vcc_lo, exec_lo
	s_delay_alu instid0(SALU_CYCLE_1)
	s_or_b32 s14, s14, vcc_lo
	s_or_b32 exec_lo, exec_lo, s38
	s_and_saveexec_b32 s37, s14
	s_cbranch_execnz .LBB6_5948
	s_branch .LBB6_5949
.LBB6_6331:                             ;   in Loop: Header=BB6_5840 Depth=4
	s_mov_b32 s14, -1
	s_mov_b32 s39, exec_lo
                                        ; implicit-def: $sgpr37
	v_cmpx_eq_u16_e32 0x80, v8
; %bb.6332:                             ;   in Loop: Header=BB6_5840 Depth=4
	s_mov_b32 s37, 0x7f800001
	s_xor_b32 s14, exec_lo, -1
; %bb.6333:                             ;   in Loop: Header=BB6_5840 Depth=4
	s_or_b32 exec_lo, exec_lo, s39
	s_delay_alu instid0(SALU_CYCLE_1)
	s_and_b32 s14, s14, exec_lo
	s_or_saveexec_b32 s38, s38
	v_mov_b32_e32 v9, s37
	s_xor_b32 exec_lo, exec_lo, s38
	s_cbranch_execz .LBB6_5959
.LBB6_6334:                             ;   in Loop: Header=BB6_5840 Depth=4
	v_cmp_ne_u16_e32 vcc_lo, 0, v8
	v_mov_b32_e32 v9, 0
	s_and_not1_b32 s14, s14, exec_lo
	s_and_b32 vcc_lo, vcc_lo, exec_lo
	s_delay_alu instid0(SALU_CYCLE_1)
	s_or_b32 s14, s14, vcc_lo
	s_or_b32 exec_lo, exec_lo, s38
	s_and_saveexec_b32 s37, s14
	s_cbranch_execnz .LBB6_5960
	s_branch .LBB6_5961
.LBB6_6335:                             ;   in Loop: Header=BB6_5840 Depth=4
	s_mov_b32 s14, -1
	s_mov_b32 s39, exec_lo
                                        ; implicit-def: $sgpr37
	v_cmpx_eq_u16_e32 0x80, v26
; %bb.6336:                             ;   in Loop: Header=BB6_5840 Depth=4
	s_mov_b32 s37, 0x7f800001
	s_xor_b32 s14, exec_lo, -1
; %bb.6337:                             ;   in Loop: Header=BB6_5840 Depth=4
	s_or_b32 exec_lo, exec_lo, s39
	s_delay_alu instid0(SALU_CYCLE_1)
	s_and_b32 s14, s14, exec_lo
                                        ; implicit-def: $vgpr26
	s_or_saveexec_b32 s38, s38
	v_mov_b32_e32 v9, s37
	s_xor_b32 exec_lo, exec_lo, s38
	s_cbranch_execz .LBB6_5971
.LBB6_6338:                             ;   in Loop: Header=BB6_5840 Depth=4
	v_cmp_ne_u16_e32 vcc_lo, 0, v26
	v_mov_b32_e32 v9, 0
	s_and_not1_b32 s14, s14, exec_lo
	s_and_b32 vcc_lo, vcc_lo, exec_lo
	s_delay_alu instid0(SALU_CYCLE_1)
	s_or_b32 s14, s14, vcc_lo
	s_or_b32 exec_lo, exec_lo, s38
	s_and_saveexec_b32 s37, s14
	s_cbranch_execnz .LBB6_5972
	s_branch .LBB6_5973
.LBB6_6339:                             ;   in Loop: Header=BB6_5840 Depth=4
	s_mov_b32 s14, -1
	s_mov_b32 s39, exec_lo
                                        ; implicit-def: $sgpr37
	v_cmpx_eq_u16_e32 0x80, v8
; %bb.6340:                             ;   in Loop: Header=BB6_5840 Depth=4
	s_mov_b32 s37, 0x7f800001
	s_xor_b32 s14, exec_lo, -1
; %bb.6341:                             ;   in Loop: Header=BB6_5840 Depth=4
	s_or_b32 exec_lo, exec_lo, s39
	s_delay_alu instid0(SALU_CYCLE_1)
	s_and_b32 s14, s14, exec_lo
	s_or_saveexec_b32 s38, s38
	v_mov_b32_e32 v9, s37
	s_xor_b32 exec_lo, exec_lo, s38
	s_cbranch_execz .LBB6_5983
.LBB6_6342:                             ;   in Loop: Header=BB6_5840 Depth=4
	v_cmp_ne_u16_e32 vcc_lo, 0, v8
	v_mov_b32_e32 v9, 0
	s_and_not1_b32 s14, s14, exec_lo
	s_and_b32 vcc_lo, vcc_lo, exec_lo
	s_delay_alu instid0(SALU_CYCLE_1)
	s_or_b32 s14, s14, vcc_lo
	s_or_b32 exec_lo, exec_lo, s38
	s_and_saveexec_b32 s37, s14
	s_cbranch_execnz .LBB6_5984
	s_branch .LBB6_5985
.LBB6_6343:                             ;   in Loop: Header=BB6_5840 Depth=4
	s_mov_b32 s14, -1
	s_mov_b32 s39, exec_lo
                                        ; implicit-def: $sgpr37
	v_cmpx_eq_u16_e32 0x80, v9
; %bb.6344:                             ;   in Loop: Header=BB6_5840 Depth=4
	s_mov_b32 s37, 0x7f800001
	s_xor_b32 s14, exec_lo, -1
; %bb.6345:                             ;   in Loop: Header=BB6_5840 Depth=4
	s_or_b32 exec_lo, exec_lo, s39
	s_delay_alu instid0(SALU_CYCLE_1)
	s_and_b32 s14, s14, exec_lo
                                        ; implicit-def: $vgpr9
	s_or_saveexec_b32 s38, s38
	v_mov_b32_e32 v8, s37
	s_xor_b32 exec_lo, exec_lo, s38
	s_cbranch_execz .LBB6_5995
.LBB6_6346:                             ;   in Loop: Header=BB6_5840 Depth=4
	v_cmp_ne_u16_e32 vcc_lo, 0, v9
	v_mov_b32_e32 v8, 0
	s_and_not1_b32 s14, s14, exec_lo
	s_and_b32 vcc_lo, vcc_lo, exec_lo
	s_delay_alu instid0(SALU_CYCLE_1)
	s_or_b32 s14, s14, vcc_lo
	s_or_b32 exec_lo, exec_lo, s38
	s_and_saveexec_b32 s37, s14
	s_cbranch_execnz .LBB6_5996
	s_branch .LBB6_5997
.LBB6_6347:                             ;   in Loop: Header=BB6_5840 Depth=4
	s_mov_b32 s14, -1
	s_mov_b32 s39, exec_lo
                                        ; implicit-def: $sgpr37
	v_cmpx_eq_u16_e32 0x80, v8
; %bb.6348:                             ;   in Loop: Header=BB6_5840 Depth=4
	s_mov_b32 s37, 0x7f800001
	s_xor_b32 s14, exec_lo, -1
; %bb.6349:                             ;   in Loop: Header=BB6_5840 Depth=4
	s_or_b32 exec_lo, exec_lo, s39
	s_delay_alu instid0(SALU_CYCLE_1)
	s_and_b32 s14, s14, exec_lo
	s_or_saveexec_b32 s38, s38
	v_mov_b32_e32 v9, s37
	s_xor_b32 exec_lo, exec_lo, s38
	s_cbranch_execz .LBB6_6007
.LBB6_6350:                             ;   in Loop: Header=BB6_5840 Depth=4
	v_cmp_ne_u16_e32 vcc_lo, 0, v8
	v_mov_b32_e32 v9, 0
	s_and_not1_b32 s14, s14, exec_lo
	s_and_b32 vcc_lo, vcc_lo, exec_lo
	s_delay_alu instid0(SALU_CYCLE_1)
	s_or_b32 s14, s14, vcc_lo
	s_or_b32 exec_lo, exec_lo, s38
	s_and_saveexec_b32 s37, s14
	s_cbranch_execnz .LBB6_6008
	s_branch .LBB6_6009
.LBB6_6351:                             ;   in Loop: Header=BB6_5840 Depth=4
	s_mov_b32 s14, -1
	s_mov_b32 s39, exec_lo
                                        ; implicit-def: $sgpr37
	v_cmpx_eq_u16_e32 0x80, v10
; %bb.6352:                             ;   in Loop: Header=BB6_5840 Depth=4
	s_mov_b32 s37, 0x7f800001
	s_xor_b32 s14, exec_lo, -1
; %bb.6353:                             ;   in Loop: Header=BB6_5840 Depth=4
	s_or_b32 exec_lo, exec_lo, s39
	s_delay_alu instid0(SALU_CYCLE_1)
	s_and_b32 s14, s14, exec_lo
                                        ; implicit-def: $vgpr10
	s_or_saveexec_b32 s38, s38
	v_mov_b32_e32 v9, s37
	s_xor_b32 exec_lo, exec_lo, s38
	s_cbranch_execz .LBB6_6019
.LBB6_6354:                             ;   in Loop: Header=BB6_5840 Depth=4
	v_cmp_ne_u16_e32 vcc_lo, 0, v10
	v_mov_b32_e32 v9, 0
	s_and_not1_b32 s14, s14, exec_lo
	s_and_b32 vcc_lo, vcc_lo, exec_lo
	s_delay_alu instid0(SALU_CYCLE_1)
	s_or_b32 s14, s14, vcc_lo
	s_or_b32 exec_lo, exec_lo, s38
	s_and_saveexec_b32 s37, s14
	s_cbranch_execnz .LBB6_6020
	s_branch .LBB6_6021
.LBB6_6355:                             ;   in Loop: Header=BB6_5840 Depth=4
	s_mov_b32 s14, -1
	s_mov_b32 s39, exec_lo
                                        ; implicit-def: $sgpr37
	v_cmpx_eq_u16_e32 0x80, v8
; %bb.6356:                             ;   in Loop: Header=BB6_5840 Depth=4
	s_mov_b32 s37, 0x7f800001
	s_xor_b32 s14, exec_lo, -1
; %bb.6357:                             ;   in Loop: Header=BB6_5840 Depth=4
	s_or_b32 exec_lo, exec_lo, s39
	s_delay_alu instid0(SALU_CYCLE_1)
	s_and_b32 s14, s14, exec_lo
	s_or_saveexec_b32 s38, s38
	v_mov_b32_e32 v9, s37
	s_xor_b32 exec_lo, exec_lo, s38
	s_cbranch_execz .LBB6_6031
.LBB6_6358:                             ;   in Loop: Header=BB6_5840 Depth=4
	v_cmp_ne_u16_e32 vcc_lo, 0, v8
	v_mov_b32_e32 v9, 0
	s_and_not1_b32 s14, s14, exec_lo
	s_and_b32 vcc_lo, vcc_lo, exec_lo
	s_delay_alu instid0(SALU_CYCLE_1)
	s_or_b32 s14, s14, vcc_lo
	s_or_b32 exec_lo, exec_lo, s38
	s_and_saveexec_b32 s37, s14
	s_cbranch_execnz .LBB6_6032
	s_branch .LBB6_6033
.LBB6_6359:                             ;   in Loop: Header=BB6_5840 Depth=4
	s_mov_b32 s14, -1
	s_mov_b32 s38, exec_lo
                                        ; implicit-def: $sgpr36
	v_cmpx_eq_u16_e32 0x80, v27
; %bb.6360:                             ;   in Loop: Header=BB6_5840 Depth=4
	s_mov_b32 s36, 0x7f800001
	s_xor_b32 s14, exec_lo, -1
; %bb.6361:                             ;   in Loop: Header=BB6_5840 Depth=4
	s_or_b32 exec_lo, exec_lo, s38
	s_delay_alu instid0(SALU_CYCLE_1)
	s_and_b32 s14, s14, exec_lo
                                        ; implicit-def: $vgpr27
	s_or_saveexec_b32 s37, s37
	v_mov_b32_e32 v26, s36
	s_xor_b32 exec_lo, exec_lo, s37
	s_cbranch_execz .LBB6_6043
.LBB6_6362:                             ;   in Loop: Header=BB6_5840 Depth=4
	v_cmp_ne_u16_e32 vcc_lo, 0, v27
	v_mov_b32_e32 v26, 0
	s_and_not1_b32 s14, s14, exec_lo
	s_and_b32 vcc_lo, vcc_lo, exec_lo
	s_delay_alu instid0(SALU_CYCLE_1)
	s_or_b32 s14, s14, vcc_lo
	s_or_b32 exec_lo, exec_lo, s37
	s_and_saveexec_b32 s36, s14
	s_cbranch_execnz .LBB6_6044
	s_branch .LBB6_6045
.LBB6_6363:                             ;   in Loop: Header=BB6_5840 Depth=4
	s_mov_b32 s14, -1
	s_mov_b32 s38, exec_lo
                                        ; implicit-def: $sgpr36
	v_cmpx_eq_u16_e32 0x80, v36
; %bb.6364:                             ;   in Loop: Header=BB6_5840 Depth=4
	s_mov_b32 s36, 0x7f800001
	s_xor_b32 s14, exec_lo, -1
; %bb.6365:                             ;   in Loop: Header=BB6_5840 Depth=4
	s_or_b32 exec_lo, exec_lo, s38
	s_delay_alu instid0(SALU_CYCLE_1)
	s_and_b32 s14, s14, exec_lo
                                        ; implicit-def: $vgpr36
	s_or_saveexec_b32 s37, s37
	v_mov_b32_e32 v27, s36
	s_xor_b32 exec_lo, exec_lo, s37
	s_cbranch_execz .LBB6_6047
.LBB6_6366:                             ;   in Loop: Header=BB6_5840 Depth=4
	v_cmp_ne_u16_e32 vcc_lo, 0, v36
	v_mov_b32_e32 v27, 0
	s_and_not1_b32 s14, s14, exec_lo
	s_and_b32 vcc_lo, vcc_lo, exec_lo
	s_delay_alu instid0(SALU_CYCLE_1)
	s_or_b32 s14, s14, vcc_lo
	s_or_b32 exec_lo, exec_lo, s37
	s_and_saveexec_b32 s36, s14
	s_cbranch_execnz .LBB6_6048
	s_branch .LBB6_6049
.LBB6_6367:                             ;   in Loop: Header=BB6_5840 Depth=4
	s_mov_b32 s14, -1
	s_mov_b32 s38, exec_lo
                                        ; implicit-def: $sgpr36
	v_cmpx_eq_u16_e32 0x80, v27
; %bb.6368:                             ;   in Loop: Header=BB6_5840 Depth=4
	s_mov_b32 s36, 0x7f800001
	s_xor_b32 s14, exec_lo, -1
; %bb.6369:                             ;   in Loop: Header=BB6_5840 Depth=4
	s_or_b32 exec_lo, exec_lo, s38
	s_delay_alu instid0(SALU_CYCLE_1)
	s_and_b32 s14, s14, exec_lo
                                        ; implicit-def: $vgpr27
	s_or_saveexec_b32 s37, s37
	v_mov_b32_e32 v26, s36
	s_xor_b32 exec_lo, exec_lo, s37
	s_cbranch_execz .LBB6_6059
.LBB6_6370:                             ;   in Loop: Header=BB6_5840 Depth=4
	v_cmp_ne_u16_e32 vcc_lo, 0, v27
	v_mov_b32_e32 v26, 0
	s_and_not1_b32 s14, s14, exec_lo
	s_and_b32 vcc_lo, vcc_lo, exec_lo
	s_delay_alu instid0(SALU_CYCLE_1)
	s_or_b32 s14, s14, vcc_lo
	s_or_b32 exec_lo, exec_lo, s37
	s_and_saveexec_b32 s36, s14
	s_cbranch_execnz .LBB6_6060
	s_branch .LBB6_6061
.LBB6_6371:                             ;   in Loop: Header=BB6_5840 Depth=4
	s_mov_b32 s14, -1
	s_mov_b32 s38, exec_lo
                                        ; implicit-def: $sgpr36
	v_cmpx_eq_u16_e32 0x80, v27
; %bb.6372:                             ;   in Loop: Header=BB6_5840 Depth=4
	s_mov_b32 s36, 0x7f800001
	s_xor_b32 s14, exec_lo, -1
; %bb.6373:                             ;   in Loop: Header=BB6_5840 Depth=4
	s_or_b32 exec_lo, exec_lo, s38
	s_delay_alu instid0(SALU_CYCLE_1)
	s_and_b32 s14, s14, exec_lo
	s_or_saveexec_b32 s37, s37
	v_mov_b32_e32 v36, s36
	s_xor_b32 exec_lo, exec_lo, s37
	s_cbranch_execz .LBB6_6063
.LBB6_6374:                             ;   in Loop: Header=BB6_5840 Depth=4
	v_cmp_ne_u16_e32 vcc_lo, 0, v27
	v_mov_b32_e32 v36, 0
	s_and_not1_b32 s14, s14, exec_lo
	s_and_b32 vcc_lo, vcc_lo, exec_lo
	s_delay_alu instid0(SALU_CYCLE_1)
	s_or_b32 s14, s14, vcc_lo
	s_or_b32 exec_lo, exec_lo, s37
	s_and_saveexec_b32 s36, s14
	s_cbranch_execnz .LBB6_6064
	s_branch .LBB6_6065
.LBB6_6375:                             ;   in Loop: Header=BB6_5840 Depth=4
	s_mov_b32 s14, -1
	s_mov_b32 s38, exec_lo
                                        ; implicit-def: $sgpr36
	v_cmpx_eq_u16_e32 0x80, v27
; %bb.6376:                             ;   in Loop: Header=BB6_5840 Depth=4
	s_mov_b32 s36, 0x7f800001
	s_xor_b32 s14, exec_lo, -1
; %bb.6377:                             ;   in Loop: Header=BB6_5840 Depth=4
	s_or_b32 exec_lo, exec_lo, s38
	s_delay_alu instid0(SALU_CYCLE_1)
	s_and_b32 s14, s14, exec_lo
                                        ; implicit-def: $vgpr27
	s_or_saveexec_b32 s37, s37
	v_mov_b32_e32 v26, s36
	s_xor_b32 exec_lo, exec_lo, s37
	s_cbranch_execz .LBB6_6075
.LBB6_6378:                             ;   in Loop: Header=BB6_5840 Depth=4
	v_cmp_ne_u16_e32 vcc_lo, 0, v27
	v_mov_b32_e32 v26, 0
	s_and_not1_b32 s14, s14, exec_lo
	s_and_b32 vcc_lo, vcc_lo, exec_lo
	s_delay_alu instid0(SALU_CYCLE_1)
	s_or_b32 s14, s14, vcc_lo
	s_or_b32 exec_lo, exec_lo, s37
	s_and_saveexec_b32 s36, s14
	s_cbranch_execnz .LBB6_6076
	s_branch .LBB6_6077
.LBB6_6379:                             ;   in Loop: Header=BB6_5840 Depth=4
	s_mov_b32 s14, -1
	s_mov_b32 s38, exec_lo
                                        ; implicit-def: $sgpr36
	v_cmpx_eq_u16_e32 0x80, v37
; %bb.6380:                             ;   in Loop: Header=BB6_5840 Depth=4
	s_mov_b32 s36, 0x7f800001
	s_xor_b32 s14, exec_lo, -1
; %bb.6381:                             ;   in Loop: Header=BB6_5840 Depth=4
	s_or_b32 exec_lo, exec_lo, s38
	s_delay_alu instid0(SALU_CYCLE_1)
	s_and_b32 s14, s14, exec_lo
                                        ; implicit-def: $vgpr37
	s_or_saveexec_b32 s37, s37
	v_mov_b32_e32 v36, s36
	s_xor_b32 exec_lo, exec_lo, s37
	s_cbranch_execz .LBB6_6079
.LBB6_6382:                             ;   in Loop: Header=BB6_5840 Depth=4
	v_cmp_ne_u16_e32 vcc_lo, 0, v37
	v_mov_b32_e32 v36, 0
	s_and_not1_b32 s14, s14, exec_lo
	s_and_b32 vcc_lo, vcc_lo, exec_lo
	s_delay_alu instid0(SALU_CYCLE_1)
	s_or_b32 s14, s14, vcc_lo
	s_or_b32 exec_lo, exec_lo, s37
	s_and_saveexec_b32 s36, s14
	s_cbranch_execnz .LBB6_6080
	s_branch .LBB6_6081
.LBB6_6383:                             ;   in Loop: Header=BB6_5840 Depth=4
	s_mov_b32 s14, -1
	s_mov_b32 s38, exec_lo
                                        ; implicit-def: $sgpr36
	v_cmpx_eq_u16_e32 0x80, v27
; %bb.6384:                             ;   in Loop: Header=BB6_5840 Depth=4
	s_mov_b32 s36, 0x7f800001
	s_xor_b32 s14, exec_lo, -1
; %bb.6385:                             ;   in Loop: Header=BB6_5840 Depth=4
	s_or_b32 exec_lo, exec_lo, s38
	s_delay_alu instid0(SALU_CYCLE_1)
	s_and_b32 s14, s14, exec_lo
	s_or_saveexec_b32 s37, s37
	v_mov_b32_e32 v26, s36
	s_xor_b32 exec_lo, exec_lo, s37
	s_cbranch_execz .LBB6_6091
.LBB6_6386:                             ;   in Loop: Header=BB6_5840 Depth=4
	v_cmp_ne_u16_e32 vcc_lo, 0, v27
	v_mov_b32_e32 v26, 0
	s_and_not1_b32 s14, s14, exec_lo
	s_and_b32 vcc_lo, vcc_lo, exec_lo
	s_delay_alu instid0(SALU_CYCLE_1)
	s_or_b32 s14, s14, vcc_lo
	s_or_b32 exec_lo, exec_lo, s37
	s_and_saveexec_b32 s36, s14
	s_cbranch_execnz .LBB6_6092
	s_branch .LBB6_6093
.LBB6_6387:                             ;   in Loop: Header=BB6_5840 Depth=4
	s_mov_b32 s14, -1
	s_mov_b32 s38, exec_lo
                                        ; implicit-def: $sgpr36
	v_cmpx_eq_u16_e32 0x80, v27
; %bb.6388:                             ;   in Loop: Header=BB6_5840 Depth=4
	s_mov_b32 s36, 0x7f800001
	s_xor_b32 s14, exec_lo, -1
; %bb.6389:                             ;   in Loop: Header=BB6_5840 Depth=4
	s_or_b32 exec_lo, exec_lo, s38
	s_delay_alu instid0(SALU_CYCLE_1)
	s_and_b32 s14, s14, exec_lo
	s_or_saveexec_b32 s37, s37
	v_mov_b32_e32 v36, s36
	s_xor_b32 exec_lo, exec_lo, s37
	s_cbranch_execz .LBB6_6095
.LBB6_6390:                             ;   in Loop: Header=BB6_5840 Depth=4
	v_cmp_ne_u16_e32 vcc_lo, 0, v27
	v_mov_b32_e32 v36, 0
	s_and_not1_b32 s14, s14, exec_lo
	s_and_b32 vcc_lo, vcc_lo, exec_lo
	s_delay_alu instid0(SALU_CYCLE_1)
	s_or_b32 s14, s14, vcc_lo
	s_or_b32 exec_lo, exec_lo, s37
	s_and_saveexec_b32 s36, s14
	s_cbranch_execnz .LBB6_6096
	s_branch .LBB6_6097
.LBB6_6391:                             ;   in Loop: Header=BB6_5840 Depth=4
	s_mov_b32 s14, -1
	s_mov_b32 s38, exec_lo
                                        ; implicit-def: $sgpr36
	v_cmpx_eq_u16_e32 0x80, v36
; %bb.6392:                             ;   in Loop: Header=BB6_5840 Depth=4
	s_mov_b32 s36, 0x7f800001
	s_xor_b32 s14, exec_lo, -1
; %bb.6393:                             ;   in Loop: Header=BB6_5840 Depth=4
	s_or_b32 exec_lo, exec_lo, s38
	s_delay_alu instid0(SALU_CYCLE_1)
	s_and_b32 s14, s14, exec_lo
                                        ; implicit-def: $vgpr36
	s_or_saveexec_b32 s37, s37
	v_mov_b32_e32 v27, s36
	s_xor_b32 exec_lo, exec_lo, s37
	s_cbranch_execz .LBB6_6107
.LBB6_6394:                             ;   in Loop: Header=BB6_5840 Depth=4
	v_cmp_ne_u16_e32 vcc_lo, 0, v36
	v_mov_b32_e32 v27, 0
	s_and_not1_b32 s14, s14, exec_lo
	s_and_b32 vcc_lo, vcc_lo, exec_lo
	s_delay_alu instid0(SALU_CYCLE_1)
	s_or_b32 s14, s14, vcc_lo
	s_or_b32 exec_lo, exec_lo, s37
	s_and_saveexec_b32 s36, s14
	s_cbranch_execnz .LBB6_6108
	s_branch .LBB6_6109
.LBB6_6395:                             ;   in Loop: Header=BB6_5840 Depth=4
	s_mov_b32 s14, -1
	s_mov_b32 s38, exec_lo
                                        ; implicit-def: $sgpr36
	v_cmpx_eq_u16_e32 0x80, v37
; %bb.6396:                             ;   in Loop: Header=BB6_5840 Depth=4
	s_mov_b32 s36, 0x7f800001
	s_xor_b32 s14, exec_lo, -1
; %bb.6397:                             ;   in Loop: Header=BB6_5840 Depth=4
	s_or_b32 exec_lo, exec_lo, s38
	s_delay_alu instid0(SALU_CYCLE_1)
	s_and_b32 s14, s14, exec_lo
                                        ; implicit-def: $vgpr37
	s_or_saveexec_b32 s37, s37
	v_mov_b32_e32 v36, s36
	s_xor_b32 exec_lo, exec_lo, s37
	s_cbranch_execz .LBB6_6111
.LBB6_6398:                             ;   in Loop: Header=BB6_5840 Depth=4
	v_cmp_ne_u16_e32 vcc_lo, 0, v37
	v_mov_b32_e32 v36, 0
	s_and_not1_b32 s14, s14, exec_lo
	s_and_b32 vcc_lo, vcc_lo, exec_lo
	s_delay_alu instid0(SALU_CYCLE_1)
	s_or_b32 s14, s14, vcc_lo
	s_or_b32 exec_lo, exec_lo, s37
	s_and_saveexec_b32 s36, s14
	s_cbranch_execnz .LBB6_6112
	s_branch .LBB6_6113
.LBB6_6399:                             ;   in Loop: Header=BB6_5840 Depth=4
	s_mov_b32 s14, -1
	s_mov_b32 s38, exec_lo
                                        ; implicit-def: $sgpr36
	v_cmpx_eq_u16_e32 0x80, v36
; %bb.6400:                             ;   in Loop: Header=BB6_5840 Depth=4
	s_mov_b32 s36, 0x7f800001
	s_xor_b32 s14, exec_lo, -1
; %bb.6401:                             ;   in Loop: Header=BB6_5840 Depth=4
	s_or_b32 exec_lo, exec_lo, s38
	s_delay_alu instid0(SALU_CYCLE_1)
	s_and_b32 s14, s14, exec_lo
	s_or_saveexec_b32 s37, s37
	v_mov_b32_e32 v27, s36
	s_xor_b32 exec_lo, exec_lo, s37
	s_cbranch_execz .LBB6_6123
.LBB6_6402:                             ;   in Loop: Header=BB6_5840 Depth=4
	v_cmp_ne_u16_e32 vcc_lo, 0, v36
	v_mov_b32_e32 v27, 0
	s_and_not1_b32 s14, s14, exec_lo
	s_and_b32 vcc_lo, vcc_lo, exec_lo
	s_delay_alu instid0(SALU_CYCLE_1)
	s_or_b32 s14, s14, vcc_lo
	s_or_b32 exec_lo, exec_lo, s37
	s_and_saveexec_b32 s36, s14
	s_cbranch_execnz .LBB6_6124
	s_branch .LBB6_6125
.LBB6_6403:                             ;   in Loop: Header=BB6_5840 Depth=4
	s_mov_b32 s14, -1
	s_mov_b32 s38, exec_lo
                                        ; implicit-def: $sgpr36
	v_cmpx_eq_u16_e32 0x80, v36
; %bb.6404:                             ;   in Loop: Header=BB6_5840 Depth=4
	s_mov_b32 s36, 0x7f800001
	s_xor_b32 s14, exec_lo, -1
; %bb.6405:                             ;   in Loop: Header=BB6_5840 Depth=4
	s_or_b32 exec_lo, exec_lo, s38
	s_delay_alu instid0(SALU_CYCLE_1)
	s_and_b32 s14, s14, exec_lo
	s_or_saveexec_b32 s37, s37
	v_mov_b32_e32 v37, s36
	s_xor_b32 exec_lo, exec_lo, s37
	s_cbranch_execz .LBB6_6127
.LBB6_6406:                             ;   in Loop: Header=BB6_5840 Depth=4
	v_cmp_ne_u16_e32 vcc_lo, 0, v36
	v_mov_b32_e32 v37, 0
	s_and_not1_b32 s14, s14, exec_lo
	s_and_b32 vcc_lo, vcc_lo, exec_lo
	s_delay_alu instid0(SALU_CYCLE_1)
	s_or_b32 s14, s14, vcc_lo
	s_or_b32 exec_lo, exec_lo, s37
	s_and_saveexec_b32 s36, s14
	s_cbranch_execnz .LBB6_6128
	s_branch .LBB6_6129
.LBB6_6407:                             ;   in Loop: Header=BB6_5840 Depth=4
	s_mov_b32 s14, -1
	s_mov_b32 s38, exec_lo
                                        ; implicit-def: $sgpr36
	v_cmpx_eq_u16_e32 0x80, v37
; %bb.6408:                             ;   in Loop: Header=BB6_5840 Depth=4
	s_mov_b32 s36, 0x7f800001
	s_xor_b32 s14, exec_lo, -1
; %bb.6409:                             ;   in Loop: Header=BB6_5840 Depth=4
	s_or_b32 exec_lo, exec_lo, s38
	s_delay_alu instid0(SALU_CYCLE_1)
	s_and_b32 s14, s14, exec_lo
                                        ; implicit-def: $vgpr37
	s_or_saveexec_b32 s37, s37
	v_mov_b32_e32 v27, s36
	s_xor_b32 exec_lo, exec_lo, s37
	s_cbranch_execz .LBB6_6139
.LBB6_6410:                             ;   in Loop: Header=BB6_5840 Depth=4
	v_cmp_ne_u16_e32 vcc_lo, 0, v37
	v_mov_b32_e32 v27, 0
	s_and_not1_b32 s14, s14, exec_lo
	s_and_b32 vcc_lo, vcc_lo, exec_lo
	s_delay_alu instid0(SALU_CYCLE_1)
	s_or_b32 s14, s14, vcc_lo
	s_or_b32 exec_lo, exec_lo, s37
	v_lshl_or_b32 v26, v36, 16, v26
	s_and_saveexec_b32 s36, s14
	s_cbranch_execnz .LBB6_6140
	s_branch .LBB6_6141
.LBB6_6411:                             ;   in Loop: Header=BB6_5840 Depth=4
	s_mov_b32 s14, -1
	s_mov_b32 s38, exec_lo
                                        ; implicit-def: $sgpr36
	v_cmpx_eq_u16_e32 0x80, v38
; %bb.6412:                             ;   in Loop: Header=BB6_5840 Depth=4
	s_mov_b32 s36, 0x7f800001
	s_xor_b32 s14, exec_lo, -1
; %bb.6413:                             ;   in Loop: Header=BB6_5840 Depth=4
	s_or_b32 exec_lo, exec_lo, s38
	s_delay_alu instid0(SALU_CYCLE_1)
	s_and_b32 s14, s14, exec_lo
                                        ; implicit-def: $vgpr38
	s_or_saveexec_b32 s37, s37
	v_mov_b32_e32 v37, s36
	s_xor_b32 exec_lo, exec_lo, s37
	s_cbranch_execz .LBB6_6143
.LBB6_6414:                             ;   in Loop: Header=BB6_5840 Depth=4
	v_cmp_ne_u16_e32 vcc_lo, 0, v38
	v_mov_b32_e32 v37, 0
	s_and_not1_b32 s14, s14, exec_lo
	s_and_b32 vcc_lo, vcc_lo, exec_lo
	s_delay_alu instid0(SALU_CYCLE_1)
	s_or_b32 s14, s14, vcc_lo
	s_or_b32 exec_lo, exec_lo, s37
	s_and_saveexec_b32 s36, s14
	s_cbranch_execnz .LBB6_6144
	s_branch .LBB6_6145
.LBB6_6415:                             ;   in Loop: Header=BB6_5840 Depth=4
	s_mov_b32 s14, -1
	s_mov_b32 s38, exec_lo
                                        ; implicit-def: $sgpr36
	v_cmpx_eq_u16_e32 0x80, v36
; %bb.6416:                             ;   in Loop: Header=BB6_5840 Depth=4
	s_mov_b32 s36, 0x7f800001
	s_xor_b32 s14, exec_lo, -1
; %bb.6417:                             ;   in Loop: Header=BB6_5840 Depth=4
	s_or_b32 exec_lo, exec_lo, s38
	s_delay_alu instid0(SALU_CYCLE_1)
	s_and_b32 s14, s14, exec_lo
	s_or_saveexec_b32 s37, s37
	v_mov_b32_e32 v27, s36
	s_xor_b32 exec_lo, exec_lo, s37
	s_cbranch_execz .LBB6_6155
.LBB6_6418:                             ;   in Loop: Header=BB6_5840 Depth=4
	v_cmp_ne_u16_e32 vcc_lo, 0, v36
	v_mov_b32_e32 v27, 0
	s_and_not1_b32 s14, s14, exec_lo
	s_and_b32 vcc_lo, vcc_lo, exec_lo
	s_delay_alu instid0(SALU_CYCLE_1)
	s_or_b32 s14, s14, vcc_lo
	s_or_b32 exec_lo, exec_lo, s37
	s_and_saveexec_b32 s36, s14
	s_cbranch_execnz .LBB6_6156
	s_branch .LBB6_6157
.LBB6_6419:                             ;   in Loop: Header=BB6_5840 Depth=4
	s_mov_b32 s14, -1
	s_mov_b32 s38, exec_lo
                                        ; implicit-def: $sgpr36
	v_cmpx_eq_u16_e32 0x80, v26
; %bb.6420:                             ;   in Loop: Header=BB6_5840 Depth=4
	s_mov_b32 s36, 0x7f800001
	s_xor_b32 s14, exec_lo, -1
; %bb.6421:                             ;   in Loop: Header=BB6_5840 Depth=4
	s_or_b32 exec_lo, exec_lo, s38
	s_delay_alu instid0(SALU_CYCLE_1)
	s_and_b32 s14, s14, exec_lo
	s_or_saveexec_b32 s37, s37
	v_mov_b32_e32 v36, s36
	s_xor_b32 exec_lo, exec_lo, s37
	s_cbranch_execz .LBB6_6159
.LBB6_6422:                             ;   in Loop: Header=BB6_5840 Depth=4
	v_cmp_ne_u16_e32 vcc_lo, 0, v26
	v_mov_b32_e32 v36, 0
	s_and_not1_b32 s14, s14, exec_lo
	s_and_b32 vcc_lo, vcc_lo, exec_lo
	s_delay_alu instid0(SALU_CYCLE_1)
	s_or_b32 s14, s14, vcc_lo
	s_or_b32 exec_lo, exec_lo, s37
	s_and_saveexec_b32 s36, s14
	s_cbranch_execnz .LBB6_6160
	s_branch .LBB6_6161
.LBB6_6423:                             ;   in Loop: Header=BB6_5840 Depth=4
	s_mov_b32 s14, -1
	s_mov_b32 s38, exec_lo
                                        ; implicit-def: $sgpr36
	v_cmpx_eq_u16_e32 0x80, v27
; %bb.6424:                             ;   in Loop: Header=BB6_5840 Depth=4
	s_mov_b32 s36, 0x7f800001
	s_xor_b32 s14, exec_lo, -1
; %bb.6425:                             ;   in Loop: Header=BB6_5840 Depth=4
	s_or_b32 exec_lo, exec_lo, s38
	s_delay_alu instid0(SALU_CYCLE_1)
	s_and_b32 s14, s14, exec_lo
                                        ; implicit-def: $vgpr27
	s_or_saveexec_b32 s37, s37
	v_mov_b32_e32 v26, s36
	s_xor_b32 exec_lo, exec_lo, s37
	s_cbranch_execz .LBB6_6171
.LBB6_6426:                             ;   in Loop: Header=BB6_5840 Depth=4
	v_cmp_ne_u16_e32 vcc_lo, 0, v27
	v_mov_b32_e32 v26, 0
	s_and_not1_b32 s14, s14, exec_lo
	s_and_b32 vcc_lo, vcc_lo, exec_lo
	s_delay_alu instid0(SALU_CYCLE_1)
	s_or_b32 s14, s14, vcc_lo
	s_or_b32 exec_lo, exec_lo, s37
	s_and_saveexec_b32 s36, s14
	s_cbranch_execnz .LBB6_6172
	s_branch .LBB6_6173
.LBB6_6427:                             ;   in Loop: Header=BB6_5840 Depth=4
	s_mov_b32 s14, -1
	s_mov_b32 s38, exec_lo
                                        ; implicit-def: $sgpr36
	v_cmpx_eq_u16_e32 0x80, v36
; %bb.6428:                             ;   in Loop: Header=BB6_5840 Depth=4
	s_mov_b32 s36, 0x7f800001
	s_xor_b32 s14, exec_lo, -1
; %bb.6429:                             ;   in Loop: Header=BB6_5840 Depth=4
	s_or_b32 exec_lo, exec_lo, s38
	s_delay_alu instid0(SALU_CYCLE_1)
	s_and_b32 s14, s14, exec_lo
                                        ; implicit-def: $vgpr36
	s_or_saveexec_b32 s37, s37
	v_mov_b32_e32 v27, s36
	s_xor_b32 exec_lo, exec_lo, s37
	s_cbranch_execz .LBB6_6175
.LBB6_6430:                             ;   in Loop: Header=BB6_5840 Depth=4
	v_cmp_ne_u16_e32 vcc_lo, 0, v36
	v_mov_b32_e32 v27, 0
	s_and_not1_b32 s14, s14, exec_lo
	s_and_b32 vcc_lo, vcc_lo, exec_lo
	s_delay_alu instid0(SALU_CYCLE_1)
	s_or_b32 s14, s14, vcc_lo
	s_or_b32 exec_lo, exec_lo, s37
	s_and_saveexec_b32 s36, s14
	s_cbranch_execnz .LBB6_6176
	s_branch .LBB6_6177
.LBB6_6431:                             ;   in Loop: Header=BB6_5840 Depth=4
	s_mov_b32 s14, -1
	s_mov_b32 s38, exec_lo
                                        ; implicit-def: $sgpr36
	v_cmpx_eq_u16_e32 0x80, v27
; %bb.6432:                             ;   in Loop: Header=BB6_5840 Depth=4
	s_mov_b32 s36, 0x7f800001
	s_xor_b32 s14, exec_lo, -1
; %bb.6433:                             ;   in Loop: Header=BB6_5840 Depth=4
	s_or_b32 exec_lo, exec_lo, s38
	s_delay_alu instid0(SALU_CYCLE_1)
	s_and_b32 s14, s14, exec_lo
                                        ; implicit-def: $vgpr27
	s_or_saveexec_b32 s37, s37
	v_mov_b32_e32 v26, s36
	s_xor_b32 exec_lo, exec_lo, s37
	s_cbranch_execz .LBB6_6187
.LBB6_6434:                             ;   in Loop: Header=BB6_5840 Depth=4
	v_cmp_ne_u16_e32 vcc_lo, 0, v27
	v_mov_b32_e32 v26, 0
	s_and_not1_b32 s14, s14, exec_lo
	s_and_b32 vcc_lo, vcc_lo, exec_lo
	s_delay_alu instid0(SALU_CYCLE_1)
	s_or_b32 s14, s14, vcc_lo
	s_or_b32 exec_lo, exec_lo, s37
	s_and_saveexec_b32 s36, s14
	s_cbranch_execnz .LBB6_6188
	s_branch .LBB6_6189
.LBB6_6435:                             ;   in Loop: Header=BB6_5840 Depth=4
	s_mov_b32 s14, -1
	s_mov_b32 s38, exec_lo
                                        ; implicit-def: $sgpr36
	v_cmpx_eq_u16_e32 0x80, v27
; %bb.6436:                             ;   in Loop: Header=BB6_5840 Depth=4
	s_mov_b32 s36, 0x7f800001
	s_xor_b32 s14, exec_lo, -1
; %bb.6437:                             ;   in Loop: Header=BB6_5840 Depth=4
	s_or_b32 exec_lo, exec_lo, s38
	s_delay_alu instid0(SALU_CYCLE_1)
	s_and_b32 s14, s14, exec_lo
	s_or_saveexec_b32 s37, s37
	v_mov_b32_e32 v37, s36
	s_xor_b32 exec_lo, exec_lo, s37
	s_cbranch_execz .LBB6_6191
.LBB6_6438:                             ;   in Loop: Header=BB6_5840 Depth=4
	v_cmp_ne_u16_e32 vcc_lo, 0, v27
	v_mov_b32_e32 v37, 0
	s_and_not1_b32 s14, s14, exec_lo
	s_and_b32 vcc_lo, vcc_lo, exec_lo
	s_delay_alu instid0(SALU_CYCLE_1)
	s_or_b32 s14, s14, vcc_lo
	s_or_b32 exec_lo, exec_lo, s37
	s_and_saveexec_b32 s36, s14
	s_cbranch_execnz .LBB6_6192
	s_branch .LBB6_6193
.LBB6_6439:                             ;   in Loop: Header=BB6_5840 Depth=4
	s_mov_b32 s14, -1
	s_mov_b32 s38, exec_lo
                                        ; implicit-def: $sgpr36
	v_cmpx_eq_u16_e32 0x80, v37
; %bb.6440:                             ;   in Loop: Header=BB6_5840 Depth=4
	s_mov_b32 s36, 0x7f800001
	s_xor_b32 s14, exec_lo, -1
; %bb.6441:                             ;   in Loop: Header=BB6_5840 Depth=4
	s_or_b32 exec_lo, exec_lo, s38
	s_delay_alu instid0(SALU_CYCLE_1)
	s_and_b32 s14, s14, exec_lo
                                        ; implicit-def: $vgpr37
	s_or_saveexec_b32 s37, s37
	v_mov_b32_e32 v27, s36
	s_xor_b32 exec_lo, exec_lo, s37
	s_cbranch_execz .LBB6_6203
.LBB6_6442:                             ;   in Loop: Header=BB6_5840 Depth=4
	v_cmp_ne_u16_e32 vcc_lo, 0, v37
	v_mov_b32_e32 v27, 0
	s_and_not1_b32 s14, s14, exec_lo
	s_and_b32 vcc_lo, vcc_lo, exec_lo
	s_delay_alu instid0(SALU_CYCLE_1)
	s_or_b32 s14, s14, vcc_lo
	s_or_b32 exec_lo, exec_lo, s37
	s_and_saveexec_b32 s36, s14
	s_cbranch_execnz .LBB6_6204
	s_branch .LBB6_6205
.LBB6_6443:                             ;   in Loop: Header=BB6_5840 Depth=4
	s_mov_b32 s14, -1
	s_mov_b32 s38, exec_lo
                                        ; implicit-def: $sgpr36
	v_cmpx_eq_u16_e32 0x80, v39
; %bb.6444:                             ;   in Loop: Header=BB6_5840 Depth=4
	s_mov_b32 s36, 0x7f800001
	s_xor_b32 s14, exec_lo, -1
; %bb.6445:                             ;   in Loop: Header=BB6_5840 Depth=4
	s_or_b32 exec_lo, exec_lo, s38
	s_delay_alu instid0(SALU_CYCLE_1)
	s_and_b32 s14, s14, exec_lo
                                        ; implicit-def: $vgpr39
	s_or_saveexec_b32 s37, s37
	v_mov_b32_e32 v38, s36
	s_xor_b32 exec_lo, exec_lo, s37
	s_cbranch_execz .LBB6_6207
.LBB6_6446:                             ;   in Loop: Header=BB6_5840 Depth=4
	v_cmp_ne_u16_e32 vcc_lo, 0, v39
	v_mov_b32_e32 v38, 0
	s_and_not1_b32 s14, s14, exec_lo
	s_and_b32 vcc_lo, vcc_lo, exec_lo
	s_delay_alu instid0(SALU_CYCLE_1)
	s_or_b32 s14, s14, vcc_lo
	s_or_b32 exec_lo, exec_lo, s37
	s_and_saveexec_b32 s36, s14
	s_cbranch_execnz .LBB6_6208
	s_branch .LBB6_6209
.LBB6_6447:                             ;   in Loop: Header=BB6_5840 Depth=4
	s_mov_b32 s14, -1
	s_mov_b32 s38, exec_lo
                                        ; implicit-def: $sgpr36
	v_cmpx_eq_u16_e32 0x80, v38
; %bb.6448:                             ;   in Loop: Header=BB6_5840 Depth=4
	s_mov_b32 s36, 0x7f800001
	s_xor_b32 s14, exec_lo, -1
; %bb.6449:                             ;   in Loop: Header=BB6_5840 Depth=4
	s_or_b32 exec_lo, exec_lo, s38
	s_delay_alu instid0(SALU_CYCLE_1)
	s_and_b32 s14, s14, exec_lo
	s_or_saveexec_b32 s37, s37
	v_mov_b32_e32 v37, s36
	s_xor_b32 exec_lo, exec_lo, s37
	s_cbranch_execz .LBB6_6219
.LBB6_6450:                             ;   in Loop: Header=BB6_5840 Depth=4
	v_cmp_ne_u16_e32 vcc_lo, 0, v38
	v_mov_b32_e32 v37, 0
	s_and_not1_b32 s14, s14, exec_lo
	s_and_b32 vcc_lo, vcc_lo, exec_lo
	s_delay_alu instid0(SALU_CYCLE_1)
	s_or_b32 s14, s14, vcc_lo
	s_or_b32 exec_lo, exec_lo, s37
	s_and_saveexec_b32 s36, s14
	s_cbranch_execnz .LBB6_6220
	s_branch .LBB6_6221
.LBB6_6451:                             ;   in Loop: Header=BB6_5840 Depth=4
	s_mov_b32 s14, -1
	s_mov_b32 s38, exec_lo
                                        ; implicit-def: $sgpr36
	v_cmpx_eq_u16_e32 0x80, v38
; %bb.6452:                             ;   in Loop: Header=BB6_5840 Depth=4
	s_mov_b32 s36, 0x7f800001
	s_xor_b32 s14, exec_lo, -1
; %bb.6453:                             ;   in Loop: Header=BB6_5840 Depth=4
	s_or_b32 exec_lo, exec_lo, s38
	s_delay_alu instid0(SALU_CYCLE_1)
	s_and_b32 s14, s14, exec_lo
	s_or_saveexec_b32 s37, s37
	v_mov_b32_e32 v39, s36
	s_xor_b32 exec_lo, exec_lo, s37
	s_cbranch_execz .LBB6_6223
.LBB6_6454:                             ;   in Loop: Header=BB6_5840 Depth=4
	v_cmp_ne_u16_e32 vcc_lo, 0, v38
	v_mov_b32_e32 v39, 0
	s_and_not1_b32 s14, s14, exec_lo
	s_and_b32 vcc_lo, vcc_lo, exec_lo
	s_delay_alu instid0(SALU_CYCLE_1)
	s_or_b32 s14, s14, vcc_lo
	s_or_b32 exec_lo, exec_lo, s37
	s_and_saveexec_b32 s36, s14
	s_cbranch_execnz .LBB6_6224
	s_branch .LBB6_6225
.LBB6_6455:                             ;   in Loop: Header=BB6_5840 Depth=4
	s_mov_b32 s14, -1
	s_mov_b32 s38, exec_lo
                                        ; implicit-def: $sgpr36
	v_cmpx_eq_u16_e32 0x80, v39
; %bb.6456:                             ;   in Loop: Header=BB6_5840 Depth=4
	s_mov_b32 s36, 0x7f800001
	s_xor_b32 s14, exec_lo, -1
; %bb.6457:                             ;   in Loop: Header=BB6_5840 Depth=4
	s_or_b32 exec_lo, exec_lo, s38
	s_delay_alu instid0(SALU_CYCLE_1)
	s_and_b32 s14, s14, exec_lo
                                        ; implicit-def: $vgpr39
	s_or_saveexec_b32 s37, s37
	v_mov_b32_e32 v37, s36
	s_xor_b32 exec_lo, exec_lo, s37
	s_cbranch_execz .LBB6_6235
.LBB6_6458:                             ;   in Loop: Header=BB6_5840 Depth=4
	v_cmp_ne_u16_e32 vcc_lo, 0, v39
	v_mov_b32_e32 v37, 0
	s_and_not1_b32 s14, s14, exec_lo
	s_and_b32 vcc_lo, vcc_lo, exec_lo
	s_delay_alu instid0(SALU_CYCLE_1)
	s_or_b32 s14, s14, vcc_lo
	s_or_b32 exec_lo, exec_lo, s37
	s_and_saveexec_b32 s36, s14
	s_cbranch_execnz .LBB6_6236
	s_branch .LBB6_6237
.LBB6_6459:                             ;   in Loop: Header=BB6_5840 Depth=4
	s_mov_b32 s14, -1
	s_mov_b32 s38, exec_lo
                                        ; implicit-def: $sgpr36
	v_cmpx_eq_u16_e32 0x80, v48
; %bb.6460:                             ;   in Loop: Header=BB6_5840 Depth=4
	s_mov_b32 s36, 0x7f800001
	s_xor_b32 s14, exec_lo, -1
; %bb.6461:                             ;   in Loop: Header=BB6_5840 Depth=4
	s_or_b32 exec_lo, exec_lo, s38
	s_delay_alu instid0(SALU_CYCLE_1)
	s_and_b32 s14, s14, exec_lo
                                        ; implicit-def: $vgpr48
	s_or_saveexec_b32 s37, s37
	v_mov_b32_e32 v39, s36
	s_xor_b32 exec_lo, exec_lo, s37
	s_cbranch_execz .LBB6_6239
.LBB6_6462:                             ;   in Loop: Header=BB6_5840 Depth=4
	v_cmp_ne_u16_e32 vcc_lo, 0, v48
	v_mov_b32_e32 v39, 0
	s_and_not1_b32 s14, s14, exec_lo
	s_and_b32 vcc_lo, vcc_lo, exec_lo
	s_delay_alu instid0(SALU_CYCLE_1)
	s_or_b32 s14, s14, vcc_lo
	s_or_b32 exec_lo, exec_lo, s37
	s_and_saveexec_b32 s36, s14
	s_cbranch_execnz .LBB6_6240
	s_branch .LBB6_6241
.LBB6_6463:                             ;   in Loop: Header=BB6_5840 Depth=4
	s_mov_b32 s14, -1
	s_mov_b32 s38, exec_lo
                                        ; implicit-def: $sgpr36
	v_cmpx_eq_u16_e32 0x80, v48
; %bb.6464:                             ;   in Loop: Header=BB6_5840 Depth=4
	s_mov_b32 s36, 0x7f800001
	s_xor_b32 s14, exec_lo, -1
; %bb.6465:                             ;   in Loop: Header=BB6_5840 Depth=4
	s_or_b32 exec_lo, exec_lo, s38
	s_delay_alu instid0(SALU_CYCLE_1)
	s_and_b32 s14, s14, exec_lo
	s_or_saveexec_b32 s37, s37
	v_mov_b32_e32 v39, s36
	s_xor_b32 exec_lo, exec_lo, s37
	s_cbranch_execz .LBB6_6251
.LBB6_6466:                             ;   in Loop: Header=BB6_5840 Depth=4
	v_cmp_ne_u16_e32 vcc_lo, 0, v48
	v_mov_b32_e32 v39, 0
	s_and_not1_b32 s14, s14, exec_lo
	s_and_b32 vcc_lo, vcc_lo, exec_lo
	s_delay_alu instid0(SALU_CYCLE_1)
	s_or_b32 s14, s14, vcc_lo
	s_or_b32 exec_lo, exec_lo, s37
	s_and_saveexec_b32 s36, s14
	s_cbranch_execnz .LBB6_6252
	s_branch .LBB6_6253
.LBB6_6467:                             ;   in Loop: Header=BB6_5840 Depth=4
	s_mov_b32 s14, -1
	s_mov_b32 s38, exec_lo
                                        ; implicit-def: $sgpr36
	v_cmpx_eq_u16_e32 0x80, v48
; %bb.6468:                             ;   in Loop: Header=BB6_5840 Depth=4
	s_mov_b32 s36, 0x7f800001
	s_xor_b32 s14, exec_lo, -1
; %bb.6469:                             ;   in Loop: Header=BB6_5840 Depth=4
	s_or_b32 exec_lo, exec_lo, s38
	s_delay_alu instid0(SALU_CYCLE_1)
	s_and_b32 s14, s14, exec_lo
	s_or_saveexec_b32 s37, s37
	v_mov_b32_e32 v49, s36
	s_xor_b32 exec_lo, exec_lo, s37
	s_cbranch_execz .LBB6_6255
.LBB6_6470:                             ;   in Loop: Header=BB6_5840 Depth=4
	v_cmp_ne_u16_e32 vcc_lo, 0, v48
	v_mov_b32_e32 v49, 0
	s_and_not1_b32 s14, s14, exec_lo
	s_and_b32 vcc_lo, vcc_lo, exec_lo
	s_delay_alu instid0(SALU_CYCLE_1)
	s_or_b32 s14, s14, vcc_lo
	s_or_b32 exec_lo, exec_lo, s37
	s_and_saveexec_b32 s36, s14
	s_cbranch_execnz .LBB6_6256
	s_branch .LBB6_6257
.LBB6_6471:                             ;   in Loop: Header=BB6_5840 Depth=4
	s_mov_b32 s14, -1
	s_mov_b32 s38, exec_lo
                                        ; implicit-def: $sgpr36
	v_cmpx_eq_u16_e32 0x80, v52
; %bb.6472:                             ;   in Loop: Header=BB6_5840 Depth=4
	s_mov_b32 s36, 0x7f800001
	s_xor_b32 s14, exec_lo, -1
; %bb.6473:                             ;   in Loop: Header=BB6_5840 Depth=4
	s_or_b32 exec_lo, exec_lo, s38
	s_delay_alu instid0(SALU_CYCLE_1)
	s_and_b32 s14, s14, exec_lo
                                        ; implicit-def: $vgpr52
	s_or_saveexec_b32 s37, s37
	v_mov_b32_e32 v49, s36
	s_xor_b32 exec_lo, exec_lo, s37
	s_cbranch_execz .LBB6_6267
.LBB6_6474:                             ;   in Loop: Header=BB6_5840 Depth=4
	v_cmp_ne_u16_e32 vcc_lo, 0, v52
	v_mov_b32_e32 v49, 0
	s_and_not1_b32 s14, s14, exec_lo
	s_and_b32 vcc_lo, vcc_lo, exec_lo
	s_delay_alu instid0(SALU_CYCLE_1)
	s_or_b32 s14, s14, vcc_lo
	s_or_b32 exec_lo, exec_lo, s37
	v_lshl_or_b32 v48, v48, 16, v38
	s_and_saveexec_b32 s36, s14
	s_cbranch_execnz .LBB6_6268
	s_branch .LBB6_6269
.LBB6_6475:                             ;   in Loop: Header=BB6_5840 Depth=4
	s_mov_b32 s14, -1
	s_mov_b32 s38, exec_lo
                                        ; implicit-def: $sgpr36
	v_cmpx_eq_u16_e32 0x80, v53
; %bb.6476:                             ;   in Loop: Header=BB6_5840 Depth=4
	s_mov_b32 s36, 0x7f800001
	s_xor_b32 s14, exec_lo, -1
; %bb.6477:                             ;   in Loop: Header=BB6_5840 Depth=4
	s_or_b32 exec_lo, exec_lo, s38
	s_delay_alu instid0(SALU_CYCLE_1)
	s_and_b32 s14, s14, exec_lo
                                        ; implicit-def: $vgpr53
	s_or_saveexec_b32 s37, s37
	v_mov_b32_e32 v52, s36
	s_xor_b32 exec_lo, exec_lo, s37
	s_cbranch_execz .LBB6_6271
.LBB6_6478:                             ;   in Loop: Header=BB6_5840 Depth=4
	v_cmp_ne_u16_e32 vcc_lo, 0, v53
	v_mov_b32_e32 v52, 0
	s_and_not1_b32 s14, s14, exec_lo
	s_and_b32 vcc_lo, vcc_lo, exec_lo
	s_delay_alu instid0(SALU_CYCLE_1)
	s_or_b32 s14, s14, vcc_lo
	s_or_b32 exec_lo, exec_lo, s37
	s_and_saveexec_b32 s36, s14
	s_cbranch_execnz .LBB6_6272
	s_branch .LBB6_6273
.LBB6_6479:                             ;   in Loop: Header=BB6_5840 Depth=4
	s_mov_b32 s14, -1
	s_mov_b32 s38, exec_lo
                                        ; implicit-def: $sgpr36
	v_cmpx_eq_u16_e32 0x80, v52
; %bb.6480:                             ;   in Loop: Header=BB6_5840 Depth=4
	s_mov_b32 s36, 0x7f800001
	s_xor_b32 s14, exec_lo, -1
; %bb.6481:                             ;   in Loop: Header=BB6_5840 Depth=4
	s_or_b32 exec_lo, exec_lo, s38
	s_delay_alu instid0(SALU_CYCLE_1)
	s_and_b32 s14, s14, exec_lo
	s_or_saveexec_b32 s37, s37
	v_mov_b32_e32 v49, s36
	s_xor_b32 exec_lo, exec_lo, s37
	s_cbranch_execz .LBB6_6283
.LBB6_6482:                             ;   in Loop: Header=BB6_5840 Depth=4
	v_cmp_ne_u16_e32 vcc_lo, 0, v52
	v_mov_b32_e32 v49, 0
	s_and_not1_b32 s14, s14, exec_lo
	s_and_b32 vcc_lo, vcc_lo, exec_lo
	s_delay_alu instid0(SALU_CYCLE_1)
	s_or_b32 s14, s14, vcc_lo
	s_or_b32 exec_lo, exec_lo, s37
	s_and_saveexec_b32 s36, s14
	s_cbranch_execnz .LBB6_6284
	s_branch .LBB6_6285
.LBB6_6483:                             ;   in Loop: Header=BB6_5840 Depth=4
	s_mov_b32 s14, -1
	s_mov_b32 s38, exec_lo
                                        ; implicit-def: $sgpr36
	v_cmpx_eq_u16_e32 0x80, v48
; %bb.6484:                             ;   in Loop: Header=BB6_5840 Depth=4
	s_mov_b32 s36, 0x7f800001
	s_xor_b32 s14, exec_lo, -1
; %bb.6485:                             ;   in Loop: Header=BB6_5840 Depth=4
	s_or_b32 exec_lo, exec_lo, s38
	s_delay_alu instid0(SALU_CYCLE_1)
	s_and_b32 s14, s14, exec_lo
	s_or_saveexec_b32 s37, s37
	v_mov_b32_e32 v52, s36
	s_xor_b32 exec_lo, exec_lo, s37
	s_cbranch_execz .LBB6_6287
.LBB6_6486:                             ;   in Loop: Header=BB6_5840 Depth=4
	v_cmp_ne_u16_e32 vcc_lo, 0, v48
	v_mov_b32_e32 v52, 0
	s_and_not1_b32 s14, s14, exec_lo
	s_and_b32 vcc_lo, vcc_lo, exec_lo
	s_delay_alu instid0(SALU_CYCLE_1)
	s_or_b32 s14, s14, vcc_lo
	s_or_b32 exec_lo, exec_lo, s37
	s_and_saveexec_b32 s36, s14
	s_cbranch_execnz .LBB6_6288
	s_branch .LBB6_6289
.LBB6_6487:                             ;   in Loop: Header=BB6_3175 Depth=3
	s_or_b32 exec_lo, exec_lo, s34
.LBB6_6488:                             ;   in Loop: Header=BB6_3175 Depth=3
	s_delay_alu instid0(SALU_CYCLE_1) | instskip(SKIP_3) | instid1(VALU_DEP_1)
	s_or_b32 exec_lo, exec_lo, s31
	v_dual_mov_b32 v16, 0 :: v_dual_and_b32 v9, 15, v69
	s_mov_b32 s14, 0
	s_mov_b32 s31, exec_lo
                                        ; implicit-def: $vgpr18
                                        ; implicit-def: $vgpr8
	v_cndmask_b32_e64 v17, v21, v9, s13
	s_delay_alu instid0(VALU_DEP_1)
	v_cmpx_ne_u32_e32 0, v17
	s_cbranch_execz .LBB6_6490
; %bb.6489:                             ;   in Loop: Header=BB6_3175 Depth=3
	v_cmp_lt_i32_e32 vcc_lo, 0, v22
	v_sub_nc_u32_e32 v9, v21, v9
	s_mov_b32 s14, exec_lo
	v_cndmask_b32_e32 v8, 0, v114, vcc_lo
	s_delay_alu instid0(VALU_DEP_2) | instskip(NEXT) | instid1(VALU_DEP_2)
	v_cndmask_b32_e64 v9, 0, v9, s13
	v_sub_nc_u32_e32 v8, v8, v22
	s_delay_alu instid0(VALU_DEP_2) | instskip(NEXT) | instid1(VALU_DEP_2)
	v_add3_u32 v16, v2, v19, v9
	v_lshl_add_u32 v18, v8, 5, v20
	s_delay_alu instid0(VALU_DEP_1) | instskip(NEXT) | instid1(VALU_DEP_1)
	v_ashrrev_i32_e32 v8, 31, v18
	v_lshrrev_b32_e32 v8, 27, v8
	s_delay_alu instid0(VALU_DEP_1) | instskip(NEXT) | instid1(VALU_DEP_1)
	v_add_nc_u32_e32 v8, v18, v8
	v_ashrrev_i32_e32 v8, 5, v8
.LBB6_6490:                             ;   in Loop: Header=BB6_3175 Depth=3
	s_or_b32 exec_lo, exec_lo, s31
	s_delay_alu instid0(SALU_CYCLE_1)
	s_and_b32 s13, s14, exec_lo
.LBB6_6491:                             ;   in Loop: Header=BB6_3175 Depth=3
	s_or_b32 exec_lo, exec_lo, s30
.LBB6_6492:                             ;   in Loop: Header=BB6_3175 Depth=3
	s_and_saveexec_b32 s14, s13
	s_cbranch_execz .LBB6_7844
; %bb.6493:                             ;   in Loop: Header=BB6_3175 Depth=3
	s_delay_alu instid0(VALU_DEP_1) | instskip(SKIP_1) | instid1(VALU_DEP_1)
	v_ashrrev_i32_e32 v2, 31, v17
	s_mov_b32 s30, exec_lo
	v_lshrrev_b32_e32 v2, 22, v2
	s_delay_alu instid0(VALU_DEP_1) | instskip(NEXT) | instid1(VALU_DEP_1)
	v_add_nc_u32_e32 v2, v17, v2
	v_ashrrev_i32_e32 v19, 10, v2
	s_delay_alu instid0(VALU_DEP_1) | instskip(NEXT) | instid1(VALU_DEP_1)
	v_sub_nc_u32_e32 v2, v19, v8
	v_cmpx_lt_i32_e32 0, v2
	s_cbranch_execz .LBB6_7788
; %bb.6494:                             ;   in Loop: Header=BB6_3175 Depth=3
	s_cbranch_execz .LBB6_6495
; %bb.18665:
	s_getpc_b64 s[48:49]
.Lpost_getpc359:
	s_add_u32 s48, s48, (.LBB6_18203-.Lpost_getpc359)&4294967295
	s_addc_u32 s49, s49, (.LBB6_18203-.Lpost_getpc359)>>32
	s_setpc_b64 s[48:49]
.LBB6_6495:                             ;   in Loop: Header=BB6_3175 Depth=3
	v_ashrrev_i32_e32 v9, 31, v18
	ds_load_b64 v[13:14], v0
	v_lshlrev_b32_e32 v8, 10, v8
	s_mov_b32 s31, 0
	v_lshrrev_b32_e32 v9, 27, v9
	s_delay_alu instid0(VALU_DEP_1) | instskip(NEXT) | instid1(VALU_DEP_1)
	v_add_nc_u32_e32 v9, v18, v9
	v_and_b32_e32 v15, 0xffffffe0, v9
	ds_load_b128 v[9:12], v0
	v_sub_nc_u32_e32 v15, v18, v15
	s_waitcnt lgkmcnt(1)
	v_add_co_u32 v13, vcc_lo, 0x3e0, v13
	v_add_co_ci_u32_e32 v14, vcc_lo, 0, v14, vcc_lo
	s_delay_alu instid0(VALU_DEP_3) | instskip(NEXT) | instid1(VALU_DEP_1)
	v_add3_u32 v15, v16, v15, v8
	v_ashrrev_i32_e32 v20, 31, v15
	s_waitcnt lgkmcnt(0)
	v_add_co_u32 v8, vcc_lo, v9, v15
	s_delay_alu instid0(VALU_DEP_2)
	v_add_co_ci_u32_e32 v9, vcc_lo, v10, v20, vcc_lo
	v_add_co_u32 v10, vcc_lo, v11, v15
	v_add_co_ci_u32_e32 v11, vcc_lo, v12, v20, vcc_lo
	v_add_co_u32 v12, vcc_lo, v13, v15
	v_add_co_ci_u32_e32 v13, vcc_lo, v14, v20, vcc_lo
.LBB6_6496:                             ;   Parent Loop BB6_51 Depth=1
                                        ;     Parent Loop BB6_3173 Depth=2
                                        ;       Parent Loop BB6_3175 Depth=3
                                        ; =>      This Inner Loop Header: Depth=4
	s_cbranch_execz .LBB6_6497
; %bb.18667:
	s_getpc_b64 s[48:49]
.Lpost_getpc360:
	s_add_u32 s48, s48, (.LBB6_18207-.Lpost_getpc360)&4294967295
	s_addc_u32 s49, s49, (.LBB6_18207-.Lpost_getpc360)>>32
	s_setpc_b64 s[48:49]
.LBB6_6497:                             ;   in Loop: Header=BB6_6496 Depth=4
	ds_load_b64 v[14:15], v0
	s_waitcnt lgkmcnt(0)
	v_and_b32_e32 v15, 0xff, v14
	v_readfirstlane_b32 s13, v14
	s_delay_alu instid0(VALU_DEP_2)
	v_cmp_gt_i16_e32 vcc_lo, 0x80, v15
	s_cbranch_vccnz .LBB6_6501
; %bb.6498:                             ;   in Loop: Header=BB6_6496 Depth=4
	v_cmp_eq_u16_e32 vcc_lo, 0x80, v15
	s_mov_b32 s34, -1
                                        ; implicit-def: $sgpr35
	s_cbranch_vccz .LBB6_6500
; %bb.6499:                             ;   in Loop: Header=BB6_6496 Depth=4
	s_mov_b32 s34, 0
	s_mov_b32 s35, 0x7f800001
.LBB6_6500:                             ;   in Loop: Header=BB6_6496 Depth=4
	s_mov_b32 vcc_lo, 0
	s_branch .LBB6_6502
.LBB6_6501:                             ;   in Loop: Header=BB6_6496 Depth=4
	s_mov_b32 vcc_lo, -1
	s_mov_b32 s34, 0
                                        ; implicit-def: $sgpr35
.LBB6_6502:                             ;   in Loop: Header=BB6_6496 Depth=4
	s_and_b32 vcc_lo, exec_lo, vcc_lo
	s_cbranch_vccz .LBB6_6504
; %bb.6503:                             ;   in Loop: Header=BB6_6496 Depth=4
	v_cmp_ne_u16_e64 s34, 0, v15
	s_mov_b32 s35, 0
.LBB6_6504:                             ;   in Loop: Header=BB6_6496 Depth=4
	s_delay_alu instid0(SALU_CYCLE_1) | instskip(NEXT) | instid1(VALU_DEP_2)
	v_mov_b32_e32 v15, s35
	s_and_not1_b32 vcc_lo, exec_lo, s34
	s_cbranch_vccnz .LBB6_6506
; %bb.6505:                             ;   in Loop: Header=BB6_6496 Depth=4
	s_and_b32 vcc_lo, s13, 3
	s_bfe_u32 s35, s13, 0x50002
	s_clz_i32_u32 s34, vcc_lo
	v_lshlrev_b32_e32 v14, 24, v14
	s_min_u32 s34, s34, 32
	s_delay_alu instid0(SALU_CYCLE_1)
	s_sub_i32 s36, s34, 29
	s_sub_i32 s34, 30, s34
	s_lshl_b32 s13, s13, s36
	v_and_b32_e32 v14, 0x80000000, v14
	s_and_b32 s13, s13, 3
	s_cmp_eq_u32 s35, 0
	s_cselect_b32 s34, s34, s35
	s_cselect_b32 s13, s13, vcc_lo
	s_lshl_b32 vcc_lo, s34, 23
	s_lshl_b32 s13, s13, 21
	s_add_i32 vcc_lo, vcc_lo, 0x37800000
	s_delay_alu instid0(SALU_CYCLE_1) | instskip(NEXT) | instid1(VALU_DEP_1)
	v_or_b32_e32 v14, vcc_lo, v14
	v_or_b32_e32 v15, s13, v14
.LBB6_6506:                             ;   in Loop: Header=BB6_6496 Depth=4
	flat_load_u8 v14, v[8:9] slc dlc
	s_mov_b32 s13, 0
	s_mov_b32 s35, exec_lo
                                        ; implicit-def: $sgpr34
	s_waitcnt vmcnt(0) lgkmcnt(0)
	v_cmpx_lt_i16_e32 0x7f, v14
	s_xor_b32 s35, exec_lo, s35
	s_cbranch_execnz .LBB6_7403
; %bb.6507:                             ;   in Loop: Header=BB6_6496 Depth=4
	s_or_saveexec_b32 s35, s35
	v_mov_b32_e32 v20, s34
	s_xor_b32 exec_lo, exec_lo, s35
	s_cbranch_execnz .LBB6_7406
.LBB6_6508:                             ;   in Loop: Header=BB6_6496 Depth=4
	s_or_b32 exec_lo, exec_lo, s35
	s_and_saveexec_b32 s34, s13
	s_cbranch_execz .LBB6_6510
.LBB6_6509:                             ;   in Loop: Header=BB6_6496 Depth=4
	v_and_b32_e32 v20, 0xffff, v14
	v_lshlrev_b32_e32 v14, 24, v14
	s_delay_alu instid0(VALU_DEP_2) | instskip(NEXT) | instid1(VALU_DEP_2)
	v_and_b32_e32 v21, 3, v20
	v_and_b32_e32 v14, 0x80000000, v14
	s_delay_alu instid0(VALU_DEP_2) | instskip(NEXT) | instid1(VALU_DEP_1)
	v_clz_i32_u32_e32 v22, v21
	v_min_u32_e32 v22, 32, v22
	s_delay_alu instid0(VALU_DEP_1) | instskip(SKIP_1) | instid1(VALU_DEP_2)
	v_subrev_nc_u32_e32 v23, 29, v22
	v_sub_nc_u32_e32 v22, 30, v22
	v_lshlrev_b32_e32 v23, v23, v20
	v_bfe_u32 v20, v20, 2, 5
	s_delay_alu instid0(VALU_DEP_2) | instskip(NEXT) | instid1(VALU_DEP_2)
	v_and_b32_e32 v23, 3, v23
	v_cmp_eq_u32_e32 vcc_lo, 0, v20
	s_delay_alu instid0(VALU_DEP_2) | instskip(NEXT) | instid1(VALU_DEP_1)
	v_dual_cndmask_b32 v20, v20, v22 :: v_dual_cndmask_b32 v21, v21, v23
	v_lshl_add_u32 v20, v20, 23, 0x37800000
	s_delay_alu instid0(VALU_DEP_2) | instskip(NEXT) | instid1(VALU_DEP_1)
	v_lshlrev_b32_e32 v21, 21, v21
	v_or3_b32 v20, v14, v20, v21
.LBB6_6510:                             ;   in Loop: Header=BB6_6496 Depth=4
	s_or_b32 exec_lo, exec_lo, s34
	s_delay_alu instid0(VALU_DEP_1) | instskip(SKIP_1) | instid1(VALU_DEP_1)
	v_dual_mul_f32 v14, v15, v20 :: v_dual_mov_b32 v21, 0x80
	s_mov_b32 s34, exec_lo
	v_and_b32_e32 v20, 0x7f800000, v14
	s_delay_alu instid0(VALU_DEP_1)
	v_cmpx_ne_u32_e32 0x7f800000, v20
	s_cbranch_execz .LBB6_6518
; %bb.6511:                             ;   in Loop: Header=BB6_6496 Depth=4
	v_mov_b32_e32 v21, 0
	s_mov_b32 s35, exec_lo
	v_cmpx_ne_u32_e32 0, v14
	s_cbranch_execz .LBB6_6517
; %bb.6512:                             ;   in Loop: Header=BB6_6496 Depth=4
	v_bfe_u32 v20, v14, 23, 8
	v_and_b32_e32 v21, 0x7fffff, v14
	s_delay_alu instid0(VALU_DEP_2) | instskip(SKIP_1) | instid1(VALU_DEP_3)
	v_sub_nc_u32_e32 v22, 0x70, v20
	v_cmp_gt_u32_e32 vcc_lo, 0x71, v20
	v_or_b32_e32 v23, 0x800000, v21
	s_delay_alu instid0(VALU_DEP_3) | instskip(SKIP_1) | instid1(VALU_DEP_3)
	v_cndmask_b32_e32 v22, 0, v22, vcc_lo
	v_cmp_eq_u32_e32 vcc_lo, 0, v20
	v_dual_cndmask_b32 v21, v23, v21 :: v_dual_add_nc_u32 v20, 0xffffff91, v20
	s_delay_alu instid0(VALU_DEP_3) | instskip(NEXT) | instid1(VALU_DEP_2)
	v_cndmask_b32_e64 v22, v22, 0x6f, vcc_lo
	v_cndmask_b32_e64 v20, v20, 0xffffff92, vcc_lo
	s_delay_alu instid0(VALU_DEP_2) | instskip(SKIP_2) | instid1(VALU_DEP_4)
	v_lshrrev_b32_e32 v26, v22, v21
	v_lshl_add_u32 v23, 0x200000, v22, -1
	v_lshlrev_b32_e64 v36, v22, 0x100000
	v_add_nc_u32_e32 v22, v22, v20
	s_delay_alu instid0(VALU_DEP_4) | instskip(NEXT) | instid1(VALU_DEP_4)
	v_bfe_u32 v27, v26, 21, 1
	v_and_b32_e32 v21, v23, v21
	s_delay_alu instid0(VALU_DEP_2) | instskip(NEXT) | instid1(VALU_DEP_2)
	v_add_nc_u32_e32 v23, -1, v27
	v_cmp_eq_u32_e64 s13, v21, v36
	s_delay_alu instid0(VALU_DEP_1) | instskip(SKIP_2) | instid1(VALU_DEP_2)
	v_cndmask_b32_e64 v21, 0, v23, s13
	v_lshrrev_b32_e32 v23, 23, v26
	s_mov_b32 s13, exec_lo
	v_add_nc_u32_e32 v21, v21, v26
	s_delay_alu instid0(VALU_DEP_2) | instskip(NEXT) | instid1(VALU_DEP_2)
	v_xor_b32_e32 v23, 1, v23
	v_and_b32_e32 v20, 0x1fffff, v21
	s_delay_alu instid0(VALU_DEP_1) | instskip(NEXT) | instid1(VALU_DEP_3)
	v_add_nc_u32_e32 v21, v20, v26
                                        ; implicit-def: $vgpr20
	v_cmpx_ne_u32_e64 v22, v23
	s_xor_b32 s13, exec_lo, s13
; %bb.6513:                             ;   in Loop: Header=BB6_6496 Depth=4
	s_delay_alu instid0(VALU_DEP_2) | instskip(SKIP_2) | instid1(VALU_DEP_2)
	v_cmp_lt_u32_e32 vcc_lo, 0xffffff, v21
	v_sub_nc_u32_e32 v20, v22, v23
	v_cndmask_b32_e64 v22, 0, 1, vcc_lo
	v_add_co_ci_u32_e32 v20, vcc_lo, 0, v20, vcc_lo
	s_delay_alu instid0(VALU_DEP_2)
	v_lshrrev_b32_e32 v21, v22, v21
; %bb.6514:                             ;   in Loop: Header=BB6_6496 Depth=4
	s_and_not1_saveexec_b32 s13, s13
; %bb.6515:                             ;   in Loop: Header=BB6_6496 Depth=4
	s_delay_alu instid0(VALU_DEP_1)
	v_bfe_u32 v20, v21, 23, 1
; %bb.6516:                             ;   in Loop: Header=BB6_6496 Depth=4
	s_or_b32 exec_lo, exec_lo, s13
	v_lshrrev_b32_e32 v21, 21, v21
	s_delay_alu instid0(VALU_DEP_2) | instskip(SKIP_2) | instid1(VALU_DEP_2)
	v_cmp_gt_i32_e32 vcc_lo, 32, v20
	v_lshrrev_b32_e32 v14, 24, v14
	v_min_i32_e32 v22, 31, v20
	v_dual_cndmask_b32 v21, 3, v21 :: v_dual_and_b32 v14, 0x80, v14
	s_delay_alu instid0(VALU_DEP_2) | instskip(NEXT) | instid1(VALU_DEP_2)
	v_lshlrev_b32_e32 v22, 2, v22
	v_and_b32_e32 v23, 3, v21
	v_or_b32_e32 v20, v20, v21
	s_delay_alu instid0(VALU_DEP_2) | instskip(NEXT) | instid1(VALU_DEP_2)
	v_or3_b32 v14, v22, v14, v23
	v_cmp_ne_u32_e32 vcc_lo, 0, v20
	s_delay_alu instid0(VALU_DEP_2)
	v_cndmask_b32_e32 v21, 0, v14, vcc_lo
.LBB6_6517:                             ;   in Loop: Header=BB6_6496 Depth=4
	s_or_b32 exec_lo, exec_lo, s35
.LBB6_6518:                             ;   in Loop: Header=BB6_6496 Depth=4
	s_delay_alu instid0(SALU_CYCLE_1)
	s_or_b32 exec_lo, exec_lo, s34
	flat_load_u8 v14, v[8:9] offset:32 slc dlc
	s_mov_b32 s13, 0
	s_mov_b32 s35, exec_lo
                                        ; implicit-def: $sgpr34
	s_waitcnt vmcnt(0) lgkmcnt(0)
	v_cmpx_lt_i16_e32 0x7f, v14
	s_xor_b32 s35, exec_lo, s35
	s_cbranch_execnz .LBB6_7407
; %bb.6519:                             ;   in Loop: Header=BB6_6496 Depth=4
	s_or_saveexec_b32 s35, s35
	v_mov_b32_e32 v20, s34
	s_xor_b32 exec_lo, exec_lo, s35
	s_cbranch_execnz .LBB6_7410
.LBB6_6520:                             ;   in Loop: Header=BB6_6496 Depth=4
	s_or_b32 exec_lo, exec_lo, s35
	s_and_saveexec_b32 s34, s13
	s_cbranch_execz .LBB6_6522
.LBB6_6521:                             ;   in Loop: Header=BB6_6496 Depth=4
	v_and_b32_e32 v20, 0xffff, v14
	v_lshlrev_b32_e32 v14, 24, v14
	s_delay_alu instid0(VALU_DEP_2) | instskip(NEXT) | instid1(VALU_DEP_2)
	v_and_b32_e32 v22, 3, v20
	v_and_b32_e32 v14, 0x80000000, v14
	s_delay_alu instid0(VALU_DEP_2) | instskip(NEXT) | instid1(VALU_DEP_1)
	v_clz_i32_u32_e32 v23, v22
	v_min_u32_e32 v23, 32, v23
	s_delay_alu instid0(VALU_DEP_1) | instskip(SKIP_1) | instid1(VALU_DEP_2)
	v_subrev_nc_u32_e32 v26, 29, v23
	v_sub_nc_u32_e32 v23, 30, v23
	v_lshlrev_b32_e32 v26, v26, v20
	v_bfe_u32 v20, v20, 2, 5
	s_delay_alu instid0(VALU_DEP_2) | instskip(NEXT) | instid1(VALU_DEP_2)
	v_and_b32_e32 v26, 3, v26
	v_cmp_eq_u32_e32 vcc_lo, 0, v20
	v_cndmask_b32_e32 v20, v20, v23, vcc_lo
	s_delay_alu instid0(VALU_DEP_3) | instskip(NEXT) | instid1(VALU_DEP_2)
	v_cndmask_b32_e32 v22, v22, v26, vcc_lo
	v_lshl_add_u32 v20, v20, 23, 0x37800000
	s_delay_alu instid0(VALU_DEP_2) | instskip(NEXT) | instid1(VALU_DEP_1)
	v_lshlrev_b32_e32 v22, 21, v22
	v_or3_b32 v20, v14, v20, v22
.LBB6_6522:                             ;   in Loop: Header=BB6_6496 Depth=4
	s_or_b32 exec_lo, exec_lo, s34
	s_delay_alu instid0(VALU_DEP_1) | instskip(SKIP_2) | instid1(VALU_DEP_2)
	v_mul_f32_e32 v14, v15, v20
	v_mov_b32_e32 v82, 0x80
	s_mov_b32 s34, exec_lo
	v_and_b32_e32 v20, 0x7f800000, v14
	s_delay_alu instid0(VALU_DEP_1)
	v_cmpx_ne_u32_e32 0x7f800000, v20
	s_cbranch_execz .LBB6_6530
; %bb.6523:                             ;   in Loop: Header=BB6_6496 Depth=4
	v_mov_b32_e32 v82, 0
	s_mov_b32 s35, exec_lo
	v_cmpx_ne_u32_e32 0, v14
	s_cbranch_execz .LBB6_6529
; %bb.6524:                             ;   in Loop: Header=BB6_6496 Depth=4
	v_bfe_u32 v20, v14, 23, 8
	s_delay_alu instid0(VALU_DEP_1) | instskip(SKIP_1) | instid1(VALU_DEP_2)
	v_sub_nc_u32_e32 v23, 0x70, v20
	v_cmp_gt_u32_e32 vcc_lo, 0x71, v20
	v_dual_cndmask_b32 v23, 0, v23 :: v_dual_and_b32 v22, 0x7fffff, v14
	s_delay_alu instid0(VALU_DEP_1) | instskip(SKIP_2) | instid1(VALU_DEP_4)
	v_or_b32_e32 v26, 0x800000, v22
	v_cmp_eq_u32_e32 vcc_lo, 0, v20
	v_add_nc_u32_e32 v20, 0xffffff91, v20
	v_cndmask_b32_e64 v23, v23, 0x6f, vcc_lo
	s_delay_alu instid0(VALU_DEP_2) | instskip(SKIP_1) | instid1(VALU_DEP_3)
	v_cndmask_b32_e64 v20, v20, 0xffffff92, vcc_lo
	v_cndmask_b32_e32 v22, v26, v22, vcc_lo
	v_lshl_add_u32 v26, 0x200000, v23, -1
	v_lshlrev_b32_e64 v37, v23, 0x100000
	s_delay_alu instid0(VALU_DEP_3) | instskip(SKIP_1) | instid1(VALU_DEP_4)
	v_lshrrev_b32_e32 v27, v23, v22
	v_add_nc_u32_e32 v23, v23, v20
	v_and_b32_e32 v22, v26, v22
	s_delay_alu instid0(VALU_DEP_3) | instskip(NEXT) | instid1(VALU_DEP_2)
	v_bfe_u32 v36, v27, 21, 1
	v_cmp_eq_u32_e64 s13, v22, v37
	s_delay_alu instid0(VALU_DEP_2) | instskip(NEXT) | instid1(VALU_DEP_1)
	v_add_nc_u32_e32 v26, -1, v36
	v_cndmask_b32_e64 v22, 0, v26, s13
	v_lshrrev_b32_e32 v26, 23, v27
	s_mov_b32 s13, exec_lo
	s_delay_alu instid0(VALU_DEP_2) | instskip(NEXT) | instid1(VALU_DEP_2)
	v_add_nc_u32_e32 v22, v22, v27
	v_xor_b32_e32 v26, 1, v26
	s_delay_alu instid0(VALU_DEP_2) | instskip(NEXT) | instid1(VALU_DEP_1)
	v_and_b32_e32 v20, 0x1fffff, v22
	v_add_nc_u32_e32 v22, v20, v27
                                        ; implicit-def: $vgpr20
	s_delay_alu instid0(VALU_DEP_3)
	v_cmpx_ne_u32_e64 v23, v26
	s_xor_b32 s13, exec_lo, s13
; %bb.6525:                             ;   in Loop: Header=BB6_6496 Depth=4
	s_delay_alu instid0(VALU_DEP_2) | instskip(SKIP_2) | instid1(VALU_DEP_2)
	v_cmp_lt_u32_e32 vcc_lo, 0xffffff, v22
	v_sub_nc_u32_e32 v20, v23, v26
	v_cndmask_b32_e64 v23, 0, 1, vcc_lo
	v_add_co_ci_u32_e32 v20, vcc_lo, 0, v20, vcc_lo
	s_delay_alu instid0(VALU_DEP_2)
	v_lshrrev_b32_e32 v22, v23, v22
; %bb.6526:                             ;   in Loop: Header=BB6_6496 Depth=4
	s_and_not1_saveexec_b32 s13, s13
; %bb.6527:                             ;   in Loop: Header=BB6_6496 Depth=4
	s_delay_alu instid0(VALU_DEP_1)
	v_bfe_u32 v20, v22, 23, 1
; %bb.6528:                             ;   in Loop: Header=BB6_6496 Depth=4
	s_or_b32 exec_lo, exec_lo, s13
	v_lshrrev_b32_e32 v22, 21, v22
	s_delay_alu instid0(VALU_DEP_2) | instskip(SKIP_2) | instid1(VALU_DEP_4)
	v_cmp_gt_i32_e32 vcc_lo, 32, v20
	v_lshrrev_b32_e32 v14, 24, v14
	v_min_i32_e32 v23, 31, v20
	v_cndmask_b32_e32 v22, 3, v22, vcc_lo
	s_delay_alu instid0(VALU_DEP_3) | instskip(NEXT) | instid1(VALU_DEP_3)
	v_and_b32_e32 v14, 0x80, v14
	v_lshlrev_b32_e32 v23, 2, v23
	s_delay_alu instid0(VALU_DEP_3) | instskip(SKIP_1) | instid1(VALU_DEP_2)
	v_and_b32_e32 v26, 3, v22
	v_or_b32_e32 v20, v20, v22
	v_or3_b32 v14, v23, v14, v26
	s_delay_alu instid0(VALU_DEP_2) | instskip(NEXT) | instid1(VALU_DEP_2)
	v_cmp_ne_u32_e32 vcc_lo, 0, v20
	v_cndmask_b32_e32 v82, 0, v14, vcc_lo
.LBB6_6529:                             ;   in Loop: Header=BB6_6496 Depth=4
	s_or_b32 exec_lo, exec_lo, s35
.LBB6_6530:                             ;   in Loop: Header=BB6_6496 Depth=4
	s_delay_alu instid0(SALU_CYCLE_1)
	s_or_b32 exec_lo, exec_lo, s34
	flat_load_u8 v14, v[8:9] offset:64 slc dlc
	s_mov_b32 s13, 0
	s_mov_b32 s35, exec_lo
                                        ; implicit-def: $sgpr34
	s_waitcnt vmcnt(0) lgkmcnt(0)
	v_cmpx_lt_i16_e32 0x7f, v14
	s_xor_b32 s35, exec_lo, s35
	s_cbranch_execnz .LBB6_7411
; %bb.6531:                             ;   in Loop: Header=BB6_6496 Depth=4
	s_or_saveexec_b32 s35, s35
	v_mov_b32_e32 v20, s34
	s_xor_b32 exec_lo, exec_lo, s35
	s_cbranch_execnz .LBB6_7414
.LBB6_6532:                             ;   in Loop: Header=BB6_6496 Depth=4
	s_or_b32 exec_lo, exec_lo, s35
	s_and_saveexec_b32 s34, s13
	s_cbranch_execz .LBB6_6534
.LBB6_6533:                             ;   in Loop: Header=BB6_6496 Depth=4
	v_and_b32_e32 v20, 0xffff, v14
	v_lshlrev_b32_e32 v14, 24, v14
	s_delay_alu instid0(VALU_DEP_2) | instskip(NEXT) | instid1(VALU_DEP_2)
	v_and_b32_e32 v22, 3, v20
	v_and_b32_e32 v14, 0x80000000, v14
	s_delay_alu instid0(VALU_DEP_2) | instskip(NEXT) | instid1(VALU_DEP_1)
	v_clz_i32_u32_e32 v23, v22
	v_min_u32_e32 v23, 32, v23
	s_delay_alu instid0(VALU_DEP_1) | instskip(SKIP_1) | instid1(VALU_DEP_2)
	v_subrev_nc_u32_e32 v26, 29, v23
	v_sub_nc_u32_e32 v23, 30, v23
	v_lshlrev_b32_e32 v26, v26, v20
	v_bfe_u32 v20, v20, 2, 5
	s_delay_alu instid0(VALU_DEP_2) | instskip(NEXT) | instid1(VALU_DEP_2)
	v_and_b32_e32 v26, 3, v26
	v_cmp_eq_u32_e32 vcc_lo, 0, v20
	v_cndmask_b32_e32 v20, v20, v23, vcc_lo
	s_delay_alu instid0(VALU_DEP_3) | instskip(NEXT) | instid1(VALU_DEP_2)
	v_cndmask_b32_e32 v22, v22, v26, vcc_lo
	v_lshl_add_u32 v20, v20, 23, 0x37800000
	s_delay_alu instid0(VALU_DEP_2) | instskip(NEXT) | instid1(VALU_DEP_1)
	v_lshlrev_b32_e32 v22, 21, v22
	v_or3_b32 v20, v14, v20, v22
.LBB6_6534:                             ;   in Loop: Header=BB6_6496 Depth=4
	s_or_b32 exec_lo, exec_lo, s34
	s_delay_alu instid0(VALU_DEP_1) | instskip(SKIP_2) | instid1(VALU_DEP_2)
	v_mul_f32_e32 v14, v15, v20
	v_mov_b32_e32 v150, 0x80
	s_mov_b32 s34, exec_lo
	v_and_b32_e32 v20, 0x7f800000, v14
	s_delay_alu instid0(VALU_DEP_1)
	v_cmpx_ne_u32_e32 0x7f800000, v20
	s_cbranch_execz .LBB6_6542
; %bb.6535:                             ;   in Loop: Header=BB6_6496 Depth=4
	v_mov_b32_e32 v150, 0
	s_mov_b32 s35, exec_lo
	v_cmpx_ne_u32_e32 0, v14
	s_cbranch_execz .LBB6_6541
; %bb.6536:                             ;   in Loop: Header=BB6_6496 Depth=4
	v_bfe_u32 v20, v14, 23, 8
	s_delay_alu instid0(VALU_DEP_1) | instskip(SKIP_1) | instid1(VALU_DEP_2)
	v_sub_nc_u32_e32 v23, 0x70, v20
	v_cmp_gt_u32_e32 vcc_lo, 0x71, v20
	v_dual_cndmask_b32 v23, 0, v23 :: v_dual_and_b32 v22, 0x7fffff, v14
	s_delay_alu instid0(VALU_DEP_1) | instskip(SKIP_2) | instid1(VALU_DEP_4)
	v_or_b32_e32 v26, 0x800000, v22
	v_cmp_eq_u32_e32 vcc_lo, 0, v20
	v_add_nc_u32_e32 v20, 0xffffff91, v20
	v_cndmask_b32_e64 v23, v23, 0x6f, vcc_lo
	s_delay_alu instid0(VALU_DEP_2) | instskip(SKIP_1) | instid1(VALU_DEP_3)
	v_cndmask_b32_e64 v20, v20, 0xffffff92, vcc_lo
	v_cndmask_b32_e32 v22, v26, v22, vcc_lo
	v_lshl_add_u32 v26, 0x200000, v23, -1
	v_lshlrev_b32_e64 v37, v23, 0x100000
	s_delay_alu instid0(VALU_DEP_3) | instskip(SKIP_1) | instid1(VALU_DEP_4)
	v_lshrrev_b32_e32 v27, v23, v22
	v_add_nc_u32_e32 v23, v23, v20
	v_and_b32_e32 v22, v26, v22
	s_delay_alu instid0(VALU_DEP_3) | instskip(NEXT) | instid1(VALU_DEP_2)
	v_bfe_u32 v36, v27, 21, 1
	v_cmp_eq_u32_e64 s13, v22, v37
	s_delay_alu instid0(VALU_DEP_2) | instskip(NEXT) | instid1(VALU_DEP_1)
	v_add_nc_u32_e32 v26, -1, v36
	v_cndmask_b32_e64 v22, 0, v26, s13
	v_lshrrev_b32_e32 v26, 23, v27
	s_mov_b32 s13, exec_lo
	s_delay_alu instid0(VALU_DEP_2) | instskip(NEXT) | instid1(VALU_DEP_2)
	v_add_nc_u32_e32 v22, v22, v27
	v_xor_b32_e32 v26, 1, v26
	s_delay_alu instid0(VALU_DEP_2) | instskip(NEXT) | instid1(VALU_DEP_1)
	v_and_b32_e32 v20, 0x1fffff, v22
	v_add_nc_u32_e32 v22, v20, v27
                                        ; implicit-def: $vgpr20
	s_delay_alu instid0(VALU_DEP_3)
	v_cmpx_ne_u32_e64 v23, v26
	s_xor_b32 s13, exec_lo, s13
; %bb.6537:                             ;   in Loop: Header=BB6_6496 Depth=4
	s_delay_alu instid0(VALU_DEP_2) | instskip(SKIP_2) | instid1(VALU_DEP_2)
	v_cmp_lt_u32_e32 vcc_lo, 0xffffff, v22
	v_sub_nc_u32_e32 v20, v23, v26
	v_cndmask_b32_e64 v23, 0, 1, vcc_lo
	v_add_co_ci_u32_e32 v20, vcc_lo, 0, v20, vcc_lo
	s_delay_alu instid0(VALU_DEP_2)
	v_lshrrev_b32_e32 v22, v23, v22
; %bb.6538:                             ;   in Loop: Header=BB6_6496 Depth=4
	s_and_not1_saveexec_b32 s13, s13
; %bb.6539:                             ;   in Loop: Header=BB6_6496 Depth=4
	s_delay_alu instid0(VALU_DEP_1)
	v_bfe_u32 v20, v22, 23, 1
; %bb.6540:                             ;   in Loop: Header=BB6_6496 Depth=4
	s_or_b32 exec_lo, exec_lo, s13
	v_lshrrev_b32_e32 v22, 21, v22
	s_delay_alu instid0(VALU_DEP_2) | instskip(SKIP_2) | instid1(VALU_DEP_4)
	v_cmp_gt_i32_e32 vcc_lo, 32, v20
	v_lshrrev_b32_e32 v14, 24, v14
	v_min_i32_e32 v23, 31, v20
	v_cndmask_b32_e32 v22, 3, v22, vcc_lo
	s_delay_alu instid0(VALU_DEP_3) | instskip(NEXT) | instid1(VALU_DEP_3)
	v_and_b32_e32 v14, 0x80, v14
	v_lshlrev_b32_e32 v23, 2, v23
	s_delay_alu instid0(VALU_DEP_3) | instskip(SKIP_1) | instid1(VALU_DEP_2)
	v_and_b32_e32 v26, 3, v22
	v_or_b32_e32 v20, v20, v22
	v_or3_b32 v14, v23, v14, v26
	s_delay_alu instid0(VALU_DEP_2) | instskip(NEXT) | instid1(VALU_DEP_2)
	v_cmp_ne_u32_e32 vcc_lo, 0, v20
	v_cndmask_b32_e32 v150, 0, v14, vcc_lo
.LBB6_6541:                             ;   in Loop: Header=BB6_6496 Depth=4
	s_or_b32 exec_lo, exec_lo, s35
.LBB6_6542:                             ;   in Loop: Header=BB6_6496 Depth=4
	s_delay_alu instid0(SALU_CYCLE_1)
	s_or_b32 exec_lo, exec_lo, s34
	flat_load_u8 v14, v[8:9] offset:96 slc dlc
	s_mov_b32 s13, 0
	s_mov_b32 s35, exec_lo
                                        ; implicit-def: $sgpr34
	s_waitcnt vmcnt(0) lgkmcnt(0)
	v_cmpx_lt_i16_e32 0x7f, v14
	s_xor_b32 s35, exec_lo, s35
	s_cbranch_execnz .LBB6_7415
; %bb.6543:                             ;   in Loop: Header=BB6_6496 Depth=4
	s_or_saveexec_b32 s35, s35
	v_mov_b32_e32 v20, s34
	s_xor_b32 exec_lo, exec_lo, s35
	s_cbranch_execnz .LBB6_7418
.LBB6_6544:                             ;   in Loop: Header=BB6_6496 Depth=4
	s_or_b32 exec_lo, exec_lo, s35
	s_and_saveexec_b32 s34, s13
	s_cbranch_execz .LBB6_6546
.LBB6_6545:                             ;   in Loop: Header=BB6_6496 Depth=4
	v_and_b32_e32 v20, 0xffff, v14
	v_lshlrev_b32_e32 v14, 24, v14
	s_delay_alu instid0(VALU_DEP_2) | instskip(NEXT) | instid1(VALU_DEP_2)
	v_and_b32_e32 v22, 3, v20
	v_and_b32_e32 v14, 0x80000000, v14
	s_delay_alu instid0(VALU_DEP_2) | instskip(NEXT) | instid1(VALU_DEP_1)
	v_clz_i32_u32_e32 v23, v22
	v_min_u32_e32 v23, 32, v23
	s_delay_alu instid0(VALU_DEP_1) | instskip(SKIP_1) | instid1(VALU_DEP_2)
	v_subrev_nc_u32_e32 v26, 29, v23
	v_sub_nc_u32_e32 v23, 30, v23
	v_lshlrev_b32_e32 v26, v26, v20
	v_bfe_u32 v20, v20, 2, 5
	s_delay_alu instid0(VALU_DEP_2) | instskip(NEXT) | instid1(VALU_DEP_2)
	v_and_b32_e32 v26, 3, v26
	v_cmp_eq_u32_e32 vcc_lo, 0, v20
	v_cndmask_b32_e32 v20, v20, v23, vcc_lo
	s_delay_alu instid0(VALU_DEP_3) | instskip(NEXT) | instid1(VALU_DEP_2)
	v_cndmask_b32_e32 v22, v22, v26, vcc_lo
	v_lshl_add_u32 v20, v20, 23, 0x37800000
	s_delay_alu instid0(VALU_DEP_2) | instskip(NEXT) | instid1(VALU_DEP_1)
	v_lshlrev_b32_e32 v22, 21, v22
	v_or3_b32 v20, v14, v20, v22
.LBB6_6546:                             ;   in Loop: Header=BB6_6496 Depth=4
	s_or_b32 exec_lo, exec_lo, s34
	s_delay_alu instid0(VALU_DEP_1) | instskip(SKIP_1) | instid1(VALU_DEP_1)
	v_dual_mul_f32 v14, v15, v20 :: v_dual_mov_b32 v163, 0x80
	s_mov_b32 s34, exec_lo
	v_and_b32_e32 v20, 0x7f800000, v14
	s_delay_alu instid0(VALU_DEP_1)
	v_cmpx_ne_u32_e32 0x7f800000, v20
	s_cbranch_execz .LBB6_6554
; %bb.6547:                             ;   in Loop: Header=BB6_6496 Depth=4
	v_mov_b32_e32 v163, 0
	s_mov_b32 s35, exec_lo
	v_cmpx_ne_u32_e32 0, v14
	s_cbranch_execz .LBB6_6553
; %bb.6548:                             ;   in Loop: Header=BB6_6496 Depth=4
	v_bfe_u32 v20, v14, 23, 8
	s_delay_alu instid0(VALU_DEP_1) | instskip(SKIP_1) | instid1(VALU_DEP_2)
	v_sub_nc_u32_e32 v23, 0x70, v20
	v_cmp_gt_u32_e32 vcc_lo, 0x71, v20
	v_dual_cndmask_b32 v23, 0, v23 :: v_dual_and_b32 v22, 0x7fffff, v14
	s_delay_alu instid0(VALU_DEP_1) | instskip(SKIP_2) | instid1(VALU_DEP_4)
	v_or_b32_e32 v26, 0x800000, v22
	v_cmp_eq_u32_e32 vcc_lo, 0, v20
	v_add_nc_u32_e32 v20, 0xffffff91, v20
	v_cndmask_b32_e64 v23, v23, 0x6f, vcc_lo
	s_delay_alu instid0(VALU_DEP_2) | instskip(SKIP_1) | instid1(VALU_DEP_3)
	v_cndmask_b32_e64 v20, v20, 0xffffff92, vcc_lo
	v_cndmask_b32_e32 v22, v26, v22, vcc_lo
	v_lshl_add_u32 v26, 0x200000, v23, -1
	v_lshlrev_b32_e64 v37, v23, 0x100000
	s_delay_alu instid0(VALU_DEP_3) | instskip(SKIP_1) | instid1(VALU_DEP_4)
	v_lshrrev_b32_e32 v27, v23, v22
	v_add_nc_u32_e32 v23, v23, v20
	v_and_b32_e32 v22, v26, v22
	s_delay_alu instid0(VALU_DEP_3) | instskip(NEXT) | instid1(VALU_DEP_2)
	v_bfe_u32 v36, v27, 21, 1
	v_cmp_eq_u32_e64 s13, v22, v37
	s_delay_alu instid0(VALU_DEP_2) | instskip(NEXT) | instid1(VALU_DEP_1)
	v_add_nc_u32_e32 v26, -1, v36
	v_cndmask_b32_e64 v22, 0, v26, s13
	v_lshrrev_b32_e32 v26, 23, v27
	s_mov_b32 s13, exec_lo
	s_delay_alu instid0(VALU_DEP_2) | instskip(NEXT) | instid1(VALU_DEP_2)
	v_add_nc_u32_e32 v22, v22, v27
	v_xor_b32_e32 v26, 1, v26
	s_delay_alu instid0(VALU_DEP_2) | instskip(NEXT) | instid1(VALU_DEP_1)
	v_and_b32_e32 v20, 0x1fffff, v22
	v_add_nc_u32_e32 v22, v20, v27
                                        ; implicit-def: $vgpr20
	s_delay_alu instid0(VALU_DEP_3)
	v_cmpx_ne_u32_e64 v23, v26
	s_xor_b32 s13, exec_lo, s13
; %bb.6549:                             ;   in Loop: Header=BB6_6496 Depth=4
	s_delay_alu instid0(VALU_DEP_2) | instskip(SKIP_2) | instid1(VALU_DEP_2)
	v_cmp_lt_u32_e32 vcc_lo, 0xffffff, v22
	v_sub_nc_u32_e32 v20, v23, v26
	v_cndmask_b32_e64 v23, 0, 1, vcc_lo
	v_add_co_ci_u32_e32 v20, vcc_lo, 0, v20, vcc_lo
	s_delay_alu instid0(VALU_DEP_2)
	v_lshrrev_b32_e32 v22, v23, v22
; %bb.6550:                             ;   in Loop: Header=BB6_6496 Depth=4
	s_and_not1_saveexec_b32 s13, s13
; %bb.6551:                             ;   in Loop: Header=BB6_6496 Depth=4
	s_delay_alu instid0(VALU_DEP_1)
	v_bfe_u32 v20, v22, 23, 1
; %bb.6552:                             ;   in Loop: Header=BB6_6496 Depth=4
	s_or_b32 exec_lo, exec_lo, s13
	v_lshrrev_b32_e32 v22, 21, v22
	s_delay_alu instid0(VALU_DEP_2) | instskip(SKIP_2) | instid1(VALU_DEP_4)
	v_cmp_gt_i32_e32 vcc_lo, 32, v20
	v_lshrrev_b32_e32 v14, 24, v14
	v_min_i32_e32 v23, 31, v20
	v_cndmask_b32_e32 v22, 3, v22, vcc_lo
	s_delay_alu instid0(VALU_DEP_3) | instskip(NEXT) | instid1(VALU_DEP_3)
	v_and_b32_e32 v14, 0x80, v14
	v_lshlrev_b32_e32 v23, 2, v23
	s_delay_alu instid0(VALU_DEP_3) | instskip(SKIP_1) | instid1(VALU_DEP_2)
	v_and_b32_e32 v26, 3, v22
	v_or_b32_e32 v20, v20, v22
	v_or3_b32 v14, v23, v14, v26
	s_delay_alu instid0(VALU_DEP_2) | instskip(NEXT) | instid1(VALU_DEP_2)
	v_cmp_ne_u32_e32 vcc_lo, 0, v20
	v_cndmask_b32_e32 v163, 0, v14, vcc_lo
.LBB6_6553:                             ;   in Loop: Header=BB6_6496 Depth=4
	s_or_b32 exec_lo, exec_lo, s35
.LBB6_6554:                             ;   in Loop: Header=BB6_6496 Depth=4
	s_delay_alu instid0(SALU_CYCLE_1)
	s_or_b32 exec_lo, exec_lo, s34
	flat_load_u8 v14, v[8:9] offset:128 slc dlc
	s_mov_b32 s13, 0
	s_mov_b32 s35, exec_lo
                                        ; implicit-def: $sgpr34
	s_waitcnt vmcnt(0) lgkmcnt(0)
	v_cmpx_lt_i16_e32 0x7f, v14
	s_xor_b32 s35, exec_lo, s35
	s_cbranch_execnz .LBB6_7419
; %bb.6555:                             ;   in Loop: Header=BB6_6496 Depth=4
	s_or_saveexec_b32 s35, s35
	v_mov_b32_e32 v20, s34
	s_xor_b32 exec_lo, exec_lo, s35
	s_cbranch_execnz .LBB6_7422
.LBB6_6556:                             ;   in Loop: Header=BB6_6496 Depth=4
	s_or_b32 exec_lo, exec_lo, s35
	s_and_saveexec_b32 s34, s13
	s_cbranch_execz .LBB6_6558
.LBB6_6557:                             ;   in Loop: Header=BB6_6496 Depth=4
	v_and_b32_e32 v20, 0xffff, v14
	v_lshlrev_b32_e32 v14, 24, v14
	s_delay_alu instid0(VALU_DEP_2) | instskip(NEXT) | instid1(VALU_DEP_2)
	v_and_b32_e32 v22, 3, v20
	v_and_b32_e32 v14, 0x80000000, v14
	s_delay_alu instid0(VALU_DEP_2) | instskip(NEXT) | instid1(VALU_DEP_1)
	v_clz_i32_u32_e32 v23, v22
	v_min_u32_e32 v23, 32, v23
	s_delay_alu instid0(VALU_DEP_1) | instskip(SKIP_1) | instid1(VALU_DEP_2)
	v_subrev_nc_u32_e32 v26, 29, v23
	v_sub_nc_u32_e32 v23, 30, v23
	v_lshlrev_b32_e32 v26, v26, v20
	v_bfe_u32 v20, v20, 2, 5
	s_delay_alu instid0(VALU_DEP_2) | instskip(NEXT) | instid1(VALU_DEP_2)
	v_and_b32_e32 v26, 3, v26
	v_cmp_eq_u32_e32 vcc_lo, 0, v20
	v_cndmask_b32_e32 v20, v20, v23, vcc_lo
	s_delay_alu instid0(VALU_DEP_3) | instskip(NEXT) | instid1(VALU_DEP_2)
	v_cndmask_b32_e32 v22, v22, v26, vcc_lo
	v_lshl_add_u32 v20, v20, 23, 0x37800000
	s_delay_alu instid0(VALU_DEP_2) | instskip(NEXT) | instid1(VALU_DEP_1)
	v_lshlrev_b32_e32 v22, 21, v22
	v_or3_b32 v20, v14, v20, v22
.LBB6_6558:                             ;   in Loop: Header=BB6_6496 Depth=4
	s_or_b32 exec_lo, exec_lo, s34
	s_delay_alu instid0(VALU_DEP_1) | instskip(SKIP_2) | instid1(VALU_DEP_2)
	v_mul_f32_e32 v14, v15, v20
	v_mov_b32_e32 v176, 0x80
	s_mov_b32 s34, exec_lo
	v_and_b32_e32 v20, 0x7f800000, v14
	s_delay_alu instid0(VALU_DEP_1)
	v_cmpx_ne_u32_e32 0x7f800000, v20
	s_cbranch_execz .LBB6_6566
; %bb.6559:                             ;   in Loop: Header=BB6_6496 Depth=4
	v_mov_b32_e32 v176, 0
	s_mov_b32 s35, exec_lo
	v_cmpx_ne_u32_e32 0, v14
	s_cbranch_execz .LBB6_6565
; %bb.6560:                             ;   in Loop: Header=BB6_6496 Depth=4
	v_bfe_u32 v20, v14, 23, 8
	s_delay_alu instid0(VALU_DEP_1) | instskip(SKIP_1) | instid1(VALU_DEP_2)
	v_sub_nc_u32_e32 v23, 0x70, v20
	v_cmp_gt_u32_e32 vcc_lo, 0x71, v20
	v_dual_cndmask_b32 v23, 0, v23 :: v_dual_and_b32 v22, 0x7fffff, v14
	s_delay_alu instid0(VALU_DEP_1) | instskip(SKIP_2) | instid1(VALU_DEP_4)
	v_or_b32_e32 v26, 0x800000, v22
	v_cmp_eq_u32_e32 vcc_lo, 0, v20
	v_add_nc_u32_e32 v20, 0xffffff91, v20
	v_cndmask_b32_e64 v23, v23, 0x6f, vcc_lo
	s_delay_alu instid0(VALU_DEP_2) | instskip(SKIP_1) | instid1(VALU_DEP_3)
	v_cndmask_b32_e64 v20, v20, 0xffffff92, vcc_lo
	v_cndmask_b32_e32 v22, v26, v22, vcc_lo
	v_lshl_add_u32 v26, 0x200000, v23, -1
	v_lshlrev_b32_e64 v37, v23, 0x100000
	s_delay_alu instid0(VALU_DEP_3) | instskip(SKIP_1) | instid1(VALU_DEP_4)
	v_lshrrev_b32_e32 v27, v23, v22
	v_add_nc_u32_e32 v23, v23, v20
	v_and_b32_e32 v22, v26, v22
	s_delay_alu instid0(VALU_DEP_3) | instskip(NEXT) | instid1(VALU_DEP_2)
	v_bfe_u32 v36, v27, 21, 1
	v_cmp_eq_u32_e64 s13, v22, v37
	s_delay_alu instid0(VALU_DEP_2) | instskip(NEXT) | instid1(VALU_DEP_1)
	v_add_nc_u32_e32 v26, -1, v36
	v_cndmask_b32_e64 v22, 0, v26, s13
	v_lshrrev_b32_e32 v26, 23, v27
	s_mov_b32 s13, exec_lo
	s_delay_alu instid0(VALU_DEP_2) | instskip(NEXT) | instid1(VALU_DEP_2)
	v_add_nc_u32_e32 v22, v22, v27
	v_xor_b32_e32 v26, 1, v26
	s_delay_alu instid0(VALU_DEP_2) | instskip(NEXT) | instid1(VALU_DEP_1)
	v_and_b32_e32 v20, 0x1fffff, v22
	v_add_nc_u32_e32 v22, v20, v27
                                        ; implicit-def: $vgpr20
	s_delay_alu instid0(VALU_DEP_3)
	v_cmpx_ne_u32_e64 v23, v26
	s_xor_b32 s13, exec_lo, s13
; %bb.6561:                             ;   in Loop: Header=BB6_6496 Depth=4
	s_delay_alu instid0(VALU_DEP_2) | instskip(SKIP_2) | instid1(VALU_DEP_2)
	v_cmp_lt_u32_e32 vcc_lo, 0xffffff, v22
	v_sub_nc_u32_e32 v20, v23, v26
	v_cndmask_b32_e64 v23, 0, 1, vcc_lo
	v_add_co_ci_u32_e32 v20, vcc_lo, 0, v20, vcc_lo
	s_delay_alu instid0(VALU_DEP_2)
	v_lshrrev_b32_e32 v22, v23, v22
; %bb.6562:                             ;   in Loop: Header=BB6_6496 Depth=4
	s_and_not1_saveexec_b32 s13, s13
; %bb.6563:                             ;   in Loop: Header=BB6_6496 Depth=4
	s_delay_alu instid0(VALU_DEP_1)
	v_bfe_u32 v20, v22, 23, 1
; %bb.6564:                             ;   in Loop: Header=BB6_6496 Depth=4
	s_or_b32 exec_lo, exec_lo, s13
	v_lshrrev_b32_e32 v22, 21, v22
	s_delay_alu instid0(VALU_DEP_2) | instskip(SKIP_2) | instid1(VALU_DEP_4)
	v_cmp_gt_i32_e32 vcc_lo, 32, v20
	v_lshrrev_b32_e32 v14, 24, v14
	v_min_i32_e32 v23, 31, v20
	v_cndmask_b32_e32 v22, 3, v22, vcc_lo
	s_delay_alu instid0(VALU_DEP_3) | instskip(NEXT) | instid1(VALU_DEP_3)
	v_and_b32_e32 v14, 0x80, v14
	v_lshlrev_b32_e32 v23, 2, v23
	s_delay_alu instid0(VALU_DEP_3) | instskip(SKIP_1) | instid1(VALU_DEP_2)
	v_and_b32_e32 v26, 3, v22
	v_or_b32_e32 v20, v20, v22
	v_or3_b32 v14, v23, v14, v26
	s_delay_alu instid0(VALU_DEP_2) | instskip(NEXT) | instid1(VALU_DEP_2)
	v_cmp_ne_u32_e32 vcc_lo, 0, v20
	v_cndmask_b32_e32 v176, 0, v14, vcc_lo
.LBB6_6565:                             ;   in Loop: Header=BB6_6496 Depth=4
	s_or_b32 exec_lo, exec_lo, s35
.LBB6_6566:                             ;   in Loop: Header=BB6_6496 Depth=4
	s_delay_alu instid0(SALU_CYCLE_1)
	s_or_b32 exec_lo, exec_lo, s34
	flat_load_u8 v14, v[8:9] offset:160 slc dlc
	s_mov_b32 s13, 0
	s_mov_b32 s35, exec_lo
                                        ; implicit-def: $sgpr34
	s_waitcnt vmcnt(0) lgkmcnt(0)
	v_cmpx_lt_i16_e32 0x7f, v14
	s_xor_b32 s35, exec_lo, s35
	s_cbranch_execnz .LBB6_7423
; %bb.6567:                             ;   in Loop: Header=BB6_6496 Depth=4
	s_or_saveexec_b32 s35, s35
	v_mov_b32_e32 v20, s34
	s_xor_b32 exec_lo, exec_lo, s35
	s_cbranch_execnz .LBB6_7426
.LBB6_6568:                             ;   in Loop: Header=BB6_6496 Depth=4
	s_or_b32 exec_lo, exec_lo, s35
	s_and_saveexec_b32 s34, s13
	s_cbranch_execz .LBB6_6570
.LBB6_6569:                             ;   in Loop: Header=BB6_6496 Depth=4
	v_and_b32_e32 v20, 0xffff, v14
	v_lshlrev_b32_e32 v14, 24, v14
	s_delay_alu instid0(VALU_DEP_2) | instskip(NEXT) | instid1(VALU_DEP_2)
	v_and_b32_e32 v22, 3, v20
	v_and_b32_e32 v14, 0x80000000, v14
	s_delay_alu instid0(VALU_DEP_2) | instskip(NEXT) | instid1(VALU_DEP_1)
	v_clz_i32_u32_e32 v23, v22
	v_min_u32_e32 v23, 32, v23
	s_delay_alu instid0(VALU_DEP_1) | instskip(SKIP_1) | instid1(VALU_DEP_2)
	v_subrev_nc_u32_e32 v26, 29, v23
	v_sub_nc_u32_e32 v23, 30, v23
	v_lshlrev_b32_e32 v26, v26, v20
	v_bfe_u32 v20, v20, 2, 5
	s_delay_alu instid0(VALU_DEP_2) | instskip(NEXT) | instid1(VALU_DEP_2)
	v_and_b32_e32 v26, 3, v26
	v_cmp_eq_u32_e32 vcc_lo, 0, v20
	v_cndmask_b32_e32 v20, v20, v23, vcc_lo
	s_delay_alu instid0(VALU_DEP_3) | instskip(NEXT) | instid1(VALU_DEP_2)
	v_cndmask_b32_e32 v22, v22, v26, vcc_lo
	v_lshl_add_u32 v20, v20, 23, 0x37800000
	s_delay_alu instid0(VALU_DEP_2) | instskip(NEXT) | instid1(VALU_DEP_1)
	v_lshlrev_b32_e32 v22, 21, v22
	v_or3_b32 v20, v14, v20, v22
.LBB6_6570:                             ;   in Loop: Header=BB6_6496 Depth=4
	s_or_b32 exec_lo, exec_lo, s34
	s_delay_alu instid0(VALU_DEP_1) | instskip(SKIP_1) | instid1(VALU_DEP_1)
	v_dual_mul_f32 v14, v15, v20 :: v_dual_mov_b32 v181, 0x80
	s_mov_b32 s34, exec_lo
	v_and_b32_e32 v20, 0x7f800000, v14
	s_delay_alu instid0(VALU_DEP_1)
	v_cmpx_ne_u32_e32 0x7f800000, v20
	s_cbranch_execz .LBB6_6578
; %bb.6571:                             ;   in Loop: Header=BB6_6496 Depth=4
	v_mov_b32_e32 v181, 0
	s_mov_b32 s35, exec_lo
	v_cmpx_ne_u32_e32 0, v14
	s_cbranch_execz .LBB6_6577
; %bb.6572:                             ;   in Loop: Header=BB6_6496 Depth=4
	v_bfe_u32 v20, v14, 23, 8
	s_delay_alu instid0(VALU_DEP_1) | instskip(SKIP_1) | instid1(VALU_DEP_2)
	v_sub_nc_u32_e32 v23, 0x70, v20
	v_cmp_gt_u32_e32 vcc_lo, 0x71, v20
	v_dual_cndmask_b32 v23, 0, v23 :: v_dual_and_b32 v22, 0x7fffff, v14
	s_delay_alu instid0(VALU_DEP_1) | instskip(SKIP_2) | instid1(VALU_DEP_4)
	v_or_b32_e32 v26, 0x800000, v22
	v_cmp_eq_u32_e32 vcc_lo, 0, v20
	v_add_nc_u32_e32 v20, 0xffffff91, v20
	v_cndmask_b32_e64 v23, v23, 0x6f, vcc_lo
	s_delay_alu instid0(VALU_DEP_2) | instskip(SKIP_1) | instid1(VALU_DEP_3)
	v_cndmask_b32_e64 v20, v20, 0xffffff92, vcc_lo
	v_cndmask_b32_e32 v22, v26, v22, vcc_lo
	v_lshl_add_u32 v26, 0x200000, v23, -1
	v_lshlrev_b32_e64 v37, v23, 0x100000
	s_delay_alu instid0(VALU_DEP_3) | instskip(SKIP_1) | instid1(VALU_DEP_4)
	v_lshrrev_b32_e32 v27, v23, v22
	v_add_nc_u32_e32 v23, v23, v20
	v_and_b32_e32 v22, v26, v22
	s_delay_alu instid0(VALU_DEP_3) | instskip(NEXT) | instid1(VALU_DEP_2)
	v_bfe_u32 v36, v27, 21, 1
	v_cmp_eq_u32_e64 s13, v22, v37
	s_delay_alu instid0(VALU_DEP_2) | instskip(NEXT) | instid1(VALU_DEP_1)
	v_add_nc_u32_e32 v26, -1, v36
	v_cndmask_b32_e64 v22, 0, v26, s13
	v_lshrrev_b32_e32 v26, 23, v27
	s_mov_b32 s13, exec_lo
	s_delay_alu instid0(VALU_DEP_2) | instskip(NEXT) | instid1(VALU_DEP_2)
	v_add_nc_u32_e32 v22, v22, v27
	v_xor_b32_e32 v26, 1, v26
	s_delay_alu instid0(VALU_DEP_2) | instskip(NEXT) | instid1(VALU_DEP_1)
	v_and_b32_e32 v20, 0x1fffff, v22
	v_add_nc_u32_e32 v22, v20, v27
                                        ; implicit-def: $vgpr20
	s_delay_alu instid0(VALU_DEP_3)
	v_cmpx_ne_u32_e64 v23, v26
	s_xor_b32 s13, exec_lo, s13
; %bb.6573:                             ;   in Loop: Header=BB6_6496 Depth=4
	s_delay_alu instid0(VALU_DEP_2) | instskip(SKIP_2) | instid1(VALU_DEP_2)
	v_cmp_lt_u32_e32 vcc_lo, 0xffffff, v22
	v_sub_nc_u32_e32 v20, v23, v26
	v_cndmask_b32_e64 v23, 0, 1, vcc_lo
	v_add_co_ci_u32_e32 v20, vcc_lo, 0, v20, vcc_lo
	s_delay_alu instid0(VALU_DEP_2)
	v_lshrrev_b32_e32 v22, v23, v22
; %bb.6574:                             ;   in Loop: Header=BB6_6496 Depth=4
	s_and_not1_saveexec_b32 s13, s13
; %bb.6575:                             ;   in Loop: Header=BB6_6496 Depth=4
	s_delay_alu instid0(VALU_DEP_1)
	v_bfe_u32 v20, v22, 23, 1
; %bb.6576:                             ;   in Loop: Header=BB6_6496 Depth=4
	s_or_b32 exec_lo, exec_lo, s13
	v_lshrrev_b32_e32 v22, 21, v22
	s_delay_alu instid0(VALU_DEP_2) | instskip(SKIP_2) | instid1(VALU_DEP_4)
	v_cmp_gt_i32_e32 vcc_lo, 32, v20
	v_lshrrev_b32_e32 v14, 24, v14
	v_min_i32_e32 v23, 31, v20
	v_cndmask_b32_e32 v22, 3, v22, vcc_lo
	s_delay_alu instid0(VALU_DEP_3) | instskip(NEXT) | instid1(VALU_DEP_3)
	v_and_b32_e32 v14, 0x80, v14
	v_lshlrev_b32_e32 v23, 2, v23
	s_delay_alu instid0(VALU_DEP_3) | instskip(SKIP_1) | instid1(VALU_DEP_2)
	v_and_b32_e32 v26, 3, v22
	v_or_b32_e32 v20, v20, v22
	v_or3_b32 v14, v23, v14, v26
	s_delay_alu instid0(VALU_DEP_2) | instskip(NEXT) | instid1(VALU_DEP_2)
	v_cmp_ne_u32_e32 vcc_lo, 0, v20
	v_cndmask_b32_e32 v181, 0, v14, vcc_lo
.LBB6_6577:                             ;   in Loop: Header=BB6_6496 Depth=4
	s_or_b32 exec_lo, exec_lo, s35
.LBB6_6578:                             ;   in Loop: Header=BB6_6496 Depth=4
	s_delay_alu instid0(SALU_CYCLE_1)
	s_or_b32 exec_lo, exec_lo, s34
	flat_load_u8 v14, v[8:9] offset:192 slc dlc
	s_mov_b32 s13, 0
	s_mov_b32 s35, exec_lo
                                        ; implicit-def: $sgpr34
	s_waitcnt vmcnt(0) lgkmcnt(0)
	v_cmpx_lt_i16_e32 0x7f, v14
	s_xor_b32 s35, exec_lo, s35
	s_cbranch_execnz .LBB6_7427
; %bb.6579:                             ;   in Loop: Header=BB6_6496 Depth=4
	s_or_saveexec_b32 s35, s35
	v_mov_b32_e32 v20, s34
	s_xor_b32 exec_lo, exec_lo, s35
	s_cbranch_execnz .LBB6_7430
.LBB6_6580:                             ;   in Loop: Header=BB6_6496 Depth=4
	s_or_b32 exec_lo, exec_lo, s35
	s_and_saveexec_b32 s34, s13
	s_cbranch_execz .LBB6_6582
.LBB6_6581:                             ;   in Loop: Header=BB6_6496 Depth=4
	v_and_b32_e32 v20, 0xffff, v14
	v_lshlrev_b32_e32 v14, 24, v14
	s_delay_alu instid0(VALU_DEP_2) | instskip(NEXT) | instid1(VALU_DEP_2)
	v_and_b32_e32 v22, 3, v20
	v_and_b32_e32 v14, 0x80000000, v14
	s_delay_alu instid0(VALU_DEP_2) | instskip(NEXT) | instid1(VALU_DEP_1)
	v_clz_i32_u32_e32 v23, v22
	v_min_u32_e32 v23, 32, v23
	s_delay_alu instid0(VALU_DEP_1) | instskip(SKIP_1) | instid1(VALU_DEP_2)
	v_subrev_nc_u32_e32 v26, 29, v23
	v_sub_nc_u32_e32 v23, 30, v23
	v_lshlrev_b32_e32 v26, v26, v20
	v_bfe_u32 v20, v20, 2, 5
	s_delay_alu instid0(VALU_DEP_2) | instskip(NEXT) | instid1(VALU_DEP_2)
	v_and_b32_e32 v26, 3, v26
	v_cmp_eq_u32_e32 vcc_lo, 0, v20
	v_cndmask_b32_e32 v20, v20, v23, vcc_lo
	s_delay_alu instid0(VALU_DEP_3) | instskip(NEXT) | instid1(VALU_DEP_2)
	v_cndmask_b32_e32 v22, v22, v26, vcc_lo
	v_lshl_add_u32 v20, v20, 23, 0x37800000
	s_delay_alu instid0(VALU_DEP_2) | instskip(NEXT) | instid1(VALU_DEP_1)
	v_lshlrev_b32_e32 v22, 21, v22
	v_or3_b32 v20, v14, v20, v22
.LBB6_6582:                             ;   in Loop: Header=BB6_6496 Depth=4
	s_or_b32 exec_lo, exec_lo, s34
	s_delay_alu instid0(VALU_DEP_1) | instskip(SKIP_2) | instid1(VALU_DEP_2)
	v_mul_f32_e32 v14, v15, v20
	v_mov_b32_e32 v42, 0x80
	s_mov_b32 s34, exec_lo
	v_and_b32_e32 v20, 0x7f800000, v14
	s_delay_alu instid0(VALU_DEP_1)
	v_cmpx_ne_u32_e32 0x7f800000, v20
	s_cbranch_execz .LBB6_6590
; %bb.6583:                             ;   in Loop: Header=BB6_6496 Depth=4
	v_mov_b32_e32 v42, 0
	s_mov_b32 s35, exec_lo
	v_cmpx_ne_u32_e32 0, v14
	s_cbranch_execz .LBB6_6589
; %bb.6584:                             ;   in Loop: Header=BB6_6496 Depth=4
	v_bfe_u32 v20, v14, 23, 8
	s_delay_alu instid0(VALU_DEP_1) | instskip(SKIP_1) | instid1(VALU_DEP_2)
	v_sub_nc_u32_e32 v23, 0x70, v20
	v_cmp_gt_u32_e32 vcc_lo, 0x71, v20
	v_dual_cndmask_b32 v23, 0, v23 :: v_dual_and_b32 v22, 0x7fffff, v14
	s_delay_alu instid0(VALU_DEP_1) | instskip(SKIP_2) | instid1(VALU_DEP_4)
	v_or_b32_e32 v26, 0x800000, v22
	v_cmp_eq_u32_e32 vcc_lo, 0, v20
	v_add_nc_u32_e32 v20, 0xffffff91, v20
	v_cndmask_b32_e64 v23, v23, 0x6f, vcc_lo
	s_delay_alu instid0(VALU_DEP_2) | instskip(SKIP_1) | instid1(VALU_DEP_3)
	v_cndmask_b32_e64 v20, v20, 0xffffff92, vcc_lo
	v_cndmask_b32_e32 v22, v26, v22, vcc_lo
	v_lshl_add_u32 v26, 0x200000, v23, -1
	v_lshlrev_b32_e64 v37, v23, 0x100000
	s_delay_alu instid0(VALU_DEP_3) | instskip(SKIP_1) | instid1(VALU_DEP_4)
	v_lshrrev_b32_e32 v27, v23, v22
	v_add_nc_u32_e32 v23, v23, v20
	v_and_b32_e32 v22, v26, v22
	s_delay_alu instid0(VALU_DEP_3) | instskip(NEXT) | instid1(VALU_DEP_2)
	v_bfe_u32 v36, v27, 21, 1
	v_cmp_eq_u32_e64 s13, v22, v37
	s_delay_alu instid0(VALU_DEP_2) | instskip(NEXT) | instid1(VALU_DEP_1)
	v_add_nc_u32_e32 v26, -1, v36
	v_cndmask_b32_e64 v22, 0, v26, s13
	v_lshrrev_b32_e32 v26, 23, v27
	s_mov_b32 s13, exec_lo
	s_delay_alu instid0(VALU_DEP_2) | instskip(NEXT) | instid1(VALU_DEP_2)
	v_add_nc_u32_e32 v22, v22, v27
	v_xor_b32_e32 v26, 1, v26
	s_delay_alu instid0(VALU_DEP_2) | instskip(NEXT) | instid1(VALU_DEP_1)
	v_and_b32_e32 v20, 0x1fffff, v22
	v_add_nc_u32_e32 v22, v20, v27
                                        ; implicit-def: $vgpr20
	s_delay_alu instid0(VALU_DEP_3)
	v_cmpx_ne_u32_e64 v23, v26
	s_xor_b32 s13, exec_lo, s13
; %bb.6585:                             ;   in Loop: Header=BB6_6496 Depth=4
	s_delay_alu instid0(VALU_DEP_2) | instskip(SKIP_2) | instid1(VALU_DEP_2)
	v_cmp_lt_u32_e32 vcc_lo, 0xffffff, v22
	v_sub_nc_u32_e32 v20, v23, v26
	v_cndmask_b32_e64 v23, 0, 1, vcc_lo
	v_add_co_ci_u32_e32 v20, vcc_lo, 0, v20, vcc_lo
	s_delay_alu instid0(VALU_DEP_2)
	v_lshrrev_b32_e32 v22, v23, v22
; %bb.6586:                             ;   in Loop: Header=BB6_6496 Depth=4
	s_and_not1_saveexec_b32 s13, s13
; %bb.6587:                             ;   in Loop: Header=BB6_6496 Depth=4
	s_delay_alu instid0(VALU_DEP_1)
	v_bfe_u32 v20, v22, 23, 1
; %bb.6588:                             ;   in Loop: Header=BB6_6496 Depth=4
	s_or_b32 exec_lo, exec_lo, s13
	v_lshrrev_b32_e32 v22, 21, v22
	s_delay_alu instid0(VALU_DEP_2) | instskip(SKIP_2) | instid1(VALU_DEP_4)
	v_cmp_gt_i32_e32 vcc_lo, 32, v20
	v_lshrrev_b32_e32 v14, 24, v14
	v_min_i32_e32 v23, 31, v20
	v_cndmask_b32_e32 v22, 3, v22, vcc_lo
	s_delay_alu instid0(VALU_DEP_3) | instskip(NEXT) | instid1(VALU_DEP_3)
	v_and_b32_e32 v14, 0x80, v14
	v_lshlrev_b32_e32 v23, 2, v23
	s_delay_alu instid0(VALU_DEP_3) | instskip(SKIP_1) | instid1(VALU_DEP_2)
	v_and_b32_e32 v26, 3, v22
	v_or_b32_e32 v20, v20, v22
	v_or3_b32 v14, v23, v14, v26
	s_delay_alu instid0(VALU_DEP_2) | instskip(NEXT) | instid1(VALU_DEP_2)
	v_cmp_ne_u32_e32 vcc_lo, 0, v20
	v_cndmask_b32_e32 v42, 0, v14, vcc_lo
.LBB6_6589:                             ;   in Loop: Header=BB6_6496 Depth=4
	s_or_b32 exec_lo, exec_lo, s35
.LBB6_6590:                             ;   in Loop: Header=BB6_6496 Depth=4
	s_delay_alu instid0(SALU_CYCLE_1)
	s_or_b32 exec_lo, exec_lo, s34
	flat_load_u8 v14, v[8:9] offset:224 slc dlc
	s_mov_b32 s13, 0
	s_mov_b32 s35, exec_lo
                                        ; implicit-def: $sgpr34
	s_waitcnt vmcnt(0) lgkmcnt(0)
	v_cmpx_lt_i16_e32 0x7f, v14
	s_xor_b32 s35, exec_lo, s35
	s_cbranch_execnz .LBB6_7431
; %bb.6591:                             ;   in Loop: Header=BB6_6496 Depth=4
	s_or_saveexec_b32 s35, s35
	v_mov_b32_e32 v20, s34
	s_xor_b32 exec_lo, exec_lo, s35
	s_cbranch_execnz .LBB6_7434
.LBB6_6592:                             ;   in Loop: Header=BB6_6496 Depth=4
	s_or_b32 exec_lo, exec_lo, s35
	s_and_saveexec_b32 s34, s13
	s_cbranch_execz .LBB6_6594
.LBB6_6593:                             ;   in Loop: Header=BB6_6496 Depth=4
	v_and_b32_e32 v20, 0xffff, v14
	v_lshlrev_b32_e32 v14, 24, v14
	s_delay_alu instid0(VALU_DEP_2) | instskip(NEXT) | instid1(VALU_DEP_2)
	v_and_b32_e32 v22, 3, v20
	v_and_b32_e32 v14, 0x80000000, v14
	s_delay_alu instid0(VALU_DEP_2) | instskip(NEXT) | instid1(VALU_DEP_1)
	v_clz_i32_u32_e32 v23, v22
	v_min_u32_e32 v23, 32, v23
	s_delay_alu instid0(VALU_DEP_1) | instskip(SKIP_1) | instid1(VALU_DEP_2)
	v_subrev_nc_u32_e32 v26, 29, v23
	v_sub_nc_u32_e32 v23, 30, v23
	v_lshlrev_b32_e32 v26, v26, v20
	v_bfe_u32 v20, v20, 2, 5
	s_delay_alu instid0(VALU_DEP_2) | instskip(NEXT) | instid1(VALU_DEP_2)
	v_and_b32_e32 v26, 3, v26
	v_cmp_eq_u32_e32 vcc_lo, 0, v20
	v_cndmask_b32_e32 v20, v20, v23, vcc_lo
	s_delay_alu instid0(VALU_DEP_3) | instskip(NEXT) | instid1(VALU_DEP_2)
	v_cndmask_b32_e32 v22, v22, v26, vcc_lo
	v_lshl_add_u32 v20, v20, 23, 0x37800000
	s_delay_alu instid0(VALU_DEP_2) | instskip(NEXT) | instid1(VALU_DEP_1)
	v_lshlrev_b32_e32 v22, 21, v22
	v_or3_b32 v20, v14, v20, v22
.LBB6_6594:                             ;   in Loop: Header=BB6_6496 Depth=4
	s_or_b32 exec_lo, exec_lo, s34
	s_delay_alu instid0(VALU_DEP_1) | instskip(SKIP_1) | instid1(VALU_DEP_1)
	v_dual_mul_f32 v14, v15, v20 :: v_dual_mov_b32 v47, 0x80
	s_mov_b32 s34, exec_lo
	v_and_b32_e32 v20, 0x7f800000, v14
	s_delay_alu instid0(VALU_DEP_1)
	v_cmpx_ne_u32_e32 0x7f800000, v20
	s_cbranch_execz .LBB6_6602
; %bb.6595:                             ;   in Loop: Header=BB6_6496 Depth=4
	v_mov_b32_e32 v47, 0
	s_mov_b32 s35, exec_lo
	v_cmpx_ne_u32_e32 0, v14
	s_cbranch_execz .LBB6_6601
; %bb.6596:                             ;   in Loop: Header=BB6_6496 Depth=4
	v_bfe_u32 v20, v14, 23, 8
	s_delay_alu instid0(VALU_DEP_1) | instskip(SKIP_1) | instid1(VALU_DEP_2)
	v_sub_nc_u32_e32 v23, 0x70, v20
	v_cmp_gt_u32_e32 vcc_lo, 0x71, v20
	v_dual_cndmask_b32 v23, 0, v23 :: v_dual_and_b32 v22, 0x7fffff, v14
	s_delay_alu instid0(VALU_DEP_1) | instskip(SKIP_2) | instid1(VALU_DEP_4)
	v_or_b32_e32 v26, 0x800000, v22
	v_cmp_eq_u32_e32 vcc_lo, 0, v20
	v_add_nc_u32_e32 v20, 0xffffff91, v20
	v_cndmask_b32_e64 v23, v23, 0x6f, vcc_lo
	s_delay_alu instid0(VALU_DEP_2) | instskip(SKIP_1) | instid1(VALU_DEP_3)
	v_cndmask_b32_e64 v20, v20, 0xffffff92, vcc_lo
	v_cndmask_b32_e32 v22, v26, v22, vcc_lo
	v_lshl_add_u32 v26, 0x200000, v23, -1
	v_lshlrev_b32_e64 v37, v23, 0x100000
	s_delay_alu instid0(VALU_DEP_3) | instskip(SKIP_1) | instid1(VALU_DEP_4)
	v_lshrrev_b32_e32 v27, v23, v22
	v_add_nc_u32_e32 v23, v23, v20
	v_and_b32_e32 v22, v26, v22
	s_delay_alu instid0(VALU_DEP_3) | instskip(NEXT) | instid1(VALU_DEP_2)
	v_bfe_u32 v36, v27, 21, 1
	v_cmp_eq_u32_e64 s13, v22, v37
	s_delay_alu instid0(VALU_DEP_2) | instskip(NEXT) | instid1(VALU_DEP_1)
	v_add_nc_u32_e32 v26, -1, v36
	v_cndmask_b32_e64 v22, 0, v26, s13
	v_lshrrev_b32_e32 v26, 23, v27
	s_mov_b32 s13, exec_lo
	s_delay_alu instid0(VALU_DEP_2) | instskip(NEXT) | instid1(VALU_DEP_2)
	v_add_nc_u32_e32 v22, v22, v27
	v_xor_b32_e32 v26, 1, v26
	s_delay_alu instid0(VALU_DEP_2) | instskip(NEXT) | instid1(VALU_DEP_1)
	v_and_b32_e32 v20, 0x1fffff, v22
	v_add_nc_u32_e32 v22, v20, v27
                                        ; implicit-def: $vgpr20
	s_delay_alu instid0(VALU_DEP_3)
	v_cmpx_ne_u32_e64 v23, v26
	s_xor_b32 s13, exec_lo, s13
; %bb.6597:                             ;   in Loop: Header=BB6_6496 Depth=4
	s_delay_alu instid0(VALU_DEP_2) | instskip(SKIP_2) | instid1(VALU_DEP_2)
	v_cmp_lt_u32_e32 vcc_lo, 0xffffff, v22
	v_sub_nc_u32_e32 v20, v23, v26
	v_cndmask_b32_e64 v23, 0, 1, vcc_lo
	v_add_co_ci_u32_e32 v20, vcc_lo, 0, v20, vcc_lo
	s_delay_alu instid0(VALU_DEP_2)
	v_lshrrev_b32_e32 v22, v23, v22
; %bb.6598:                             ;   in Loop: Header=BB6_6496 Depth=4
	s_and_not1_saveexec_b32 s13, s13
; %bb.6599:                             ;   in Loop: Header=BB6_6496 Depth=4
	s_delay_alu instid0(VALU_DEP_1)
	v_bfe_u32 v20, v22, 23, 1
; %bb.6600:                             ;   in Loop: Header=BB6_6496 Depth=4
	s_or_b32 exec_lo, exec_lo, s13
	v_lshrrev_b32_e32 v22, 21, v22
	s_delay_alu instid0(VALU_DEP_2) | instskip(SKIP_2) | instid1(VALU_DEP_4)
	v_cmp_gt_i32_e32 vcc_lo, 32, v20
	v_lshrrev_b32_e32 v14, 24, v14
	v_min_i32_e32 v23, 31, v20
	v_cndmask_b32_e32 v22, 3, v22, vcc_lo
	s_delay_alu instid0(VALU_DEP_3) | instskip(NEXT) | instid1(VALU_DEP_3)
	v_and_b32_e32 v14, 0x80, v14
	v_lshlrev_b32_e32 v23, 2, v23
	s_delay_alu instid0(VALU_DEP_3) | instskip(SKIP_1) | instid1(VALU_DEP_2)
	v_and_b32_e32 v26, 3, v22
	v_or_b32_e32 v20, v20, v22
	v_or3_b32 v14, v23, v14, v26
	s_delay_alu instid0(VALU_DEP_2) | instskip(NEXT) | instid1(VALU_DEP_2)
	v_cmp_ne_u32_e32 vcc_lo, 0, v20
	v_cndmask_b32_e32 v47, 0, v14, vcc_lo
.LBB6_6601:                             ;   in Loop: Header=BB6_6496 Depth=4
	s_or_b32 exec_lo, exec_lo, s35
.LBB6_6602:                             ;   in Loop: Header=BB6_6496 Depth=4
	s_delay_alu instid0(SALU_CYCLE_1)
	s_or_b32 exec_lo, exec_lo, s34
	flat_load_u8 v14, v[8:9] offset:256 slc dlc
	s_mov_b32 s13, 0
	s_mov_b32 s35, exec_lo
                                        ; implicit-def: $sgpr34
	s_waitcnt vmcnt(0) lgkmcnt(0)
	v_cmpx_lt_i16_e32 0x7f, v14
	s_xor_b32 s35, exec_lo, s35
	s_cbranch_execnz .LBB6_7435
; %bb.6603:                             ;   in Loop: Header=BB6_6496 Depth=4
	s_or_saveexec_b32 s35, s35
	v_mov_b32_e32 v20, s34
	s_xor_b32 exec_lo, exec_lo, s35
	s_cbranch_execnz .LBB6_7438
.LBB6_6604:                             ;   in Loop: Header=BB6_6496 Depth=4
	s_or_b32 exec_lo, exec_lo, s35
	s_and_saveexec_b32 s34, s13
	s_cbranch_execz .LBB6_6606
.LBB6_6605:                             ;   in Loop: Header=BB6_6496 Depth=4
	v_and_b32_e32 v20, 0xffff, v14
	v_lshlrev_b32_e32 v14, 24, v14
	s_delay_alu instid0(VALU_DEP_2) | instskip(NEXT) | instid1(VALU_DEP_2)
	v_and_b32_e32 v22, 3, v20
	v_and_b32_e32 v14, 0x80000000, v14
	s_delay_alu instid0(VALU_DEP_2) | instskip(NEXT) | instid1(VALU_DEP_1)
	v_clz_i32_u32_e32 v23, v22
	v_min_u32_e32 v23, 32, v23
	s_delay_alu instid0(VALU_DEP_1) | instskip(SKIP_1) | instid1(VALU_DEP_2)
	v_subrev_nc_u32_e32 v26, 29, v23
	v_sub_nc_u32_e32 v23, 30, v23
	v_lshlrev_b32_e32 v26, v26, v20
	v_bfe_u32 v20, v20, 2, 5
	s_delay_alu instid0(VALU_DEP_2) | instskip(NEXT) | instid1(VALU_DEP_2)
	v_and_b32_e32 v26, 3, v26
	v_cmp_eq_u32_e32 vcc_lo, 0, v20
	v_cndmask_b32_e32 v20, v20, v23, vcc_lo
	s_delay_alu instid0(VALU_DEP_3) | instskip(NEXT) | instid1(VALU_DEP_2)
	v_cndmask_b32_e32 v22, v22, v26, vcc_lo
	v_lshl_add_u32 v20, v20, 23, 0x37800000
	s_delay_alu instid0(VALU_DEP_2) | instskip(NEXT) | instid1(VALU_DEP_1)
	v_lshlrev_b32_e32 v22, 21, v22
	v_or3_b32 v20, v14, v20, v22
.LBB6_6606:                             ;   in Loop: Header=BB6_6496 Depth=4
	s_or_b32 exec_lo, exec_lo, s34
	s_delay_alu instid0(VALU_DEP_1) | instskip(SKIP_2) | instid1(VALU_DEP_2)
	v_mul_f32_e32 v14, v15, v20
	v_mov_b32_e32 v56, 0x80
	s_mov_b32 s34, exec_lo
	v_and_b32_e32 v20, 0x7f800000, v14
	s_delay_alu instid0(VALU_DEP_1)
	v_cmpx_ne_u32_e32 0x7f800000, v20
	s_cbranch_execz .LBB6_6614
; %bb.6607:                             ;   in Loop: Header=BB6_6496 Depth=4
	v_mov_b32_e32 v56, 0
	s_mov_b32 s35, exec_lo
	v_cmpx_ne_u32_e32 0, v14
	s_cbranch_execz .LBB6_6613
; %bb.6608:                             ;   in Loop: Header=BB6_6496 Depth=4
	v_bfe_u32 v20, v14, 23, 8
	s_delay_alu instid0(VALU_DEP_1) | instskip(SKIP_1) | instid1(VALU_DEP_2)
	v_sub_nc_u32_e32 v23, 0x70, v20
	v_cmp_gt_u32_e32 vcc_lo, 0x71, v20
	v_dual_cndmask_b32 v23, 0, v23 :: v_dual_and_b32 v22, 0x7fffff, v14
	s_delay_alu instid0(VALU_DEP_1) | instskip(SKIP_2) | instid1(VALU_DEP_4)
	v_or_b32_e32 v26, 0x800000, v22
	v_cmp_eq_u32_e32 vcc_lo, 0, v20
	v_add_nc_u32_e32 v20, 0xffffff91, v20
	v_cndmask_b32_e64 v23, v23, 0x6f, vcc_lo
	s_delay_alu instid0(VALU_DEP_2) | instskip(SKIP_1) | instid1(VALU_DEP_3)
	v_cndmask_b32_e64 v20, v20, 0xffffff92, vcc_lo
	v_cndmask_b32_e32 v22, v26, v22, vcc_lo
	v_lshl_add_u32 v26, 0x200000, v23, -1
	v_lshlrev_b32_e64 v37, v23, 0x100000
	s_delay_alu instid0(VALU_DEP_3) | instskip(SKIP_1) | instid1(VALU_DEP_4)
	v_lshrrev_b32_e32 v27, v23, v22
	v_add_nc_u32_e32 v23, v23, v20
	v_and_b32_e32 v22, v26, v22
	s_delay_alu instid0(VALU_DEP_3) | instskip(NEXT) | instid1(VALU_DEP_2)
	v_bfe_u32 v36, v27, 21, 1
	v_cmp_eq_u32_e64 s13, v22, v37
	s_delay_alu instid0(VALU_DEP_2) | instskip(NEXT) | instid1(VALU_DEP_1)
	v_add_nc_u32_e32 v26, -1, v36
	v_cndmask_b32_e64 v22, 0, v26, s13
	v_lshrrev_b32_e32 v26, 23, v27
	s_mov_b32 s13, exec_lo
	s_delay_alu instid0(VALU_DEP_2) | instskip(NEXT) | instid1(VALU_DEP_2)
	v_add_nc_u32_e32 v22, v22, v27
	v_xor_b32_e32 v26, 1, v26
	s_delay_alu instid0(VALU_DEP_2) | instskip(NEXT) | instid1(VALU_DEP_1)
	v_and_b32_e32 v20, 0x1fffff, v22
	v_add_nc_u32_e32 v22, v20, v27
                                        ; implicit-def: $vgpr20
	s_delay_alu instid0(VALU_DEP_3)
	v_cmpx_ne_u32_e64 v23, v26
	s_xor_b32 s13, exec_lo, s13
; %bb.6609:                             ;   in Loop: Header=BB6_6496 Depth=4
	s_delay_alu instid0(VALU_DEP_2) | instskip(SKIP_2) | instid1(VALU_DEP_2)
	v_cmp_lt_u32_e32 vcc_lo, 0xffffff, v22
	v_sub_nc_u32_e32 v20, v23, v26
	v_cndmask_b32_e64 v23, 0, 1, vcc_lo
	v_add_co_ci_u32_e32 v20, vcc_lo, 0, v20, vcc_lo
	s_delay_alu instid0(VALU_DEP_2)
	v_lshrrev_b32_e32 v22, v23, v22
; %bb.6610:                             ;   in Loop: Header=BB6_6496 Depth=4
	s_and_not1_saveexec_b32 s13, s13
; %bb.6611:                             ;   in Loop: Header=BB6_6496 Depth=4
	s_delay_alu instid0(VALU_DEP_1)
	v_bfe_u32 v20, v22, 23, 1
; %bb.6612:                             ;   in Loop: Header=BB6_6496 Depth=4
	s_or_b32 exec_lo, exec_lo, s13
	v_lshrrev_b32_e32 v22, 21, v22
	s_delay_alu instid0(VALU_DEP_2) | instskip(SKIP_2) | instid1(VALU_DEP_4)
	v_cmp_gt_i32_e32 vcc_lo, 32, v20
	v_lshrrev_b32_e32 v14, 24, v14
	v_min_i32_e32 v23, 31, v20
	v_cndmask_b32_e32 v22, 3, v22, vcc_lo
	s_delay_alu instid0(VALU_DEP_3) | instskip(NEXT) | instid1(VALU_DEP_3)
	v_and_b32_e32 v14, 0x80, v14
	v_lshlrev_b32_e32 v23, 2, v23
	s_delay_alu instid0(VALU_DEP_3) | instskip(SKIP_1) | instid1(VALU_DEP_2)
	v_and_b32_e32 v26, 3, v22
	v_or_b32_e32 v20, v20, v22
	v_or3_b32 v14, v23, v14, v26
	s_delay_alu instid0(VALU_DEP_2) | instskip(NEXT) | instid1(VALU_DEP_2)
	v_cmp_ne_u32_e32 vcc_lo, 0, v20
	v_cndmask_b32_e32 v56, 0, v14, vcc_lo
.LBB6_6613:                             ;   in Loop: Header=BB6_6496 Depth=4
	s_or_b32 exec_lo, exec_lo, s35
.LBB6_6614:                             ;   in Loop: Header=BB6_6496 Depth=4
	s_delay_alu instid0(SALU_CYCLE_1)
	s_or_b32 exec_lo, exec_lo, s34
	flat_load_u8 v14, v[8:9] offset:288 slc dlc
	s_mov_b32 s13, 0
	s_mov_b32 s35, exec_lo
                                        ; implicit-def: $sgpr34
	s_waitcnt vmcnt(0) lgkmcnt(0)
	v_cmpx_lt_i16_e32 0x7f, v14
	s_xor_b32 s35, exec_lo, s35
	s_cbranch_execnz .LBB6_7439
; %bb.6615:                             ;   in Loop: Header=BB6_6496 Depth=4
	s_or_saveexec_b32 s35, s35
	v_mov_b32_e32 v20, s34
	s_xor_b32 exec_lo, exec_lo, s35
	s_cbranch_execnz .LBB6_7442
.LBB6_6616:                             ;   in Loop: Header=BB6_6496 Depth=4
	s_or_b32 exec_lo, exec_lo, s35
	s_and_saveexec_b32 s34, s13
	s_cbranch_execz .LBB6_6618
.LBB6_6617:                             ;   in Loop: Header=BB6_6496 Depth=4
	v_and_b32_e32 v20, 0xffff, v14
	v_lshlrev_b32_e32 v14, 24, v14
	s_delay_alu instid0(VALU_DEP_2) | instskip(NEXT) | instid1(VALU_DEP_2)
	v_and_b32_e32 v22, 3, v20
	v_and_b32_e32 v14, 0x80000000, v14
	s_delay_alu instid0(VALU_DEP_2) | instskip(NEXT) | instid1(VALU_DEP_1)
	v_clz_i32_u32_e32 v23, v22
	v_min_u32_e32 v23, 32, v23
	s_delay_alu instid0(VALU_DEP_1) | instskip(SKIP_1) | instid1(VALU_DEP_2)
	v_subrev_nc_u32_e32 v26, 29, v23
	v_sub_nc_u32_e32 v23, 30, v23
	v_lshlrev_b32_e32 v26, v26, v20
	v_bfe_u32 v20, v20, 2, 5
	s_delay_alu instid0(VALU_DEP_2) | instskip(NEXT) | instid1(VALU_DEP_2)
	v_and_b32_e32 v26, 3, v26
	v_cmp_eq_u32_e32 vcc_lo, 0, v20
	v_cndmask_b32_e32 v20, v20, v23, vcc_lo
	s_delay_alu instid0(VALU_DEP_3) | instskip(NEXT) | instid1(VALU_DEP_2)
	v_cndmask_b32_e32 v22, v22, v26, vcc_lo
	v_lshl_add_u32 v20, v20, 23, 0x37800000
	s_delay_alu instid0(VALU_DEP_2) | instskip(NEXT) | instid1(VALU_DEP_1)
	v_lshlrev_b32_e32 v22, 21, v22
	v_or3_b32 v20, v14, v20, v22
.LBB6_6618:                             ;   in Loop: Header=BB6_6496 Depth=4
	s_or_b32 exec_lo, exec_lo, s34
	s_delay_alu instid0(VALU_DEP_1) | instskip(SKIP_2) | instid1(VALU_DEP_2)
	v_mul_f32_e32 v14, v15, v20
	v_mov_b32_e32 v46, 0x80
	s_mov_b32 s34, exec_lo
	v_and_b32_e32 v20, 0x7f800000, v14
	s_delay_alu instid0(VALU_DEP_1)
	v_cmpx_ne_u32_e32 0x7f800000, v20
	s_cbranch_execz .LBB6_6626
; %bb.6619:                             ;   in Loop: Header=BB6_6496 Depth=4
	v_mov_b32_e32 v46, 0
	s_mov_b32 s35, exec_lo
	v_cmpx_ne_u32_e32 0, v14
	s_cbranch_execz .LBB6_6625
; %bb.6620:                             ;   in Loop: Header=BB6_6496 Depth=4
	v_bfe_u32 v20, v14, 23, 8
	s_delay_alu instid0(VALU_DEP_1) | instskip(SKIP_1) | instid1(VALU_DEP_2)
	v_sub_nc_u32_e32 v23, 0x70, v20
	v_cmp_gt_u32_e32 vcc_lo, 0x71, v20
	v_dual_cndmask_b32 v23, 0, v23 :: v_dual_and_b32 v22, 0x7fffff, v14
	s_delay_alu instid0(VALU_DEP_1) | instskip(SKIP_2) | instid1(VALU_DEP_4)
	v_or_b32_e32 v26, 0x800000, v22
	v_cmp_eq_u32_e32 vcc_lo, 0, v20
	v_add_nc_u32_e32 v20, 0xffffff91, v20
	v_cndmask_b32_e64 v23, v23, 0x6f, vcc_lo
	s_delay_alu instid0(VALU_DEP_2) | instskip(SKIP_1) | instid1(VALU_DEP_3)
	v_cndmask_b32_e64 v20, v20, 0xffffff92, vcc_lo
	v_cndmask_b32_e32 v22, v26, v22, vcc_lo
	v_lshl_add_u32 v26, 0x200000, v23, -1
	v_lshlrev_b32_e64 v37, v23, 0x100000
	s_delay_alu instid0(VALU_DEP_3) | instskip(SKIP_1) | instid1(VALU_DEP_4)
	v_lshrrev_b32_e32 v27, v23, v22
	v_add_nc_u32_e32 v23, v23, v20
	v_and_b32_e32 v22, v26, v22
	s_delay_alu instid0(VALU_DEP_3) | instskip(NEXT) | instid1(VALU_DEP_2)
	v_bfe_u32 v36, v27, 21, 1
	v_cmp_eq_u32_e64 s13, v22, v37
	s_delay_alu instid0(VALU_DEP_2) | instskip(NEXT) | instid1(VALU_DEP_1)
	v_add_nc_u32_e32 v26, -1, v36
	v_cndmask_b32_e64 v22, 0, v26, s13
	v_lshrrev_b32_e32 v26, 23, v27
	s_mov_b32 s13, exec_lo
	s_delay_alu instid0(VALU_DEP_2) | instskip(NEXT) | instid1(VALU_DEP_2)
	v_add_nc_u32_e32 v22, v22, v27
	v_xor_b32_e32 v26, 1, v26
	s_delay_alu instid0(VALU_DEP_2) | instskip(NEXT) | instid1(VALU_DEP_1)
	v_and_b32_e32 v20, 0x1fffff, v22
	v_add_nc_u32_e32 v22, v20, v27
                                        ; implicit-def: $vgpr20
	s_delay_alu instid0(VALU_DEP_3)
	v_cmpx_ne_u32_e64 v23, v26
	s_xor_b32 s13, exec_lo, s13
; %bb.6621:                             ;   in Loop: Header=BB6_6496 Depth=4
	s_delay_alu instid0(VALU_DEP_2) | instskip(SKIP_2) | instid1(VALU_DEP_2)
	v_cmp_lt_u32_e32 vcc_lo, 0xffffff, v22
	v_sub_nc_u32_e32 v20, v23, v26
	v_cndmask_b32_e64 v23, 0, 1, vcc_lo
	v_add_co_ci_u32_e32 v20, vcc_lo, 0, v20, vcc_lo
	s_delay_alu instid0(VALU_DEP_2)
	v_lshrrev_b32_e32 v22, v23, v22
; %bb.6622:                             ;   in Loop: Header=BB6_6496 Depth=4
	s_and_not1_saveexec_b32 s13, s13
; %bb.6623:                             ;   in Loop: Header=BB6_6496 Depth=4
	s_delay_alu instid0(VALU_DEP_1)
	v_bfe_u32 v20, v22, 23, 1
; %bb.6624:                             ;   in Loop: Header=BB6_6496 Depth=4
	s_or_b32 exec_lo, exec_lo, s13
	v_lshrrev_b32_e32 v22, 21, v22
	s_delay_alu instid0(VALU_DEP_2) | instskip(SKIP_2) | instid1(VALU_DEP_4)
	v_cmp_gt_i32_e32 vcc_lo, 32, v20
	v_lshrrev_b32_e32 v14, 24, v14
	v_min_i32_e32 v23, 31, v20
	v_cndmask_b32_e32 v22, 3, v22, vcc_lo
	s_delay_alu instid0(VALU_DEP_3) | instskip(NEXT) | instid1(VALU_DEP_3)
	v_and_b32_e32 v14, 0x80, v14
	v_lshlrev_b32_e32 v23, 2, v23
	s_delay_alu instid0(VALU_DEP_3) | instskip(SKIP_1) | instid1(VALU_DEP_2)
	v_and_b32_e32 v26, 3, v22
	v_or_b32_e32 v20, v20, v22
	v_or3_b32 v14, v23, v14, v26
	s_delay_alu instid0(VALU_DEP_2) | instskip(NEXT) | instid1(VALU_DEP_2)
	v_cmp_ne_u32_e32 vcc_lo, 0, v20
	v_cndmask_b32_e32 v46, 0, v14, vcc_lo
.LBB6_6625:                             ;   in Loop: Header=BB6_6496 Depth=4
	s_or_b32 exec_lo, exec_lo, s35
.LBB6_6626:                             ;   in Loop: Header=BB6_6496 Depth=4
	s_delay_alu instid0(SALU_CYCLE_1)
	s_or_b32 exec_lo, exec_lo, s34
	flat_load_u8 v14, v[8:9] offset:320 slc dlc
	s_mov_b32 s13, 0
	s_mov_b32 s35, exec_lo
                                        ; implicit-def: $sgpr34
	s_waitcnt vmcnt(0) lgkmcnt(0)
	v_cmpx_lt_i16_e32 0x7f, v14
	s_xor_b32 s35, exec_lo, s35
	s_cbranch_execnz .LBB6_7443
; %bb.6627:                             ;   in Loop: Header=BB6_6496 Depth=4
	s_or_saveexec_b32 s35, s35
	v_mov_b32_e32 v20, s34
	s_xor_b32 exec_lo, exec_lo, s35
	s_cbranch_execnz .LBB6_7446
.LBB6_6628:                             ;   in Loop: Header=BB6_6496 Depth=4
	s_or_b32 exec_lo, exec_lo, s35
	s_and_saveexec_b32 s34, s13
	s_cbranch_execz .LBB6_6630
.LBB6_6629:                             ;   in Loop: Header=BB6_6496 Depth=4
	v_and_b32_e32 v20, 0xffff, v14
	v_lshlrev_b32_e32 v14, 24, v14
	s_delay_alu instid0(VALU_DEP_2) | instskip(NEXT) | instid1(VALU_DEP_2)
	v_and_b32_e32 v22, 3, v20
	v_and_b32_e32 v14, 0x80000000, v14
	s_delay_alu instid0(VALU_DEP_2) | instskip(NEXT) | instid1(VALU_DEP_1)
	v_clz_i32_u32_e32 v23, v22
	v_min_u32_e32 v23, 32, v23
	s_delay_alu instid0(VALU_DEP_1) | instskip(SKIP_1) | instid1(VALU_DEP_2)
	v_subrev_nc_u32_e32 v26, 29, v23
	v_sub_nc_u32_e32 v23, 30, v23
	v_lshlrev_b32_e32 v26, v26, v20
	v_bfe_u32 v20, v20, 2, 5
	s_delay_alu instid0(VALU_DEP_2) | instskip(NEXT) | instid1(VALU_DEP_2)
	v_and_b32_e32 v26, 3, v26
	v_cmp_eq_u32_e32 vcc_lo, 0, v20
	v_cndmask_b32_e32 v20, v20, v23, vcc_lo
	s_delay_alu instid0(VALU_DEP_3) | instskip(NEXT) | instid1(VALU_DEP_2)
	v_cndmask_b32_e32 v22, v22, v26, vcc_lo
	v_lshl_add_u32 v20, v20, 23, 0x37800000
	s_delay_alu instid0(VALU_DEP_2) | instskip(NEXT) | instid1(VALU_DEP_1)
	v_lshlrev_b32_e32 v22, 21, v22
	v_or3_b32 v20, v14, v20, v22
.LBB6_6630:                             ;   in Loop: Header=BB6_6496 Depth=4
	s_or_b32 exec_lo, exec_lo, s34
	s_delay_alu instid0(VALU_DEP_1) | instskip(SKIP_2) | instid1(VALU_DEP_2)
	v_mul_f32_e32 v14, v15, v20
	v_mov_b32_e32 v44, 0x80
	s_mov_b32 s34, exec_lo
	v_and_b32_e32 v20, 0x7f800000, v14
	s_delay_alu instid0(VALU_DEP_1)
	v_cmpx_ne_u32_e32 0x7f800000, v20
	s_cbranch_execz .LBB6_6638
; %bb.6631:                             ;   in Loop: Header=BB6_6496 Depth=4
	v_mov_b32_e32 v44, 0
	s_mov_b32 s35, exec_lo
	v_cmpx_ne_u32_e32 0, v14
	s_cbranch_execz .LBB6_6637
; %bb.6632:                             ;   in Loop: Header=BB6_6496 Depth=4
	v_bfe_u32 v20, v14, 23, 8
	s_delay_alu instid0(VALU_DEP_1) | instskip(SKIP_1) | instid1(VALU_DEP_2)
	v_sub_nc_u32_e32 v23, 0x70, v20
	v_cmp_gt_u32_e32 vcc_lo, 0x71, v20
	v_dual_cndmask_b32 v23, 0, v23 :: v_dual_and_b32 v22, 0x7fffff, v14
	s_delay_alu instid0(VALU_DEP_1) | instskip(SKIP_2) | instid1(VALU_DEP_4)
	v_or_b32_e32 v26, 0x800000, v22
	v_cmp_eq_u32_e32 vcc_lo, 0, v20
	v_add_nc_u32_e32 v20, 0xffffff91, v20
	v_cndmask_b32_e64 v23, v23, 0x6f, vcc_lo
	s_delay_alu instid0(VALU_DEP_2) | instskip(SKIP_1) | instid1(VALU_DEP_3)
	v_cndmask_b32_e64 v20, v20, 0xffffff92, vcc_lo
	v_cndmask_b32_e32 v22, v26, v22, vcc_lo
	v_lshl_add_u32 v26, 0x200000, v23, -1
	v_lshlrev_b32_e64 v37, v23, 0x100000
	s_delay_alu instid0(VALU_DEP_3) | instskip(SKIP_1) | instid1(VALU_DEP_4)
	v_lshrrev_b32_e32 v27, v23, v22
	v_add_nc_u32_e32 v23, v23, v20
	v_and_b32_e32 v22, v26, v22
	s_delay_alu instid0(VALU_DEP_3) | instskip(NEXT) | instid1(VALU_DEP_2)
	v_bfe_u32 v36, v27, 21, 1
	v_cmp_eq_u32_e64 s13, v22, v37
	s_delay_alu instid0(VALU_DEP_2) | instskip(NEXT) | instid1(VALU_DEP_1)
	v_add_nc_u32_e32 v26, -1, v36
	v_cndmask_b32_e64 v22, 0, v26, s13
	v_lshrrev_b32_e32 v26, 23, v27
	s_mov_b32 s13, exec_lo
	s_delay_alu instid0(VALU_DEP_2) | instskip(NEXT) | instid1(VALU_DEP_2)
	v_add_nc_u32_e32 v22, v22, v27
	v_xor_b32_e32 v26, 1, v26
	s_delay_alu instid0(VALU_DEP_2) | instskip(NEXT) | instid1(VALU_DEP_1)
	v_and_b32_e32 v20, 0x1fffff, v22
	v_add_nc_u32_e32 v22, v20, v27
                                        ; implicit-def: $vgpr20
	s_delay_alu instid0(VALU_DEP_3)
	v_cmpx_ne_u32_e64 v23, v26
	s_xor_b32 s13, exec_lo, s13
; %bb.6633:                             ;   in Loop: Header=BB6_6496 Depth=4
	s_delay_alu instid0(VALU_DEP_2) | instskip(SKIP_2) | instid1(VALU_DEP_2)
	v_cmp_lt_u32_e32 vcc_lo, 0xffffff, v22
	v_sub_nc_u32_e32 v20, v23, v26
	v_cndmask_b32_e64 v23, 0, 1, vcc_lo
	v_add_co_ci_u32_e32 v20, vcc_lo, 0, v20, vcc_lo
	s_delay_alu instid0(VALU_DEP_2)
	v_lshrrev_b32_e32 v22, v23, v22
; %bb.6634:                             ;   in Loop: Header=BB6_6496 Depth=4
	s_and_not1_saveexec_b32 s13, s13
; %bb.6635:                             ;   in Loop: Header=BB6_6496 Depth=4
	s_delay_alu instid0(VALU_DEP_1)
	v_bfe_u32 v20, v22, 23, 1
; %bb.6636:                             ;   in Loop: Header=BB6_6496 Depth=4
	s_or_b32 exec_lo, exec_lo, s13
	v_lshrrev_b32_e32 v22, 21, v22
	s_delay_alu instid0(VALU_DEP_2) | instskip(SKIP_2) | instid1(VALU_DEP_4)
	v_cmp_gt_i32_e32 vcc_lo, 32, v20
	v_lshrrev_b32_e32 v14, 24, v14
	v_min_i32_e32 v23, 31, v20
	v_cndmask_b32_e32 v22, 3, v22, vcc_lo
	s_delay_alu instid0(VALU_DEP_3) | instskip(NEXT) | instid1(VALU_DEP_3)
	v_and_b32_e32 v14, 0x80, v14
	v_lshlrev_b32_e32 v23, 2, v23
	s_delay_alu instid0(VALU_DEP_3) | instskip(SKIP_1) | instid1(VALU_DEP_2)
	v_and_b32_e32 v26, 3, v22
	v_or_b32_e32 v20, v20, v22
	v_or3_b32 v14, v23, v14, v26
	s_delay_alu instid0(VALU_DEP_2) | instskip(NEXT) | instid1(VALU_DEP_2)
	v_cmp_ne_u32_e32 vcc_lo, 0, v20
	v_cndmask_b32_e32 v44, 0, v14, vcc_lo
.LBB6_6637:                             ;   in Loop: Header=BB6_6496 Depth=4
	s_or_b32 exec_lo, exec_lo, s35
.LBB6_6638:                             ;   in Loop: Header=BB6_6496 Depth=4
	s_delay_alu instid0(SALU_CYCLE_1)
	s_or_b32 exec_lo, exec_lo, s34
	flat_load_u8 v14, v[8:9] offset:352 slc dlc
	s_mov_b32 s13, 0
	s_mov_b32 s35, exec_lo
                                        ; implicit-def: $sgpr34
	s_waitcnt vmcnt(0) lgkmcnt(0)
	v_cmpx_lt_i16_e32 0x7f, v14
	s_xor_b32 s35, exec_lo, s35
	s_cbranch_execnz .LBB6_7447
; %bb.6639:                             ;   in Loop: Header=BB6_6496 Depth=4
	s_or_saveexec_b32 s35, s35
	v_mov_b32_e32 v20, s34
	s_xor_b32 exec_lo, exec_lo, s35
	s_cbranch_execnz .LBB6_7450
.LBB6_6640:                             ;   in Loop: Header=BB6_6496 Depth=4
	s_or_b32 exec_lo, exec_lo, s35
	s_and_saveexec_b32 s34, s13
	s_cbranch_execz .LBB6_6642
.LBB6_6641:                             ;   in Loop: Header=BB6_6496 Depth=4
	v_and_b32_e32 v20, 0xffff, v14
	v_lshlrev_b32_e32 v14, 24, v14
	s_delay_alu instid0(VALU_DEP_2) | instskip(NEXT) | instid1(VALU_DEP_2)
	v_and_b32_e32 v22, 3, v20
	v_and_b32_e32 v14, 0x80000000, v14
	s_delay_alu instid0(VALU_DEP_2) | instskip(NEXT) | instid1(VALU_DEP_1)
	v_clz_i32_u32_e32 v23, v22
	v_min_u32_e32 v23, 32, v23
	s_delay_alu instid0(VALU_DEP_1) | instskip(SKIP_1) | instid1(VALU_DEP_2)
	v_subrev_nc_u32_e32 v26, 29, v23
	v_sub_nc_u32_e32 v23, 30, v23
	v_lshlrev_b32_e32 v26, v26, v20
	v_bfe_u32 v20, v20, 2, 5
	s_delay_alu instid0(VALU_DEP_2) | instskip(NEXT) | instid1(VALU_DEP_2)
	v_and_b32_e32 v26, 3, v26
	v_cmp_eq_u32_e32 vcc_lo, 0, v20
	v_cndmask_b32_e32 v20, v20, v23, vcc_lo
	s_delay_alu instid0(VALU_DEP_3) | instskip(NEXT) | instid1(VALU_DEP_2)
	v_cndmask_b32_e32 v22, v22, v26, vcc_lo
	v_lshl_add_u32 v20, v20, 23, 0x37800000
	s_delay_alu instid0(VALU_DEP_2) | instskip(NEXT) | instid1(VALU_DEP_1)
	v_lshlrev_b32_e32 v22, 21, v22
	v_or3_b32 v20, v14, v20, v22
.LBB6_6642:                             ;   in Loop: Header=BB6_6496 Depth=4
	s_or_b32 exec_lo, exec_lo, s34
	s_delay_alu instid0(VALU_DEP_1) | instskip(SKIP_1) | instid1(VALU_DEP_1)
	v_dual_mul_f32 v14, v15, v20 :: v_dual_mov_b32 v43, 0x80
	s_mov_b32 s34, exec_lo
	v_and_b32_e32 v20, 0x7f800000, v14
	s_delay_alu instid0(VALU_DEP_1)
	v_cmpx_ne_u32_e32 0x7f800000, v20
	s_cbranch_execz .LBB6_6650
; %bb.6643:                             ;   in Loop: Header=BB6_6496 Depth=4
	v_mov_b32_e32 v43, 0
	s_mov_b32 s35, exec_lo
	v_cmpx_ne_u32_e32 0, v14
	s_cbranch_execz .LBB6_6649
; %bb.6644:                             ;   in Loop: Header=BB6_6496 Depth=4
	v_bfe_u32 v20, v14, 23, 8
	s_delay_alu instid0(VALU_DEP_1) | instskip(SKIP_1) | instid1(VALU_DEP_2)
	v_sub_nc_u32_e32 v23, 0x70, v20
	v_cmp_gt_u32_e32 vcc_lo, 0x71, v20
	v_dual_cndmask_b32 v23, 0, v23 :: v_dual_and_b32 v22, 0x7fffff, v14
	s_delay_alu instid0(VALU_DEP_1) | instskip(SKIP_2) | instid1(VALU_DEP_4)
	v_or_b32_e32 v26, 0x800000, v22
	v_cmp_eq_u32_e32 vcc_lo, 0, v20
	v_add_nc_u32_e32 v20, 0xffffff91, v20
	v_cndmask_b32_e64 v23, v23, 0x6f, vcc_lo
	s_delay_alu instid0(VALU_DEP_2) | instskip(SKIP_1) | instid1(VALU_DEP_3)
	v_cndmask_b32_e64 v20, v20, 0xffffff92, vcc_lo
	v_cndmask_b32_e32 v22, v26, v22, vcc_lo
	v_lshl_add_u32 v26, 0x200000, v23, -1
	v_lshlrev_b32_e64 v37, v23, 0x100000
	s_delay_alu instid0(VALU_DEP_3) | instskip(SKIP_1) | instid1(VALU_DEP_4)
	v_lshrrev_b32_e32 v27, v23, v22
	v_add_nc_u32_e32 v23, v23, v20
	v_and_b32_e32 v22, v26, v22
	s_delay_alu instid0(VALU_DEP_3) | instskip(NEXT) | instid1(VALU_DEP_2)
	v_bfe_u32 v36, v27, 21, 1
	v_cmp_eq_u32_e64 s13, v22, v37
	s_delay_alu instid0(VALU_DEP_2) | instskip(NEXT) | instid1(VALU_DEP_1)
	v_add_nc_u32_e32 v26, -1, v36
	v_cndmask_b32_e64 v22, 0, v26, s13
	v_lshrrev_b32_e32 v26, 23, v27
	s_mov_b32 s13, exec_lo
	s_delay_alu instid0(VALU_DEP_2) | instskip(NEXT) | instid1(VALU_DEP_2)
	v_add_nc_u32_e32 v22, v22, v27
	v_xor_b32_e32 v26, 1, v26
	s_delay_alu instid0(VALU_DEP_2) | instskip(NEXT) | instid1(VALU_DEP_1)
	v_and_b32_e32 v20, 0x1fffff, v22
	v_add_nc_u32_e32 v22, v20, v27
                                        ; implicit-def: $vgpr20
	s_delay_alu instid0(VALU_DEP_3)
	v_cmpx_ne_u32_e64 v23, v26
	s_xor_b32 s13, exec_lo, s13
; %bb.6645:                             ;   in Loop: Header=BB6_6496 Depth=4
	s_delay_alu instid0(VALU_DEP_2) | instskip(SKIP_2) | instid1(VALU_DEP_2)
	v_cmp_lt_u32_e32 vcc_lo, 0xffffff, v22
	v_sub_nc_u32_e32 v20, v23, v26
	v_cndmask_b32_e64 v23, 0, 1, vcc_lo
	v_add_co_ci_u32_e32 v20, vcc_lo, 0, v20, vcc_lo
	s_delay_alu instid0(VALU_DEP_2)
	v_lshrrev_b32_e32 v22, v23, v22
; %bb.6646:                             ;   in Loop: Header=BB6_6496 Depth=4
	s_and_not1_saveexec_b32 s13, s13
; %bb.6647:                             ;   in Loop: Header=BB6_6496 Depth=4
	s_delay_alu instid0(VALU_DEP_1)
	v_bfe_u32 v20, v22, 23, 1
; %bb.6648:                             ;   in Loop: Header=BB6_6496 Depth=4
	s_or_b32 exec_lo, exec_lo, s13
	v_lshrrev_b32_e32 v22, 21, v22
	s_delay_alu instid0(VALU_DEP_2) | instskip(SKIP_2) | instid1(VALU_DEP_4)
	v_cmp_gt_i32_e32 vcc_lo, 32, v20
	v_lshrrev_b32_e32 v14, 24, v14
	v_min_i32_e32 v23, 31, v20
	v_cndmask_b32_e32 v22, 3, v22, vcc_lo
	s_delay_alu instid0(VALU_DEP_3) | instskip(NEXT) | instid1(VALU_DEP_3)
	v_and_b32_e32 v14, 0x80, v14
	v_lshlrev_b32_e32 v23, 2, v23
	s_delay_alu instid0(VALU_DEP_3) | instskip(SKIP_1) | instid1(VALU_DEP_2)
	v_and_b32_e32 v26, 3, v22
	v_or_b32_e32 v20, v20, v22
	v_or3_b32 v14, v23, v14, v26
	s_delay_alu instid0(VALU_DEP_2) | instskip(NEXT) | instid1(VALU_DEP_2)
	v_cmp_ne_u32_e32 vcc_lo, 0, v20
	v_cndmask_b32_e32 v43, 0, v14, vcc_lo
.LBB6_6649:                             ;   in Loop: Header=BB6_6496 Depth=4
	s_or_b32 exec_lo, exec_lo, s35
.LBB6_6650:                             ;   in Loop: Header=BB6_6496 Depth=4
	s_delay_alu instid0(SALU_CYCLE_1)
	s_or_b32 exec_lo, exec_lo, s34
	flat_load_u8 v14, v[8:9] offset:384 slc dlc
	s_mov_b32 s13, 0
	s_mov_b32 s35, exec_lo
                                        ; implicit-def: $sgpr34
	s_waitcnt vmcnt(0) lgkmcnt(0)
	v_cmpx_lt_i16_e32 0x7f, v14
	s_xor_b32 s35, exec_lo, s35
	s_cbranch_execnz .LBB6_7451
; %bb.6651:                             ;   in Loop: Header=BB6_6496 Depth=4
	s_or_saveexec_b32 s35, s35
	v_mov_b32_e32 v20, s34
	s_xor_b32 exec_lo, exec_lo, s35
	s_cbranch_execnz .LBB6_7454
.LBB6_6652:                             ;   in Loop: Header=BB6_6496 Depth=4
	s_or_b32 exec_lo, exec_lo, s35
	s_and_saveexec_b32 s34, s13
	s_cbranch_execz .LBB6_6654
.LBB6_6653:                             ;   in Loop: Header=BB6_6496 Depth=4
	v_and_b32_e32 v20, 0xffff, v14
	v_lshlrev_b32_e32 v14, 24, v14
	s_delay_alu instid0(VALU_DEP_2) | instskip(NEXT) | instid1(VALU_DEP_2)
	v_and_b32_e32 v22, 3, v20
	v_and_b32_e32 v14, 0x80000000, v14
	s_delay_alu instid0(VALU_DEP_2) | instskip(NEXT) | instid1(VALU_DEP_1)
	v_clz_i32_u32_e32 v23, v22
	v_min_u32_e32 v23, 32, v23
	s_delay_alu instid0(VALU_DEP_1) | instskip(SKIP_1) | instid1(VALU_DEP_2)
	v_subrev_nc_u32_e32 v26, 29, v23
	v_sub_nc_u32_e32 v23, 30, v23
	v_lshlrev_b32_e32 v26, v26, v20
	v_bfe_u32 v20, v20, 2, 5
	s_delay_alu instid0(VALU_DEP_2) | instskip(NEXT) | instid1(VALU_DEP_2)
	v_and_b32_e32 v26, 3, v26
	v_cmp_eq_u32_e32 vcc_lo, 0, v20
	v_cndmask_b32_e32 v20, v20, v23, vcc_lo
	s_delay_alu instid0(VALU_DEP_3) | instskip(NEXT) | instid1(VALU_DEP_2)
	v_cndmask_b32_e32 v22, v22, v26, vcc_lo
	v_lshl_add_u32 v20, v20, 23, 0x37800000
	s_delay_alu instid0(VALU_DEP_2) | instskip(NEXT) | instid1(VALU_DEP_1)
	v_lshlrev_b32_e32 v22, 21, v22
	v_or3_b32 v20, v14, v20, v22
.LBB6_6654:                             ;   in Loop: Header=BB6_6496 Depth=4
	s_or_b32 exec_lo, exec_lo, s34
	s_delay_alu instid0(VALU_DEP_1) | instskip(SKIP_1) | instid1(VALU_DEP_1)
	v_dual_mul_f32 v14, v15, v20 :: v_dual_mov_b32 v41, 0x80
	s_mov_b32 s34, exec_lo
	v_and_b32_e32 v20, 0x7f800000, v14
	s_delay_alu instid0(VALU_DEP_1)
	v_cmpx_ne_u32_e32 0x7f800000, v20
	s_cbranch_execz .LBB6_6662
; %bb.6655:                             ;   in Loop: Header=BB6_6496 Depth=4
	v_mov_b32_e32 v41, 0
	s_mov_b32 s35, exec_lo
	v_cmpx_ne_u32_e32 0, v14
	s_cbranch_execz .LBB6_6661
; %bb.6656:                             ;   in Loop: Header=BB6_6496 Depth=4
	v_bfe_u32 v20, v14, 23, 8
	s_delay_alu instid0(VALU_DEP_1) | instskip(SKIP_1) | instid1(VALU_DEP_2)
	v_sub_nc_u32_e32 v23, 0x70, v20
	v_cmp_gt_u32_e32 vcc_lo, 0x71, v20
	v_dual_cndmask_b32 v23, 0, v23 :: v_dual_and_b32 v22, 0x7fffff, v14
	s_delay_alu instid0(VALU_DEP_1) | instskip(SKIP_2) | instid1(VALU_DEP_4)
	v_or_b32_e32 v26, 0x800000, v22
	v_cmp_eq_u32_e32 vcc_lo, 0, v20
	v_add_nc_u32_e32 v20, 0xffffff91, v20
	v_cndmask_b32_e64 v23, v23, 0x6f, vcc_lo
	s_delay_alu instid0(VALU_DEP_2) | instskip(SKIP_1) | instid1(VALU_DEP_3)
	v_cndmask_b32_e64 v20, v20, 0xffffff92, vcc_lo
	v_cndmask_b32_e32 v22, v26, v22, vcc_lo
	v_lshl_add_u32 v26, 0x200000, v23, -1
	v_lshlrev_b32_e64 v37, v23, 0x100000
	s_delay_alu instid0(VALU_DEP_3) | instskip(SKIP_1) | instid1(VALU_DEP_4)
	v_lshrrev_b32_e32 v27, v23, v22
	v_add_nc_u32_e32 v23, v23, v20
	v_and_b32_e32 v22, v26, v22
	s_delay_alu instid0(VALU_DEP_3) | instskip(NEXT) | instid1(VALU_DEP_2)
	v_bfe_u32 v36, v27, 21, 1
	v_cmp_eq_u32_e64 s13, v22, v37
	s_delay_alu instid0(VALU_DEP_2) | instskip(NEXT) | instid1(VALU_DEP_1)
	v_add_nc_u32_e32 v26, -1, v36
	v_cndmask_b32_e64 v22, 0, v26, s13
	v_lshrrev_b32_e32 v26, 23, v27
	s_mov_b32 s13, exec_lo
	s_delay_alu instid0(VALU_DEP_2) | instskip(NEXT) | instid1(VALU_DEP_2)
	v_add_nc_u32_e32 v22, v22, v27
	v_xor_b32_e32 v26, 1, v26
	s_delay_alu instid0(VALU_DEP_2) | instskip(NEXT) | instid1(VALU_DEP_1)
	v_and_b32_e32 v20, 0x1fffff, v22
	v_add_nc_u32_e32 v22, v20, v27
                                        ; implicit-def: $vgpr20
	s_delay_alu instid0(VALU_DEP_3)
	v_cmpx_ne_u32_e64 v23, v26
	s_xor_b32 s13, exec_lo, s13
; %bb.6657:                             ;   in Loop: Header=BB6_6496 Depth=4
	s_delay_alu instid0(VALU_DEP_2) | instskip(SKIP_2) | instid1(VALU_DEP_2)
	v_cmp_lt_u32_e32 vcc_lo, 0xffffff, v22
	v_sub_nc_u32_e32 v20, v23, v26
	v_cndmask_b32_e64 v23, 0, 1, vcc_lo
	v_add_co_ci_u32_e32 v20, vcc_lo, 0, v20, vcc_lo
	s_delay_alu instid0(VALU_DEP_2)
	v_lshrrev_b32_e32 v22, v23, v22
; %bb.6658:                             ;   in Loop: Header=BB6_6496 Depth=4
	s_and_not1_saveexec_b32 s13, s13
; %bb.6659:                             ;   in Loop: Header=BB6_6496 Depth=4
	s_delay_alu instid0(VALU_DEP_1)
	v_bfe_u32 v20, v22, 23, 1
; %bb.6660:                             ;   in Loop: Header=BB6_6496 Depth=4
	s_or_b32 exec_lo, exec_lo, s13
	v_lshrrev_b32_e32 v22, 21, v22
	s_delay_alu instid0(VALU_DEP_2) | instskip(SKIP_2) | instid1(VALU_DEP_4)
	v_cmp_gt_i32_e32 vcc_lo, 32, v20
	v_lshrrev_b32_e32 v14, 24, v14
	v_min_i32_e32 v23, 31, v20
	v_cndmask_b32_e32 v22, 3, v22, vcc_lo
	s_delay_alu instid0(VALU_DEP_3) | instskip(NEXT) | instid1(VALU_DEP_3)
	v_and_b32_e32 v14, 0x80, v14
	v_lshlrev_b32_e32 v23, 2, v23
	s_delay_alu instid0(VALU_DEP_3) | instskip(SKIP_1) | instid1(VALU_DEP_2)
	v_and_b32_e32 v26, 3, v22
	v_or_b32_e32 v20, v20, v22
	v_or3_b32 v14, v23, v14, v26
	s_delay_alu instid0(VALU_DEP_2) | instskip(NEXT) | instid1(VALU_DEP_2)
	v_cmp_ne_u32_e32 vcc_lo, 0, v20
	v_cndmask_b32_e32 v41, 0, v14, vcc_lo
.LBB6_6661:                             ;   in Loop: Header=BB6_6496 Depth=4
	s_or_b32 exec_lo, exec_lo, s35
.LBB6_6662:                             ;   in Loop: Header=BB6_6496 Depth=4
	s_delay_alu instid0(SALU_CYCLE_1)
	s_or_b32 exec_lo, exec_lo, s34
	flat_load_u8 v14, v[8:9] offset:416 slc dlc
	s_mov_b32 s13, 0
	s_mov_b32 s35, exec_lo
                                        ; implicit-def: $sgpr34
	s_waitcnt vmcnt(0) lgkmcnt(0)
	v_cmpx_lt_i16_e32 0x7f, v14
	s_xor_b32 s35, exec_lo, s35
	s_cbranch_execnz .LBB6_7455
; %bb.6663:                             ;   in Loop: Header=BB6_6496 Depth=4
	s_or_saveexec_b32 s35, s35
	v_mov_b32_e32 v20, s34
	s_xor_b32 exec_lo, exec_lo, s35
	s_cbranch_execnz .LBB6_7458
.LBB6_6664:                             ;   in Loop: Header=BB6_6496 Depth=4
	s_or_b32 exec_lo, exec_lo, s35
	s_and_saveexec_b32 s34, s13
	s_cbranch_execz .LBB6_6666
.LBB6_6665:                             ;   in Loop: Header=BB6_6496 Depth=4
	v_and_b32_e32 v20, 0xffff, v14
	v_lshlrev_b32_e32 v14, 24, v14
	s_delay_alu instid0(VALU_DEP_2) | instskip(NEXT) | instid1(VALU_DEP_2)
	v_and_b32_e32 v22, 3, v20
	v_and_b32_e32 v14, 0x80000000, v14
	s_delay_alu instid0(VALU_DEP_2) | instskip(NEXT) | instid1(VALU_DEP_1)
	v_clz_i32_u32_e32 v23, v22
	v_min_u32_e32 v23, 32, v23
	s_delay_alu instid0(VALU_DEP_1) | instskip(SKIP_1) | instid1(VALU_DEP_2)
	v_subrev_nc_u32_e32 v26, 29, v23
	v_sub_nc_u32_e32 v23, 30, v23
	v_lshlrev_b32_e32 v26, v26, v20
	v_bfe_u32 v20, v20, 2, 5
	s_delay_alu instid0(VALU_DEP_2) | instskip(NEXT) | instid1(VALU_DEP_2)
	v_and_b32_e32 v26, 3, v26
	v_cmp_eq_u32_e32 vcc_lo, 0, v20
	v_cndmask_b32_e32 v20, v20, v23, vcc_lo
	s_delay_alu instid0(VALU_DEP_3) | instskip(NEXT) | instid1(VALU_DEP_2)
	v_cndmask_b32_e32 v22, v22, v26, vcc_lo
	v_lshl_add_u32 v20, v20, 23, 0x37800000
	s_delay_alu instid0(VALU_DEP_2) | instskip(NEXT) | instid1(VALU_DEP_1)
	v_lshlrev_b32_e32 v22, 21, v22
	v_or3_b32 v20, v14, v20, v22
.LBB6_6666:                             ;   in Loop: Header=BB6_6496 Depth=4
	s_or_b32 exec_lo, exec_lo, s34
	s_delay_alu instid0(VALU_DEP_1) | instskip(SKIP_1) | instid1(VALU_DEP_1)
	v_dual_mul_f32 v14, v15, v20 :: v_dual_mov_b32 v183, 0x80
	s_mov_b32 s34, exec_lo
	v_and_b32_e32 v20, 0x7f800000, v14
	s_delay_alu instid0(VALU_DEP_1)
	v_cmpx_ne_u32_e32 0x7f800000, v20
	s_cbranch_execz .LBB6_6674
; %bb.6667:                             ;   in Loop: Header=BB6_6496 Depth=4
	v_mov_b32_e32 v183, 0
	s_mov_b32 s35, exec_lo
	v_cmpx_ne_u32_e32 0, v14
	s_cbranch_execz .LBB6_6673
; %bb.6668:                             ;   in Loop: Header=BB6_6496 Depth=4
	v_bfe_u32 v20, v14, 23, 8
	s_delay_alu instid0(VALU_DEP_1) | instskip(SKIP_1) | instid1(VALU_DEP_2)
	v_sub_nc_u32_e32 v23, 0x70, v20
	v_cmp_gt_u32_e32 vcc_lo, 0x71, v20
	v_dual_cndmask_b32 v23, 0, v23 :: v_dual_and_b32 v22, 0x7fffff, v14
	s_delay_alu instid0(VALU_DEP_1) | instskip(SKIP_2) | instid1(VALU_DEP_4)
	v_or_b32_e32 v26, 0x800000, v22
	v_cmp_eq_u32_e32 vcc_lo, 0, v20
	v_add_nc_u32_e32 v20, 0xffffff91, v20
	v_cndmask_b32_e64 v23, v23, 0x6f, vcc_lo
	s_delay_alu instid0(VALU_DEP_2) | instskip(SKIP_1) | instid1(VALU_DEP_3)
	v_cndmask_b32_e64 v20, v20, 0xffffff92, vcc_lo
	v_cndmask_b32_e32 v22, v26, v22, vcc_lo
	v_lshl_add_u32 v26, 0x200000, v23, -1
	v_lshlrev_b32_e64 v37, v23, 0x100000
	s_delay_alu instid0(VALU_DEP_3) | instskip(SKIP_1) | instid1(VALU_DEP_4)
	v_lshrrev_b32_e32 v27, v23, v22
	v_add_nc_u32_e32 v23, v23, v20
	v_and_b32_e32 v22, v26, v22
	s_delay_alu instid0(VALU_DEP_3) | instskip(NEXT) | instid1(VALU_DEP_2)
	v_bfe_u32 v36, v27, 21, 1
	v_cmp_eq_u32_e64 s13, v22, v37
	s_delay_alu instid0(VALU_DEP_2) | instskip(NEXT) | instid1(VALU_DEP_1)
	v_add_nc_u32_e32 v26, -1, v36
	v_cndmask_b32_e64 v22, 0, v26, s13
	v_lshrrev_b32_e32 v26, 23, v27
	s_mov_b32 s13, exec_lo
	s_delay_alu instid0(VALU_DEP_2) | instskip(NEXT) | instid1(VALU_DEP_2)
	v_add_nc_u32_e32 v22, v22, v27
	v_xor_b32_e32 v26, 1, v26
	s_delay_alu instid0(VALU_DEP_2) | instskip(NEXT) | instid1(VALU_DEP_1)
	v_and_b32_e32 v20, 0x1fffff, v22
	v_add_nc_u32_e32 v22, v20, v27
                                        ; implicit-def: $vgpr20
	s_delay_alu instid0(VALU_DEP_3)
	v_cmpx_ne_u32_e64 v23, v26
	s_xor_b32 s13, exec_lo, s13
; %bb.6669:                             ;   in Loop: Header=BB6_6496 Depth=4
	s_delay_alu instid0(VALU_DEP_2) | instskip(SKIP_2) | instid1(VALU_DEP_2)
	v_cmp_lt_u32_e32 vcc_lo, 0xffffff, v22
	v_sub_nc_u32_e32 v20, v23, v26
	v_cndmask_b32_e64 v23, 0, 1, vcc_lo
	v_add_co_ci_u32_e32 v20, vcc_lo, 0, v20, vcc_lo
	s_delay_alu instid0(VALU_DEP_2)
	v_lshrrev_b32_e32 v22, v23, v22
; %bb.6670:                             ;   in Loop: Header=BB6_6496 Depth=4
	s_and_not1_saveexec_b32 s13, s13
; %bb.6671:                             ;   in Loop: Header=BB6_6496 Depth=4
	s_delay_alu instid0(VALU_DEP_1)
	v_bfe_u32 v20, v22, 23, 1
; %bb.6672:                             ;   in Loop: Header=BB6_6496 Depth=4
	s_or_b32 exec_lo, exec_lo, s13
	v_lshrrev_b32_e32 v22, 21, v22
	s_delay_alu instid0(VALU_DEP_2) | instskip(SKIP_2) | instid1(VALU_DEP_4)
	v_cmp_gt_i32_e32 vcc_lo, 32, v20
	v_lshrrev_b32_e32 v14, 24, v14
	v_min_i32_e32 v23, 31, v20
	v_cndmask_b32_e32 v22, 3, v22, vcc_lo
	s_delay_alu instid0(VALU_DEP_3) | instskip(NEXT) | instid1(VALU_DEP_3)
	v_and_b32_e32 v14, 0x80, v14
	v_lshlrev_b32_e32 v23, 2, v23
	s_delay_alu instid0(VALU_DEP_3) | instskip(SKIP_1) | instid1(VALU_DEP_2)
	v_and_b32_e32 v26, 3, v22
	v_or_b32_e32 v20, v20, v22
	v_or3_b32 v14, v23, v14, v26
	s_delay_alu instid0(VALU_DEP_2) | instskip(NEXT) | instid1(VALU_DEP_2)
	v_cmp_ne_u32_e32 vcc_lo, 0, v20
	v_cndmask_b32_e32 v183, 0, v14, vcc_lo
.LBB6_6673:                             ;   in Loop: Header=BB6_6496 Depth=4
	s_or_b32 exec_lo, exec_lo, s35
.LBB6_6674:                             ;   in Loop: Header=BB6_6496 Depth=4
	s_delay_alu instid0(SALU_CYCLE_1)
	s_or_b32 exec_lo, exec_lo, s34
	flat_load_u8 v14, v[8:9] offset:448 slc dlc
	s_mov_b32 s13, 0
	s_mov_b32 s35, exec_lo
                                        ; implicit-def: $sgpr34
	s_waitcnt vmcnt(0) lgkmcnt(0)
	v_cmpx_lt_i16_e32 0x7f, v14
	s_xor_b32 s35, exec_lo, s35
	s_cbranch_execnz .LBB6_7459
; %bb.6675:                             ;   in Loop: Header=BB6_6496 Depth=4
	s_or_saveexec_b32 s35, s35
	v_mov_b32_e32 v20, s34
	s_xor_b32 exec_lo, exec_lo, s35
	s_cbranch_execnz .LBB6_7462
.LBB6_6676:                             ;   in Loop: Header=BB6_6496 Depth=4
	s_or_b32 exec_lo, exec_lo, s35
	s_and_saveexec_b32 s34, s13
	s_cbranch_execz .LBB6_6678
.LBB6_6677:                             ;   in Loop: Header=BB6_6496 Depth=4
	v_and_b32_e32 v20, 0xffff, v14
	v_lshlrev_b32_e32 v14, 24, v14
	s_delay_alu instid0(VALU_DEP_2) | instskip(NEXT) | instid1(VALU_DEP_2)
	v_and_b32_e32 v22, 3, v20
	v_and_b32_e32 v14, 0x80000000, v14
	s_delay_alu instid0(VALU_DEP_2) | instskip(NEXT) | instid1(VALU_DEP_1)
	v_clz_i32_u32_e32 v23, v22
	v_min_u32_e32 v23, 32, v23
	s_delay_alu instid0(VALU_DEP_1) | instskip(SKIP_1) | instid1(VALU_DEP_2)
	v_subrev_nc_u32_e32 v26, 29, v23
	v_sub_nc_u32_e32 v23, 30, v23
	v_lshlrev_b32_e32 v26, v26, v20
	v_bfe_u32 v20, v20, 2, 5
	s_delay_alu instid0(VALU_DEP_2) | instskip(NEXT) | instid1(VALU_DEP_2)
	v_and_b32_e32 v26, 3, v26
	v_cmp_eq_u32_e32 vcc_lo, 0, v20
	v_cndmask_b32_e32 v20, v20, v23, vcc_lo
	s_delay_alu instid0(VALU_DEP_3) | instskip(NEXT) | instid1(VALU_DEP_2)
	v_cndmask_b32_e32 v22, v22, v26, vcc_lo
	v_lshl_add_u32 v20, v20, 23, 0x37800000
	s_delay_alu instid0(VALU_DEP_2) | instskip(NEXT) | instid1(VALU_DEP_1)
	v_lshlrev_b32_e32 v22, 21, v22
	v_or3_b32 v20, v14, v20, v22
.LBB6_6678:                             ;   in Loop: Header=BB6_6496 Depth=4
	s_or_b32 exec_lo, exec_lo, s34
	s_delay_alu instid0(VALU_DEP_1) | instskip(SKIP_2) | instid1(VALU_DEP_2)
	v_mul_f32_e32 v14, v15, v20
	v_mov_b32_e32 v182, 0x80
	s_mov_b32 s34, exec_lo
	v_and_b32_e32 v20, 0x7f800000, v14
	s_delay_alu instid0(VALU_DEP_1)
	v_cmpx_ne_u32_e32 0x7f800000, v20
	s_cbranch_execz .LBB6_6686
; %bb.6679:                             ;   in Loop: Header=BB6_6496 Depth=4
	v_mov_b32_e32 v182, 0
	s_mov_b32 s35, exec_lo
	v_cmpx_ne_u32_e32 0, v14
	s_cbranch_execz .LBB6_6685
; %bb.6680:                             ;   in Loop: Header=BB6_6496 Depth=4
	v_bfe_u32 v20, v14, 23, 8
	s_delay_alu instid0(VALU_DEP_1) | instskip(SKIP_1) | instid1(VALU_DEP_2)
	v_sub_nc_u32_e32 v23, 0x70, v20
	v_cmp_gt_u32_e32 vcc_lo, 0x71, v20
	v_dual_cndmask_b32 v23, 0, v23 :: v_dual_and_b32 v22, 0x7fffff, v14
	s_delay_alu instid0(VALU_DEP_1) | instskip(SKIP_2) | instid1(VALU_DEP_4)
	v_or_b32_e32 v26, 0x800000, v22
	v_cmp_eq_u32_e32 vcc_lo, 0, v20
	v_add_nc_u32_e32 v20, 0xffffff91, v20
	v_cndmask_b32_e64 v23, v23, 0x6f, vcc_lo
	s_delay_alu instid0(VALU_DEP_2) | instskip(SKIP_1) | instid1(VALU_DEP_3)
	v_cndmask_b32_e64 v20, v20, 0xffffff92, vcc_lo
	v_cndmask_b32_e32 v22, v26, v22, vcc_lo
	v_lshl_add_u32 v26, 0x200000, v23, -1
	v_lshlrev_b32_e64 v37, v23, 0x100000
	s_delay_alu instid0(VALU_DEP_3) | instskip(SKIP_1) | instid1(VALU_DEP_4)
	v_lshrrev_b32_e32 v27, v23, v22
	v_add_nc_u32_e32 v23, v23, v20
	v_and_b32_e32 v22, v26, v22
	s_delay_alu instid0(VALU_DEP_3) | instskip(NEXT) | instid1(VALU_DEP_2)
	v_bfe_u32 v36, v27, 21, 1
	v_cmp_eq_u32_e64 s13, v22, v37
	s_delay_alu instid0(VALU_DEP_2) | instskip(NEXT) | instid1(VALU_DEP_1)
	v_add_nc_u32_e32 v26, -1, v36
	v_cndmask_b32_e64 v22, 0, v26, s13
	v_lshrrev_b32_e32 v26, 23, v27
	s_mov_b32 s13, exec_lo
	s_delay_alu instid0(VALU_DEP_2) | instskip(NEXT) | instid1(VALU_DEP_2)
	v_add_nc_u32_e32 v22, v22, v27
	v_xor_b32_e32 v26, 1, v26
	s_delay_alu instid0(VALU_DEP_2) | instskip(NEXT) | instid1(VALU_DEP_1)
	v_and_b32_e32 v20, 0x1fffff, v22
	v_add_nc_u32_e32 v22, v20, v27
                                        ; implicit-def: $vgpr20
	s_delay_alu instid0(VALU_DEP_3)
	v_cmpx_ne_u32_e64 v23, v26
	s_xor_b32 s13, exec_lo, s13
; %bb.6681:                             ;   in Loop: Header=BB6_6496 Depth=4
	s_delay_alu instid0(VALU_DEP_2) | instskip(SKIP_2) | instid1(VALU_DEP_2)
	v_cmp_lt_u32_e32 vcc_lo, 0xffffff, v22
	v_sub_nc_u32_e32 v20, v23, v26
	v_cndmask_b32_e64 v23, 0, 1, vcc_lo
	v_add_co_ci_u32_e32 v20, vcc_lo, 0, v20, vcc_lo
	s_delay_alu instid0(VALU_DEP_2)
	v_lshrrev_b32_e32 v22, v23, v22
; %bb.6682:                             ;   in Loop: Header=BB6_6496 Depth=4
	s_and_not1_saveexec_b32 s13, s13
; %bb.6683:                             ;   in Loop: Header=BB6_6496 Depth=4
	s_delay_alu instid0(VALU_DEP_1)
	v_bfe_u32 v20, v22, 23, 1
; %bb.6684:                             ;   in Loop: Header=BB6_6496 Depth=4
	s_or_b32 exec_lo, exec_lo, s13
	v_lshrrev_b32_e32 v22, 21, v22
	s_delay_alu instid0(VALU_DEP_2) | instskip(SKIP_2) | instid1(VALU_DEP_4)
	v_cmp_gt_i32_e32 vcc_lo, 32, v20
	v_lshrrev_b32_e32 v14, 24, v14
	v_min_i32_e32 v23, 31, v20
	v_cndmask_b32_e32 v22, 3, v22, vcc_lo
	s_delay_alu instid0(VALU_DEP_3) | instskip(NEXT) | instid1(VALU_DEP_3)
	v_and_b32_e32 v14, 0x80, v14
	v_lshlrev_b32_e32 v23, 2, v23
	s_delay_alu instid0(VALU_DEP_3) | instskip(SKIP_1) | instid1(VALU_DEP_2)
	v_and_b32_e32 v26, 3, v22
	v_or_b32_e32 v20, v20, v22
	v_or3_b32 v14, v23, v14, v26
	s_delay_alu instid0(VALU_DEP_2) | instskip(NEXT) | instid1(VALU_DEP_2)
	v_cmp_ne_u32_e32 vcc_lo, 0, v20
	v_cndmask_b32_e32 v182, 0, v14, vcc_lo
.LBB6_6685:                             ;   in Loop: Header=BB6_6496 Depth=4
	s_or_b32 exec_lo, exec_lo, s35
.LBB6_6686:                             ;   in Loop: Header=BB6_6496 Depth=4
	s_delay_alu instid0(SALU_CYCLE_1)
	s_or_b32 exec_lo, exec_lo, s34
	flat_load_u8 v14, v[8:9] offset:480 slc dlc
	s_mov_b32 s13, 0
	s_mov_b32 s35, exec_lo
                                        ; implicit-def: $sgpr34
	s_waitcnt vmcnt(0) lgkmcnt(0)
	v_cmpx_lt_i16_e32 0x7f, v14
	s_xor_b32 s35, exec_lo, s35
	s_cbranch_execnz .LBB6_7463
; %bb.6687:                             ;   in Loop: Header=BB6_6496 Depth=4
	s_or_saveexec_b32 s35, s35
	v_mov_b32_e32 v20, s34
	s_xor_b32 exec_lo, exec_lo, s35
	s_cbranch_execnz .LBB6_7466
.LBB6_6688:                             ;   in Loop: Header=BB6_6496 Depth=4
	s_or_b32 exec_lo, exec_lo, s35
	s_and_saveexec_b32 s34, s13
	s_cbranch_execz .LBB6_6690
.LBB6_6689:                             ;   in Loop: Header=BB6_6496 Depth=4
	v_and_b32_e32 v20, 0xffff, v14
	v_lshlrev_b32_e32 v14, 24, v14
	s_delay_alu instid0(VALU_DEP_2) | instskip(NEXT) | instid1(VALU_DEP_2)
	v_and_b32_e32 v22, 3, v20
	v_and_b32_e32 v14, 0x80000000, v14
	s_delay_alu instid0(VALU_DEP_2) | instskip(NEXT) | instid1(VALU_DEP_1)
	v_clz_i32_u32_e32 v23, v22
	v_min_u32_e32 v23, 32, v23
	s_delay_alu instid0(VALU_DEP_1) | instskip(SKIP_1) | instid1(VALU_DEP_2)
	v_subrev_nc_u32_e32 v26, 29, v23
	v_sub_nc_u32_e32 v23, 30, v23
	v_lshlrev_b32_e32 v26, v26, v20
	v_bfe_u32 v20, v20, 2, 5
	s_delay_alu instid0(VALU_DEP_2) | instskip(NEXT) | instid1(VALU_DEP_2)
	v_and_b32_e32 v26, 3, v26
	v_cmp_eq_u32_e32 vcc_lo, 0, v20
	v_cndmask_b32_e32 v20, v20, v23, vcc_lo
	s_delay_alu instid0(VALU_DEP_3) | instskip(NEXT) | instid1(VALU_DEP_2)
	v_cndmask_b32_e32 v22, v22, v26, vcc_lo
	v_lshl_add_u32 v20, v20, 23, 0x37800000
	s_delay_alu instid0(VALU_DEP_2) | instskip(NEXT) | instid1(VALU_DEP_1)
	v_lshlrev_b32_e32 v22, 21, v22
	v_or3_b32 v20, v14, v20, v22
.LBB6_6690:                             ;   in Loop: Header=BB6_6496 Depth=4
	s_or_b32 exec_lo, exec_lo, s34
	s_delay_alu instid0(VALU_DEP_1) | instskip(SKIP_2) | instid1(VALU_DEP_2)
	v_mul_f32_e32 v14, v15, v20
	v_mov_b32_e32 v180, 0x80
	s_mov_b32 s34, exec_lo
	v_and_b32_e32 v20, 0x7f800000, v14
	s_delay_alu instid0(VALU_DEP_1)
	v_cmpx_ne_u32_e32 0x7f800000, v20
	s_cbranch_execz .LBB6_6698
; %bb.6691:                             ;   in Loop: Header=BB6_6496 Depth=4
	v_mov_b32_e32 v180, 0
	s_mov_b32 s35, exec_lo
	v_cmpx_ne_u32_e32 0, v14
	s_cbranch_execz .LBB6_6697
; %bb.6692:                             ;   in Loop: Header=BB6_6496 Depth=4
	v_bfe_u32 v20, v14, 23, 8
	s_delay_alu instid0(VALU_DEP_1) | instskip(SKIP_1) | instid1(VALU_DEP_2)
	v_sub_nc_u32_e32 v23, 0x70, v20
	v_cmp_gt_u32_e32 vcc_lo, 0x71, v20
	v_dual_cndmask_b32 v23, 0, v23 :: v_dual_and_b32 v22, 0x7fffff, v14
	s_delay_alu instid0(VALU_DEP_1) | instskip(SKIP_2) | instid1(VALU_DEP_4)
	v_or_b32_e32 v26, 0x800000, v22
	v_cmp_eq_u32_e32 vcc_lo, 0, v20
	v_add_nc_u32_e32 v20, 0xffffff91, v20
	v_cndmask_b32_e64 v23, v23, 0x6f, vcc_lo
	s_delay_alu instid0(VALU_DEP_2) | instskip(SKIP_1) | instid1(VALU_DEP_3)
	v_cndmask_b32_e64 v20, v20, 0xffffff92, vcc_lo
	v_cndmask_b32_e32 v22, v26, v22, vcc_lo
	v_lshl_add_u32 v26, 0x200000, v23, -1
	v_lshlrev_b32_e64 v37, v23, 0x100000
	s_delay_alu instid0(VALU_DEP_3) | instskip(SKIP_1) | instid1(VALU_DEP_4)
	v_lshrrev_b32_e32 v27, v23, v22
	v_add_nc_u32_e32 v23, v23, v20
	v_and_b32_e32 v22, v26, v22
	s_delay_alu instid0(VALU_DEP_3) | instskip(NEXT) | instid1(VALU_DEP_2)
	v_bfe_u32 v36, v27, 21, 1
	v_cmp_eq_u32_e64 s13, v22, v37
	s_delay_alu instid0(VALU_DEP_2) | instskip(NEXT) | instid1(VALU_DEP_1)
	v_add_nc_u32_e32 v26, -1, v36
	v_cndmask_b32_e64 v22, 0, v26, s13
	v_lshrrev_b32_e32 v26, 23, v27
	s_mov_b32 s13, exec_lo
	s_delay_alu instid0(VALU_DEP_2) | instskip(NEXT) | instid1(VALU_DEP_2)
	v_add_nc_u32_e32 v22, v22, v27
	v_xor_b32_e32 v26, 1, v26
	s_delay_alu instid0(VALU_DEP_2) | instskip(NEXT) | instid1(VALU_DEP_1)
	v_and_b32_e32 v20, 0x1fffff, v22
	v_add_nc_u32_e32 v22, v20, v27
                                        ; implicit-def: $vgpr20
	s_delay_alu instid0(VALU_DEP_3)
	v_cmpx_ne_u32_e64 v23, v26
	s_xor_b32 s13, exec_lo, s13
; %bb.6693:                             ;   in Loop: Header=BB6_6496 Depth=4
	s_delay_alu instid0(VALU_DEP_2) | instskip(SKIP_2) | instid1(VALU_DEP_2)
	v_cmp_lt_u32_e32 vcc_lo, 0xffffff, v22
	v_sub_nc_u32_e32 v20, v23, v26
	v_cndmask_b32_e64 v23, 0, 1, vcc_lo
	v_add_co_ci_u32_e32 v20, vcc_lo, 0, v20, vcc_lo
	s_delay_alu instid0(VALU_DEP_2)
	v_lshrrev_b32_e32 v22, v23, v22
; %bb.6694:                             ;   in Loop: Header=BB6_6496 Depth=4
	s_and_not1_saveexec_b32 s13, s13
; %bb.6695:                             ;   in Loop: Header=BB6_6496 Depth=4
	s_delay_alu instid0(VALU_DEP_1)
	v_bfe_u32 v20, v22, 23, 1
; %bb.6696:                             ;   in Loop: Header=BB6_6496 Depth=4
	s_or_b32 exec_lo, exec_lo, s13
	v_lshrrev_b32_e32 v22, 21, v22
	s_delay_alu instid0(VALU_DEP_2) | instskip(SKIP_2) | instid1(VALU_DEP_4)
	v_cmp_gt_i32_e32 vcc_lo, 32, v20
	v_lshrrev_b32_e32 v14, 24, v14
	v_min_i32_e32 v23, 31, v20
	v_cndmask_b32_e32 v22, 3, v22, vcc_lo
	s_delay_alu instid0(VALU_DEP_3) | instskip(NEXT) | instid1(VALU_DEP_3)
	v_and_b32_e32 v14, 0x80, v14
	v_lshlrev_b32_e32 v23, 2, v23
	s_delay_alu instid0(VALU_DEP_3) | instskip(SKIP_1) | instid1(VALU_DEP_2)
	v_and_b32_e32 v26, 3, v22
	v_or_b32_e32 v20, v20, v22
	v_or3_b32 v14, v23, v14, v26
	s_delay_alu instid0(VALU_DEP_2) | instskip(NEXT) | instid1(VALU_DEP_2)
	v_cmp_ne_u32_e32 vcc_lo, 0, v20
	v_cndmask_b32_e32 v180, 0, v14, vcc_lo
.LBB6_6697:                             ;   in Loop: Header=BB6_6496 Depth=4
	s_or_b32 exec_lo, exec_lo, s35
.LBB6_6698:                             ;   in Loop: Header=BB6_6496 Depth=4
	s_delay_alu instid0(SALU_CYCLE_1)
	s_or_b32 exec_lo, exec_lo, s34
	flat_load_u8 v14, v[8:9] offset:512 slc dlc
	s_mov_b32 s13, 0
	s_mov_b32 s35, exec_lo
                                        ; implicit-def: $sgpr34
	s_waitcnt vmcnt(0) lgkmcnt(0)
	v_cmpx_lt_i16_e32 0x7f, v14
	s_xor_b32 s35, exec_lo, s35
	s_cbranch_execnz .LBB6_7467
; %bb.6699:                             ;   in Loop: Header=BB6_6496 Depth=4
	s_or_saveexec_b32 s35, s35
	v_mov_b32_e32 v20, s34
	s_xor_b32 exec_lo, exec_lo, s35
	s_cbranch_execnz .LBB6_7470
.LBB6_6700:                             ;   in Loop: Header=BB6_6496 Depth=4
	s_or_b32 exec_lo, exec_lo, s35
	s_and_saveexec_b32 s34, s13
	s_cbranch_execz .LBB6_6702
.LBB6_6701:                             ;   in Loop: Header=BB6_6496 Depth=4
	v_and_b32_e32 v20, 0xffff, v14
	v_lshlrev_b32_e32 v14, 24, v14
	s_delay_alu instid0(VALU_DEP_2) | instskip(NEXT) | instid1(VALU_DEP_2)
	v_and_b32_e32 v22, 3, v20
	v_and_b32_e32 v14, 0x80000000, v14
	s_delay_alu instid0(VALU_DEP_2) | instskip(NEXT) | instid1(VALU_DEP_1)
	v_clz_i32_u32_e32 v23, v22
	v_min_u32_e32 v23, 32, v23
	s_delay_alu instid0(VALU_DEP_1) | instskip(SKIP_1) | instid1(VALU_DEP_2)
	v_subrev_nc_u32_e32 v26, 29, v23
	v_sub_nc_u32_e32 v23, 30, v23
	v_lshlrev_b32_e32 v26, v26, v20
	v_bfe_u32 v20, v20, 2, 5
	s_delay_alu instid0(VALU_DEP_2) | instskip(NEXT) | instid1(VALU_DEP_2)
	v_and_b32_e32 v26, 3, v26
	v_cmp_eq_u32_e32 vcc_lo, 0, v20
	v_cndmask_b32_e32 v20, v20, v23, vcc_lo
	s_delay_alu instid0(VALU_DEP_3) | instskip(NEXT) | instid1(VALU_DEP_2)
	v_cndmask_b32_e32 v22, v22, v26, vcc_lo
	v_lshl_add_u32 v20, v20, 23, 0x37800000
	s_delay_alu instid0(VALU_DEP_2) | instskip(NEXT) | instid1(VALU_DEP_1)
	v_lshlrev_b32_e32 v22, 21, v22
	v_or3_b32 v20, v14, v20, v22
.LBB6_6702:                             ;   in Loop: Header=BB6_6496 Depth=4
	s_or_b32 exec_lo, exec_lo, s34
	s_delay_alu instid0(VALU_DEP_1) | instskip(SKIP_1) | instid1(VALU_DEP_1)
	v_dual_mul_f32 v14, v15, v20 :: v_dual_mov_b32 v55, 0x80
	s_mov_b32 s34, exec_lo
	v_and_b32_e32 v20, 0x7f800000, v14
	s_delay_alu instid0(VALU_DEP_1)
	v_cmpx_ne_u32_e32 0x7f800000, v20
	s_cbranch_execz .LBB6_6710
; %bb.6703:                             ;   in Loop: Header=BB6_6496 Depth=4
	v_mov_b32_e32 v55, 0
	s_mov_b32 s35, exec_lo
	v_cmpx_ne_u32_e32 0, v14
	s_cbranch_execz .LBB6_6709
; %bb.6704:                             ;   in Loop: Header=BB6_6496 Depth=4
	v_bfe_u32 v20, v14, 23, 8
	s_delay_alu instid0(VALU_DEP_1) | instskip(SKIP_1) | instid1(VALU_DEP_2)
	v_sub_nc_u32_e32 v23, 0x70, v20
	v_cmp_gt_u32_e32 vcc_lo, 0x71, v20
	v_dual_cndmask_b32 v23, 0, v23 :: v_dual_and_b32 v22, 0x7fffff, v14
	s_delay_alu instid0(VALU_DEP_1) | instskip(SKIP_2) | instid1(VALU_DEP_4)
	v_or_b32_e32 v26, 0x800000, v22
	v_cmp_eq_u32_e32 vcc_lo, 0, v20
	v_add_nc_u32_e32 v20, 0xffffff91, v20
	v_cndmask_b32_e64 v23, v23, 0x6f, vcc_lo
	s_delay_alu instid0(VALU_DEP_2) | instskip(SKIP_1) | instid1(VALU_DEP_3)
	v_cndmask_b32_e64 v20, v20, 0xffffff92, vcc_lo
	v_cndmask_b32_e32 v22, v26, v22, vcc_lo
	v_lshl_add_u32 v26, 0x200000, v23, -1
	v_lshlrev_b32_e64 v37, v23, 0x100000
	s_delay_alu instid0(VALU_DEP_3) | instskip(SKIP_1) | instid1(VALU_DEP_4)
	v_lshrrev_b32_e32 v27, v23, v22
	v_add_nc_u32_e32 v23, v23, v20
	v_and_b32_e32 v22, v26, v22
	s_delay_alu instid0(VALU_DEP_3) | instskip(NEXT) | instid1(VALU_DEP_2)
	v_bfe_u32 v36, v27, 21, 1
	v_cmp_eq_u32_e64 s13, v22, v37
	s_delay_alu instid0(VALU_DEP_2) | instskip(NEXT) | instid1(VALU_DEP_1)
	v_add_nc_u32_e32 v26, -1, v36
	v_cndmask_b32_e64 v22, 0, v26, s13
	v_lshrrev_b32_e32 v26, 23, v27
	s_mov_b32 s13, exec_lo
	s_delay_alu instid0(VALU_DEP_2) | instskip(NEXT) | instid1(VALU_DEP_2)
	v_add_nc_u32_e32 v22, v22, v27
	v_xor_b32_e32 v26, 1, v26
	s_delay_alu instid0(VALU_DEP_2) | instskip(NEXT) | instid1(VALU_DEP_1)
	v_and_b32_e32 v20, 0x1fffff, v22
	v_add_nc_u32_e32 v22, v20, v27
                                        ; implicit-def: $vgpr20
	s_delay_alu instid0(VALU_DEP_3)
	v_cmpx_ne_u32_e64 v23, v26
	s_xor_b32 s13, exec_lo, s13
; %bb.6705:                             ;   in Loop: Header=BB6_6496 Depth=4
	s_delay_alu instid0(VALU_DEP_2) | instskip(SKIP_2) | instid1(VALU_DEP_2)
	v_cmp_lt_u32_e32 vcc_lo, 0xffffff, v22
	v_sub_nc_u32_e32 v20, v23, v26
	v_cndmask_b32_e64 v23, 0, 1, vcc_lo
	v_add_co_ci_u32_e32 v20, vcc_lo, 0, v20, vcc_lo
	s_delay_alu instid0(VALU_DEP_2)
	v_lshrrev_b32_e32 v22, v23, v22
; %bb.6706:                             ;   in Loop: Header=BB6_6496 Depth=4
	s_and_not1_saveexec_b32 s13, s13
; %bb.6707:                             ;   in Loop: Header=BB6_6496 Depth=4
	s_delay_alu instid0(VALU_DEP_1)
	v_bfe_u32 v20, v22, 23, 1
; %bb.6708:                             ;   in Loop: Header=BB6_6496 Depth=4
	s_or_b32 exec_lo, exec_lo, s13
	v_lshrrev_b32_e32 v22, 21, v22
	s_delay_alu instid0(VALU_DEP_2) | instskip(SKIP_2) | instid1(VALU_DEP_4)
	v_cmp_gt_i32_e32 vcc_lo, 32, v20
	v_lshrrev_b32_e32 v14, 24, v14
	v_min_i32_e32 v23, 31, v20
	v_cndmask_b32_e32 v22, 3, v22, vcc_lo
	s_delay_alu instid0(VALU_DEP_3) | instskip(NEXT) | instid1(VALU_DEP_3)
	v_and_b32_e32 v14, 0x80, v14
	v_lshlrev_b32_e32 v23, 2, v23
	s_delay_alu instid0(VALU_DEP_3) | instskip(SKIP_1) | instid1(VALU_DEP_2)
	v_and_b32_e32 v26, 3, v22
	v_or_b32_e32 v20, v20, v22
	v_or3_b32 v14, v23, v14, v26
	s_delay_alu instid0(VALU_DEP_2) | instskip(NEXT) | instid1(VALU_DEP_2)
	v_cmp_ne_u32_e32 vcc_lo, 0, v20
	v_cndmask_b32_e32 v55, 0, v14, vcc_lo
.LBB6_6709:                             ;   in Loop: Header=BB6_6496 Depth=4
	s_or_b32 exec_lo, exec_lo, s35
.LBB6_6710:                             ;   in Loop: Header=BB6_6496 Depth=4
	s_delay_alu instid0(SALU_CYCLE_1)
	s_or_b32 exec_lo, exec_lo, s34
	flat_load_u8 v14, v[8:9] offset:544 slc dlc
	s_mov_b32 s13, 0
	s_mov_b32 s35, exec_lo
                                        ; implicit-def: $sgpr34
	s_waitcnt vmcnt(0) lgkmcnt(0)
	v_cmpx_lt_i16_e32 0x7f, v14
	s_xor_b32 s35, exec_lo, s35
	s_cbranch_execnz .LBB6_7471
; %bb.6711:                             ;   in Loop: Header=BB6_6496 Depth=4
	s_or_saveexec_b32 s35, s35
	v_mov_b32_e32 v20, s34
	s_xor_b32 exec_lo, exec_lo, s35
	s_cbranch_execnz .LBB6_7474
.LBB6_6712:                             ;   in Loop: Header=BB6_6496 Depth=4
	s_or_b32 exec_lo, exec_lo, s35
	s_and_saveexec_b32 s34, s13
	s_cbranch_execz .LBB6_6714
.LBB6_6713:                             ;   in Loop: Header=BB6_6496 Depth=4
	v_and_b32_e32 v20, 0xffff, v14
	v_lshlrev_b32_e32 v14, 24, v14
	s_delay_alu instid0(VALU_DEP_2) | instskip(NEXT) | instid1(VALU_DEP_2)
	v_and_b32_e32 v22, 3, v20
	v_and_b32_e32 v14, 0x80000000, v14
	s_delay_alu instid0(VALU_DEP_2) | instskip(NEXT) | instid1(VALU_DEP_1)
	v_clz_i32_u32_e32 v23, v22
	v_min_u32_e32 v23, 32, v23
	s_delay_alu instid0(VALU_DEP_1) | instskip(SKIP_1) | instid1(VALU_DEP_2)
	v_subrev_nc_u32_e32 v26, 29, v23
	v_sub_nc_u32_e32 v23, 30, v23
	v_lshlrev_b32_e32 v26, v26, v20
	v_bfe_u32 v20, v20, 2, 5
	s_delay_alu instid0(VALU_DEP_2) | instskip(NEXT) | instid1(VALU_DEP_2)
	v_and_b32_e32 v26, 3, v26
	v_cmp_eq_u32_e32 vcc_lo, 0, v20
	v_cndmask_b32_e32 v20, v20, v23, vcc_lo
	s_delay_alu instid0(VALU_DEP_3) | instskip(NEXT) | instid1(VALU_DEP_2)
	v_cndmask_b32_e32 v22, v22, v26, vcc_lo
	v_lshl_add_u32 v20, v20, 23, 0x37800000
	s_delay_alu instid0(VALU_DEP_2) | instskip(NEXT) | instid1(VALU_DEP_1)
	v_lshlrev_b32_e32 v22, 21, v22
	v_or3_b32 v20, v14, v20, v22
.LBB6_6714:                             ;   in Loop: Header=BB6_6496 Depth=4
	s_or_b32 exec_lo, exec_lo, s34
	s_delay_alu instid0(VALU_DEP_1) | instskip(SKIP_1) | instid1(VALU_DEP_1)
	v_dual_mul_f32 v14, v15, v20 :: v_dual_mov_b32 v177, 0x80
	s_mov_b32 s34, exec_lo
	v_and_b32_e32 v20, 0x7f800000, v14
	s_delay_alu instid0(VALU_DEP_1)
	v_cmpx_ne_u32_e32 0x7f800000, v20
	s_cbranch_execz .LBB6_6722
; %bb.6715:                             ;   in Loop: Header=BB6_6496 Depth=4
	v_mov_b32_e32 v177, 0
	s_mov_b32 s35, exec_lo
	v_cmpx_ne_u32_e32 0, v14
	s_cbranch_execz .LBB6_6721
; %bb.6716:                             ;   in Loop: Header=BB6_6496 Depth=4
	v_bfe_u32 v20, v14, 23, 8
	s_delay_alu instid0(VALU_DEP_1) | instskip(SKIP_1) | instid1(VALU_DEP_2)
	v_sub_nc_u32_e32 v23, 0x70, v20
	v_cmp_gt_u32_e32 vcc_lo, 0x71, v20
	v_dual_cndmask_b32 v23, 0, v23 :: v_dual_and_b32 v22, 0x7fffff, v14
	s_delay_alu instid0(VALU_DEP_1) | instskip(SKIP_2) | instid1(VALU_DEP_4)
	v_or_b32_e32 v26, 0x800000, v22
	v_cmp_eq_u32_e32 vcc_lo, 0, v20
	v_add_nc_u32_e32 v20, 0xffffff91, v20
	v_cndmask_b32_e64 v23, v23, 0x6f, vcc_lo
	s_delay_alu instid0(VALU_DEP_2) | instskip(SKIP_1) | instid1(VALU_DEP_3)
	v_cndmask_b32_e64 v20, v20, 0xffffff92, vcc_lo
	v_cndmask_b32_e32 v22, v26, v22, vcc_lo
	v_lshl_add_u32 v26, 0x200000, v23, -1
	v_lshlrev_b32_e64 v37, v23, 0x100000
	s_delay_alu instid0(VALU_DEP_3) | instskip(SKIP_1) | instid1(VALU_DEP_4)
	v_lshrrev_b32_e32 v27, v23, v22
	v_add_nc_u32_e32 v23, v23, v20
	v_and_b32_e32 v22, v26, v22
	s_delay_alu instid0(VALU_DEP_3) | instskip(NEXT) | instid1(VALU_DEP_2)
	v_bfe_u32 v36, v27, 21, 1
	v_cmp_eq_u32_e64 s13, v22, v37
	s_delay_alu instid0(VALU_DEP_2) | instskip(NEXT) | instid1(VALU_DEP_1)
	v_add_nc_u32_e32 v26, -1, v36
	v_cndmask_b32_e64 v22, 0, v26, s13
	v_lshrrev_b32_e32 v26, 23, v27
	s_mov_b32 s13, exec_lo
	s_delay_alu instid0(VALU_DEP_2) | instskip(NEXT) | instid1(VALU_DEP_2)
	v_add_nc_u32_e32 v22, v22, v27
	v_xor_b32_e32 v26, 1, v26
	s_delay_alu instid0(VALU_DEP_2) | instskip(NEXT) | instid1(VALU_DEP_1)
	v_and_b32_e32 v20, 0x1fffff, v22
	v_add_nc_u32_e32 v22, v20, v27
                                        ; implicit-def: $vgpr20
	s_delay_alu instid0(VALU_DEP_3)
	v_cmpx_ne_u32_e64 v23, v26
	s_xor_b32 s13, exec_lo, s13
; %bb.6717:                             ;   in Loop: Header=BB6_6496 Depth=4
	s_delay_alu instid0(VALU_DEP_2) | instskip(SKIP_2) | instid1(VALU_DEP_2)
	v_cmp_lt_u32_e32 vcc_lo, 0xffffff, v22
	v_sub_nc_u32_e32 v20, v23, v26
	v_cndmask_b32_e64 v23, 0, 1, vcc_lo
	v_add_co_ci_u32_e32 v20, vcc_lo, 0, v20, vcc_lo
	s_delay_alu instid0(VALU_DEP_2)
	v_lshrrev_b32_e32 v22, v23, v22
; %bb.6718:                             ;   in Loop: Header=BB6_6496 Depth=4
	s_and_not1_saveexec_b32 s13, s13
; %bb.6719:                             ;   in Loop: Header=BB6_6496 Depth=4
	s_delay_alu instid0(VALU_DEP_1)
	v_bfe_u32 v20, v22, 23, 1
; %bb.6720:                             ;   in Loop: Header=BB6_6496 Depth=4
	s_or_b32 exec_lo, exec_lo, s13
	v_lshrrev_b32_e32 v22, 21, v22
	s_delay_alu instid0(VALU_DEP_2) | instskip(SKIP_2) | instid1(VALU_DEP_4)
	v_cmp_gt_i32_e32 vcc_lo, 32, v20
	v_lshrrev_b32_e32 v14, 24, v14
	v_min_i32_e32 v23, 31, v20
	v_cndmask_b32_e32 v22, 3, v22, vcc_lo
	s_delay_alu instid0(VALU_DEP_3) | instskip(NEXT) | instid1(VALU_DEP_3)
	v_and_b32_e32 v14, 0x80, v14
	v_lshlrev_b32_e32 v23, 2, v23
	s_delay_alu instid0(VALU_DEP_3) | instskip(SKIP_1) | instid1(VALU_DEP_2)
	v_and_b32_e32 v26, 3, v22
	v_or_b32_e32 v20, v20, v22
	v_or3_b32 v14, v23, v14, v26
	s_delay_alu instid0(VALU_DEP_2) | instskip(NEXT) | instid1(VALU_DEP_2)
	v_cmp_ne_u32_e32 vcc_lo, 0, v20
	v_cndmask_b32_e32 v177, 0, v14, vcc_lo
.LBB6_6721:                             ;   in Loop: Header=BB6_6496 Depth=4
	s_or_b32 exec_lo, exec_lo, s35
.LBB6_6722:                             ;   in Loop: Header=BB6_6496 Depth=4
	s_delay_alu instid0(SALU_CYCLE_1)
	s_or_b32 exec_lo, exec_lo, s34
	flat_load_u8 v14, v[8:9] offset:576 slc dlc
	s_mov_b32 s13, 0
	s_mov_b32 s35, exec_lo
                                        ; implicit-def: $sgpr34
	s_waitcnt vmcnt(0) lgkmcnt(0)
	v_cmpx_lt_i16_e32 0x7f, v14
	s_xor_b32 s35, exec_lo, s35
	s_cbranch_execnz .LBB6_7475
; %bb.6723:                             ;   in Loop: Header=BB6_6496 Depth=4
	s_or_saveexec_b32 s35, s35
	v_mov_b32_e32 v20, s34
	s_xor_b32 exec_lo, exec_lo, s35
	s_cbranch_execnz .LBB6_7478
.LBB6_6724:                             ;   in Loop: Header=BB6_6496 Depth=4
	s_or_b32 exec_lo, exec_lo, s35
	s_and_saveexec_b32 s34, s13
	s_cbranch_execz .LBB6_6726
.LBB6_6725:                             ;   in Loop: Header=BB6_6496 Depth=4
	v_and_b32_e32 v20, 0xffff, v14
	v_lshlrev_b32_e32 v14, 24, v14
	s_delay_alu instid0(VALU_DEP_2) | instskip(NEXT) | instid1(VALU_DEP_2)
	v_and_b32_e32 v22, 3, v20
	v_and_b32_e32 v14, 0x80000000, v14
	s_delay_alu instid0(VALU_DEP_2) | instskip(NEXT) | instid1(VALU_DEP_1)
	v_clz_i32_u32_e32 v23, v22
	v_min_u32_e32 v23, 32, v23
	s_delay_alu instid0(VALU_DEP_1) | instskip(SKIP_1) | instid1(VALU_DEP_2)
	v_subrev_nc_u32_e32 v26, 29, v23
	v_sub_nc_u32_e32 v23, 30, v23
	v_lshlrev_b32_e32 v26, v26, v20
	v_bfe_u32 v20, v20, 2, 5
	s_delay_alu instid0(VALU_DEP_2) | instskip(NEXT) | instid1(VALU_DEP_2)
	v_and_b32_e32 v26, 3, v26
	v_cmp_eq_u32_e32 vcc_lo, 0, v20
	v_cndmask_b32_e32 v20, v20, v23, vcc_lo
	s_delay_alu instid0(VALU_DEP_3) | instskip(NEXT) | instid1(VALU_DEP_2)
	v_cndmask_b32_e32 v22, v22, v26, vcc_lo
	v_lshl_add_u32 v20, v20, 23, 0x37800000
	s_delay_alu instid0(VALU_DEP_2) | instskip(NEXT) | instid1(VALU_DEP_1)
	v_lshlrev_b32_e32 v22, 21, v22
	v_or3_b32 v20, v14, v20, v22
.LBB6_6726:                             ;   in Loop: Header=BB6_6496 Depth=4
	s_or_b32 exec_lo, exec_lo, s34
	s_delay_alu instid0(VALU_DEP_1) | instskip(SKIP_2) | instid1(VALU_DEP_2)
	v_mul_f32_e32 v14, v15, v20
	v_mov_b32_e32 v78, 0x80
	s_mov_b32 s34, exec_lo
	v_and_b32_e32 v20, 0x7f800000, v14
	s_delay_alu instid0(VALU_DEP_1)
	v_cmpx_ne_u32_e32 0x7f800000, v20
	s_cbranch_execz .LBB6_6734
; %bb.6727:                             ;   in Loop: Header=BB6_6496 Depth=4
	v_mov_b32_e32 v78, 0
	s_mov_b32 s35, exec_lo
	v_cmpx_ne_u32_e32 0, v14
	s_cbranch_execz .LBB6_6733
; %bb.6728:                             ;   in Loop: Header=BB6_6496 Depth=4
	v_bfe_u32 v20, v14, 23, 8
	s_delay_alu instid0(VALU_DEP_1) | instskip(SKIP_1) | instid1(VALU_DEP_2)
	v_sub_nc_u32_e32 v23, 0x70, v20
	v_cmp_gt_u32_e32 vcc_lo, 0x71, v20
	v_dual_cndmask_b32 v23, 0, v23 :: v_dual_and_b32 v22, 0x7fffff, v14
	s_delay_alu instid0(VALU_DEP_1) | instskip(SKIP_2) | instid1(VALU_DEP_4)
	v_or_b32_e32 v26, 0x800000, v22
	v_cmp_eq_u32_e32 vcc_lo, 0, v20
	v_add_nc_u32_e32 v20, 0xffffff91, v20
	v_cndmask_b32_e64 v23, v23, 0x6f, vcc_lo
	s_delay_alu instid0(VALU_DEP_2) | instskip(SKIP_1) | instid1(VALU_DEP_3)
	v_cndmask_b32_e64 v20, v20, 0xffffff92, vcc_lo
	v_cndmask_b32_e32 v22, v26, v22, vcc_lo
	v_lshl_add_u32 v26, 0x200000, v23, -1
	v_lshlrev_b32_e64 v37, v23, 0x100000
	s_delay_alu instid0(VALU_DEP_3) | instskip(SKIP_1) | instid1(VALU_DEP_4)
	v_lshrrev_b32_e32 v27, v23, v22
	v_add_nc_u32_e32 v23, v23, v20
	v_and_b32_e32 v22, v26, v22
	s_delay_alu instid0(VALU_DEP_3) | instskip(NEXT) | instid1(VALU_DEP_2)
	v_bfe_u32 v36, v27, 21, 1
	v_cmp_eq_u32_e64 s13, v22, v37
	s_delay_alu instid0(VALU_DEP_2) | instskip(NEXT) | instid1(VALU_DEP_1)
	v_add_nc_u32_e32 v26, -1, v36
	v_cndmask_b32_e64 v22, 0, v26, s13
	v_lshrrev_b32_e32 v26, 23, v27
	s_mov_b32 s13, exec_lo
	s_delay_alu instid0(VALU_DEP_2) | instskip(NEXT) | instid1(VALU_DEP_2)
	v_add_nc_u32_e32 v22, v22, v27
	v_xor_b32_e32 v26, 1, v26
	s_delay_alu instid0(VALU_DEP_2) | instskip(NEXT) | instid1(VALU_DEP_1)
	v_and_b32_e32 v20, 0x1fffff, v22
	v_add_nc_u32_e32 v22, v20, v27
                                        ; implicit-def: $vgpr20
	s_delay_alu instid0(VALU_DEP_3)
	v_cmpx_ne_u32_e64 v23, v26
	s_xor_b32 s13, exec_lo, s13
; %bb.6729:                             ;   in Loop: Header=BB6_6496 Depth=4
	s_delay_alu instid0(VALU_DEP_2) | instskip(SKIP_2) | instid1(VALU_DEP_2)
	v_cmp_lt_u32_e32 vcc_lo, 0xffffff, v22
	v_sub_nc_u32_e32 v20, v23, v26
	v_cndmask_b32_e64 v23, 0, 1, vcc_lo
	v_add_co_ci_u32_e32 v20, vcc_lo, 0, v20, vcc_lo
	s_delay_alu instid0(VALU_DEP_2)
	v_lshrrev_b32_e32 v22, v23, v22
; %bb.6730:                             ;   in Loop: Header=BB6_6496 Depth=4
	s_and_not1_saveexec_b32 s13, s13
; %bb.6731:                             ;   in Loop: Header=BB6_6496 Depth=4
	s_delay_alu instid0(VALU_DEP_1)
	v_bfe_u32 v20, v22, 23, 1
; %bb.6732:                             ;   in Loop: Header=BB6_6496 Depth=4
	s_or_b32 exec_lo, exec_lo, s13
	v_lshrrev_b32_e32 v22, 21, v22
	s_delay_alu instid0(VALU_DEP_2) | instskip(SKIP_2) | instid1(VALU_DEP_4)
	v_cmp_gt_i32_e32 vcc_lo, 32, v20
	v_lshrrev_b32_e32 v14, 24, v14
	v_min_i32_e32 v23, 31, v20
	v_cndmask_b32_e32 v22, 3, v22, vcc_lo
	s_delay_alu instid0(VALU_DEP_3) | instskip(NEXT) | instid1(VALU_DEP_3)
	v_and_b32_e32 v14, 0x80, v14
	v_lshlrev_b32_e32 v23, 2, v23
	s_delay_alu instid0(VALU_DEP_3) | instskip(SKIP_1) | instid1(VALU_DEP_2)
	v_and_b32_e32 v26, 3, v22
	v_or_b32_e32 v20, v20, v22
	v_or3_b32 v14, v23, v14, v26
	s_delay_alu instid0(VALU_DEP_2) | instskip(NEXT) | instid1(VALU_DEP_2)
	v_cmp_ne_u32_e32 vcc_lo, 0, v20
	v_cndmask_b32_e32 v78, 0, v14, vcc_lo
.LBB6_6733:                             ;   in Loop: Header=BB6_6496 Depth=4
	s_or_b32 exec_lo, exec_lo, s35
.LBB6_6734:                             ;   in Loop: Header=BB6_6496 Depth=4
	s_delay_alu instid0(SALU_CYCLE_1)
	s_or_b32 exec_lo, exec_lo, s34
	flat_load_u8 v14, v[8:9] offset:608 slc dlc
	s_mov_b32 s13, 0
	s_mov_b32 s35, exec_lo
                                        ; implicit-def: $sgpr34
	s_waitcnt vmcnt(0) lgkmcnt(0)
	v_cmpx_lt_i16_e32 0x7f, v14
	s_xor_b32 s35, exec_lo, s35
	s_cbranch_execnz .LBB6_7479
; %bb.6735:                             ;   in Loop: Header=BB6_6496 Depth=4
	s_or_saveexec_b32 s35, s35
	v_mov_b32_e32 v20, s34
	s_xor_b32 exec_lo, exec_lo, s35
	s_cbranch_execnz .LBB6_7482
.LBB6_6736:                             ;   in Loop: Header=BB6_6496 Depth=4
	s_or_b32 exec_lo, exec_lo, s35
	s_and_saveexec_b32 s34, s13
	s_cbranch_execz .LBB6_6738
.LBB6_6737:                             ;   in Loop: Header=BB6_6496 Depth=4
	v_and_b32_e32 v20, 0xffff, v14
	v_lshlrev_b32_e32 v14, 24, v14
	s_delay_alu instid0(VALU_DEP_2) | instskip(NEXT) | instid1(VALU_DEP_2)
	v_and_b32_e32 v22, 3, v20
	v_and_b32_e32 v14, 0x80000000, v14
	s_delay_alu instid0(VALU_DEP_2) | instskip(NEXT) | instid1(VALU_DEP_1)
	v_clz_i32_u32_e32 v23, v22
	v_min_u32_e32 v23, 32, v23
	s_delay_alu instid0(VALU_DEP_1) | instskip(SKIP_1) | instid1(VALU_DEP_2)
	v_subrev_nc_u32_e32 v26, 29, v23
	v_sub_nc_u32_e32 v23, 30, v23
	v_lshlrev_b32_e32 v26, v26, v20
	v_bfe_u32 v20, v20, 2, 5
	s_delay_alu instid0(VALU_DEP_2) | instskip(NEXT) | instid1(VALU_DEP_2)
	v_and_b32_e32 v26, 3, v26
	v_cmp_eq_u32_e32 vcc_lo, 0, v20
	v_cndmask_b32_e32 v20, v20, v23, vcc_lo
	s_delay_alu instid0(VALU_DEP_3) | instskip(NEXT) | instid1(VALU_DEP_2)
	v_cndmask_b32_e32 v22, v22, v26, vcc_lo
	v_lshl_add_u32 v20, v20, 23, 0x37800000
	s_delay_alu instid0(VALU_DEP_2) | instskip(NEXT) | instid1(VALU_DEP_1)
	v_lshlrev_b32_e32 v22, 21, v22
	v_or3_b32 v20, v14, v20, v22
.LBB6_6738:                             ;   in Loop: Header=BB6_6496 Depth=4
	s_or_b32 exec_lo, exec_lo, s34
	s_delay_alu instid0(VALU_DEP_1) | instskip(SKIP_1) | instid1(VALU_DEP_1)
	v_dual_mul_f32 v14, v15, v20 :: v_dual_mov_b32 v165, 0x80
	s_mov_b32 s34, exec_lo
	v_and_b32_e32 v20, 0x7f800000, v14
	s_delay_alu instid0(VALU_DEP_1)
	v_cmpx_ne_u32_e32 0x7f800000, v20
	s_cbranch_execz .LBB6_6746
; %bb.6739:                             ;   in Loop: Header=BB6_6496 Depth=4
	v_mov_b32_e32 v165, 0
	s_mov_b32 s35, exec_lo
	v_cmpx_ne_u32_e32 0, v14
	s_cbranch_execz .LBB6_6745
; %bb.6740:                             ;   in Loop: Header=BB6_6496 Depth=4
	v_bfe_u32 v20, v14, 23, 8
	s_delay_alu instid0(VALU_DEP_1) | instskip(SKIP_1) | instid1(VALU_DEP_2)
	v_sub_nc_u32_e32 v23, 0x70, v20
	v_cmp_gt_u32_e32 vcc_lo, 0x71, v20
	v_dual_cndmask_b32 v23, 0, v23 :: v_dual_and_b32 v22, 0x7fffff, v14
	s_delay_alu instid0(VALU_DEP_1) | instskip(SKIP_2) | instid1(VALU_DEP_4)
	v_or_b32_e32 v26, 0x800000, v22
	v_cmp_eq_u32_e32 vcc_lo, 0, v20
	v_add_nc_u32_e32 v20, 0xffffff91, v20
	v_cndmask_b32_e64 v23, v23, 0x6f, vcc_lo
	s_delay_alu instid0(VALU_DEP_2) | instskip(SKIP_1) | instid1(VALU_DEP_3)
	v_cndmask_b32_e64 v20, v20, 0xffffff92, vcc_lo
	v_cndmask_b32_e32 v22, v26, v22, vcc_lo
	v_lshl_add_u32 v26, 0x200000, v23, -1
	v_lshlrev_b32_e64 v37, v23, 0x100000
	s_delay_alu instid0(VALU_DEP_3) | instskip(SKIP_1) | instid1(VALU_DEP_4)
	v_lshrrev_b32_e32 v27, v23, v22
	v_add_nc_u32_e32 v23, v23, v20
	v_and_b32_e32 v22, v26, v22
	s_delay_alu instid0(VALU_DEP_3) | instskip(NEXT) | instid1(VALU_DEP_2)
	v_bfe_u32 v36, v27, 21, 1
	v_cmp_eq_u32_e64 s13, v22, v37
	s_delay_alu instid0(VALU_DEP_2) | instskip(NEXT) | instid1(VALU_DEP_1)
	v_add_nc_u32_e32 v26, -1, v36
	v_cndmask_b32_e64 v22, 0, v26, s13
	v_lshrrev_b32_e32 v26, 23, v27
	s_mov_b32 s13, exec_lo
	s_delay_alu instid0(VALU_DEP_2) | instskip(NEXT) | instid1(VALU_DEP_2)
	v_add_nc_u32_e32 v22, v22, v27
	v_xor_b32_e32 v26, 1, v26
	s_delay_alu instid0(VALU_DEP_2) | instskip(NEXT) | instid1(VALU_DEP_1)
	v_and_b32_e32 v20, 0x1fffff, v22
	v_add_nc_u32_e32 v22, v20, v27
                                        ; implicit-def: $vgpr20
	s_delay_alu instid0(VALU_DEP_3)
	v_cmpx_ne_u32_e64 v23, v26
	s_xor_b32 s13, exec_lo, s13
; %bb.6741:                             ;   in Loop: Header=BB6_6496 Depth=4
	s_delay_alu instid0(VALU_DEP_2) | instskip(SKIP_2) | instid1(VALU_DEP_2)
	v_cmp_lt_u32_e32 vcc_lo, 0xffffff, v22
	v_sub_nc_u32_e32 v20, v23, v26
	v_cndmask_b32_e64 v23, 0, 1, vcc_lo
	v_add_co_ci_u32_e32 v20, vcc_lo, 0, v20, vcc_lo
	s_delay_alu instid0(VALU_DEP_2)
	v_lshrrev_b32_e32 v22, v23, v22
; %bb.6742:                             ;   in Loop: Header=BB6_6496 Depth=4
	s_and_not1_saveexec_b32 s13, s13
; %bb.6743:                             ;   in Loop: Header=BB6_6496 Depth=4
	s_delay_alu instid0(VALU_DEP_1)
	v_bfe_u32 v20, v22, 23, 1
; %bb.6744:                             ;   in Loop: Header=BB6_6496 Depth=4
	s_or_b32 exec_lo, exec_lo, s13
	v_lshrrev_b32_e32 v22, 21, v22
	s_delay_alu instid0(VALU_DEP_2) | instskip(SKIP_2) | instid1(VALU_DEP_4)
	v_cmp_gt_i32_e32 vcc_lo, 32, v20
	v_lshrrev_b32_e32 v14, 24, v14
	v_min_i32_e32 v23, 31, v20
	v_cndmask_b32_e32 v22, 3, v22, vcc_lo
	s_delay_alu instid0(VALU_DEP_3) | instskip(NEXT) | instid1(VALU_DEP_3)
	v_and_b32_e32 v14, 0x80, v14
	v_lshlrev_b32_e32 v23, 2, v23
	s_delay_alu instid0(VALU_DEP_3) | instskip(SKIP_1) | instid1(VALU_DEP_2)
	v_and_b32_e32 v26, 3, v22
	v_or_b32_e32 v20, v20, v22
	v_or3_b32 v14, v23, v14, v26
	s_delay_alu instid0(VALU_DEP_2) | instskip(NEXT) | instid1(VALU_DEP_2)
	v_cmp_ne_u32_e32 vcc_lo, 0, v20
	v_cndmask_b32_e32 v165, 0, v14, vcc_lo
.LBB6_6745:                             ;   in Loop: Header=BB6_6496 Depth=4
	s_or_b32 exec_lo, exec_lo, s35
.LBB6_6746:                             ;   in Loop: Header=BB6_6496 Depth=4
	s_delay_alu instid0(SALU_CYCLE_1)
	s_or_b32 exec_lo, exec_lo, s34
	flat_load_u8 v14, v[8:9] offset:640 slc dlc
	s_mov_b32 s13, 0
	s_mov_b32 s35, exec_lo
                                        ; implicit-def: $sgpr34
	s_waitcnt vmcnt(0) lgkmcnt(0)
	v_cmpx_lt_i16_e32 0x7f, v14
	s_xor_b32 s35, exec_lo, s35
	s_cbranch_execnz .LBB6_7483
; %bb.6747:                             ;   in Loop: Header=BB6_6496 Depth=4
	s_or_saveexec_b32 s35, s35
	v_mov_b32_e32 v20, s34
	s_xor_b32 exec_lo, exec_lo, s35
	s_cbranch_execnz .LBB6_7486
.LBB6_6748:                             ;   in Loop: Header=BB6_6496 Depth=4
	s_or_b32 exec_lo, exec_lo, s35
	s_and_saveexec_b32 s34, s13
	s_cbranch_execz .LBB6_6750
.LBB6_6749:                             ;   in Loop: Header=BB6_6496 Depth=4
	v_and_b32_e32 v20, 0xffff, v14
	v_lshlrev_b32_e32 v14, 24, v14
	s_delay_alu instid0(VALU_DEP_2) | instskip(NEXT) | instid1(VALU_DEP_2)
	v_and_b32_e32 v22, 3, v20
	v_and_b32_e32 v14, 0x80000000, v14
	s_delay_alu instid0(VALU_DEP_2) | instskip(NEXT) | instid1(VALU_DEP_1)
	v_clz_i32_u32_e32 v23, v22
	v_min_u32_e32 v23, 32, v23
	s_delay_alu instid0(VALU_DEP_1) | instskip(SKIP_1) | instid1(VALU_DEP_2)
	v_subrev_nc_u32_e32 v26, 29, v23
	v_sub_nc_u32_e32 v23, 30, v23
	v_lshlrev_b32_e32 v26, v26, v20
	v_bfe_u32 v20, v20, 2, 5
	s_delay_alu instid0(VALU_DEP_2) | instskip(NEXT) | instid1(VALU_DEP_2)
	v_and_b32_e32 v26, 3, v26
	v_cmp_eq_u32_e32 vcc_lo, 0, v20
	v_cndmask_b32_e32 v20, v20, v23, vcc_lo
	s_delay_alu instid0(VALU_DEP_3) | instskip(NEXT) | instid1(VALU_DEP_2)
	v_cndmask_b32_e32 v22, v22, v26, vcc_lo
	v_lshl_add_u32 v20, v20, 23, 0x37800000
	s_delay_alu instid0(VALU_DEP_2) | instskip(NEXT) | instid1(VALU_DEP_1)
	v_lshlrev_b32_e32 v22, 21, v22
	v_or3_b32 v20, v14, v20, v22
.LBB6_6750:                             ;   in Loop: Header=BB6_6496 Depth=4
	s_or_b32 exec_lo, exec_lo, s34
	s_delay_alu instid0(VALU_DEP_1) | instskip(SKIP_1) | instid1(VALU_DEP_1)
	v_dual_mul_f32 v14, v15, v20 :: v_dual_mov_b32 v77, 0x80
	s_mov_b32 s34, exec_lo
	v_and_b32_e32 v20, 0x7f800000, v14
	s_delay_alu instid0(VALU_DEP_1)
	v_cmpx_ne_u32_e32 0x7f800000, v20
	s_cbranch_execz .LBB6_6758
; %bb.6751:                             ;   in Loop: Header=BB6_6496 Depth=4
	v_mov_b32_e32 v77, 0
	s_mov_b32 s35, exec_lo
	v_cmpx_ne_u32_e32 0, v14
	s_cbranch_execz .LBB6_6757
; %bb.6752:                             ;   in Loop: Header=BB6_6496 Depth=4
	v_bfe_u32 v20, v14, 23, 8
	s_delay_alu instid0(VALU_DEP_1) | instskip(SKIP_1) | instid1(VALU_DEP_2)
	v_sub_nc_u32_e32 v23, 0x70, v20
	v_cmp_gt_u32_e32 vcc_lo, 0x71, v20
	v_dual_cndmask_b32 v23, 0, v23 :: v_dual_and_b32 v22, 0x7fffff, v14
	s_delay_alu instid0(VALU_DEP_1) | instskip(SKIP_2) | instid1(VALU_DEP_4)
	v_or_b32_e32 v26, 0x800000, v22
	v_cmp_eq_u32_e32 vcc_lo, 0, v20
	v_add_nc_u32_e32 v20, 0xffffff91, v20
	v_cndmask_b32_e64 v23, v23, 0x6f, vcc_lo
	s_delay_alu instid0(VALU_DEP_2) | instskip(SKIP_1) | instid1(VALU_DEP_3)
	v_cndmask_b32_e64 v20, v20, 0xffffff92, vcc_lo
	v_cndmask_b32_e32 v22, v26, v22, vcc_lo
	v_lshl_add_u32 v26, 0x200000, v23, -1
	v_lshlrev_b32_e64 v37, v23, 0x100000
	s_delay_alu instid0(VALU_DEP_3) | instskip(SKIP_1) | instid1(VALU_DEP_4)
	v_lshrrev_b32_e32 v27, v23, v22
	v_add_nc_u32_e32 v23, v23, v20
	v_and_b32_e32 v22, v26, v22
	s_delay_alu instid0(VALU_DEP_3) | instskip(NEXT) | instid1(VALU_DEP_2)
	v_bfe_u32 v36, v27, 21, 1
	v_cmp_eq_u32_e64 s13, v22, v37
	s_delay_alu instid0(VALU_DEP_2) | instskip(NEXT) | instid1(VALU_DEP_1)
	v_add_nc_u32_e32 v26, -1, v36
	v_cndmask_b32_e64 v22, 0, v26, s13
	v_lshrrev_b32_e32 v26, 23, v27
	s_mov_b32 s13, exec_lo
	s_delay_alu instid0(VALU_DEP_2) | instskip(NEXT) | instid1(VALU_DEP_2)
	v_add_nc_u32_e32 v22, v22, v27
	v_xor_b32_e32 v26, 1, v26
	s_delay_alu instid0(VALU_DEP_2) | instskip(NEXT) | instid1(VALU_DEP_1)
	v_and_b32_e32 v20, 0x1fffff, v22
	v_add_nc_u32_e32 v22, v20, v27
                                        ; implicit-def: $vgpr20
	s_delay_alu instid0(VALU_DEP_3)
	v_cmpx_ne_u32_e64 v23, v26
	s_xor_b32 s13, exec_lo, s13
; %bb.6753:                             ;   in Loop: Header=BB6_6496 Depth=4
	s_delay_alu instid0(VALU_DEP_2) | instskip(SKIP_2) | instid1(VALU_DEP_2)
	v_cmp_lt_u32_e32 vcc_lo, 0xffffff, v22
	v_sub_nc_u32_e32 v20, v23, v26
	v_cndmask_b32_e64 v23, 0, 1, vcc_lo
	v_add_co_ci_u32_e32 v20, vcc_lo, 0, v20, vcc_lo
	s_delay_alu instid0(VALU_DEP_2)
	v_lshrrev_b32_e32 v22, v23, v22
; %bb.6754:                             ;   in Loop: Header=BB6_6496 Depth=4
	s_and_not1_saveexec_b32 s13, s13
; %bb.6755:                             ;   in Loop: Header=BB6_6496 Depth=4
	s_delay_alu instid0(VALU_DEP_1)
	v_bfe_u32 v20, v22, 23, 1
; %bb.6756:                             ;   in Loop: Header=BB6_6496 Depth=4
	s_or_b32 exec_lo, exec_lo, s13
	v_lshrrev_b32_e32 v22, 21, v22
	s_delay_alu instid0(VALU_DEP_2) | instskip(SKIP_2) | instid1(VALU_DEP_4)
	v_cmp_gt_i32_e32 vcc_lo, 32, v20
	v_lshrrev_b32_e32 v14, 24, v14
	v_min_i32_e32 v23, 31, v20
	v_cndmask_b32_e32 v22, 3, v22, vcc_lo
	s_delay_alu instid0(VALU_DEP_3) | instskip(NEXT) | instid1(VALU_DEP_3)
	v_and_b32_e32 v14, 0x80, v14
	v_lshlrev_b32_e32 v23, 2, v23
	s_delay_alu instid0(VALU_DEP_3) | instskip(SKIP_1) | instid1(VALU_DEP_2)
	v_and_b32_e32 v26, 3, v22
	v_or_b32_e32 v20, v20, v22
	v_or3_b32 v14, v23, v14, v26
	s_delay_alu instid0(VALU_DEP_2) | instskip(NEXT) | instid1(VALU_DEP_2)
	v_cmp_ne_u32_e32 vcc_lo, 0, v20
	v_cndmask_b32_e32 v77, 0, v14, vcc_lo
.LBB6_6757:                             ;   in Loop: Header=BB6_6496 Depth=4
	s_or_b32 exec_lo, exec_lo, s35
.LBB6_6758:                             ;   in Loop: Header=BB6_6496 Depth=4
	s_delay_alu instid0(SALU_CYCLE_1)
	s_or_b32 exec_lo, exec_lo, s34
	flat_load_u8 v14, v[8:9] offset:672 slc dlc
	s_mov_b32 s13, 0
	s_mov_b32 s35, exec_lo
                                        ; implicit-def: $sgpr34
	s_waitcnt vmcnt(0) lgkmcnt(0)
	v_cmpx_lt_i16_e32 0x7f, v14
	s_xor_b32 s35, exec_lo, s35
	s_cbranch_execnz .LBB6_7487
; %bb.6759:                             ;   in Loop: Header=BB6_6496 Depth=4
	s_or_saveexec_b32 s35, s35
	v_mov_b32_e32 v20, s34
	s_xor_b32 exec_lo, exec_lo, s35
	s_cbranch_execnz .LBB6_7490
.LBB6_6760:                             ;   in Loop: Header=BB6_6496 Depth=4
	s_or_b32 exec_lo, exec_lo, s35
	s_and_saveexec_b32 s34, s13
	s_cbranch_execz .LBB6_6762
.LBB6_6761:                             ;   in Loop: Header=BB6_6496 Depth=4
	v_and_b32_e32 v20, 0xffff, v14
	v_lshlrev_b32_e32 v14, 24, v14
	s_delay_alu instid0(VALU_DEP_2) | instskip(NEXT) | instid1(VALU_DEP_2)
	v_and_b32_e32 v22, 3, v20
	v_and_b32_e32 v14, 0x80000000, v14
	s_delay_alu instid0(VALU_DEP_2) | instskip(NEXT) | instid1(VALU_DEP_1)
	v_clz_i32_u32_e32 v23, v22
	v_min_u32_e32 v23, 32, v23
	s_delay_alu instid0(VALU_DEP_1) | instskip(SKIP_1) | instid1(VALU_DEP_2)
	v_subrev_nc_u32_e32 v26, 29, v23
	v_sub_nc_u32_e32 v23, 30, v23
	v_lshlrev_b32_e32 v26, v26, v20
	v_bfe_u32 v20, v20, 2, 5
	s_delay_alu instid0(VALU_DEP_2) | instskip(NEXT) | instid1(VALU_DEP_2)
	v_and_b32_e32 v26, 3, v26
	v_cmp_eq_u32_e32 vcc_lo, 0, v20
	v_cndmask_b32_e32 v20, v20, v23, vcc_lo
	s_delay_alu instid0(VALU_DEP_3) | instskip(NEXT) | instid1(VALU_DEP_2)
	v_cndmask_b32_e32 v22, v22, v26, vcc_lo
	v_lshl_add_u32 v20, v20, 23, 0x37800000
	s_delay_alu instid0(VALU_DEP_2) | instskip(NEXT) | instid1(VALU_DEP_1)
	v_lshlrev_b32_e32 v22, 21, v22
	v_or3_b32 v20, v14, v20, v22
.LBB6_6762:                             ;   in Loop: Header=BB6_6496 Depth=4
	s_or_b32 exec_lo, exec_lo, s34
	s_delay_alu instid0(VALU_DEP_1) | instskip(SKIP_2) | instid1(VALU_DEP_2)
	v_mul_f32_e32 v14, v15, v20
	v_mov_b32_e32 v76, 0x80
	s_mov_b32 s34, exec_lo
	v_and_b32_e32 v20, 0x7f800000, v14
	s_delay_alu instid0(VALU_DEP_1)
	v_cmpx_ne_u32_e32 0x7f800000, v20
	s_cbranch_execz .LBB6_6770
; %bb.6763:                             ;   in Loop: Header=BB6_6496 Depth=4
	v_mov_b32_e32 v76, 0
	s_mov_b32 s35, exec_lo
	v_cmpx_ne_u32_e32 0, v14
	s_cbranch_execz .LBB6_6769
; %bb.6764:                             ;   in Loop: Header=BB6_6496 Depth=4
	v_bfe_u32 v20, v14, 23, 8
	s_delay_alu instid0(VALU_DEP_1) | instskip(SKIP_1) | instid1(VALU_DEP_2)
	v_sub_nc_u32_e32 v23, 0x70, v20
	v_cmp_gt_u32_e32 vcc_lo, 0x71, v20
	v_dual_cndmask_b32 v23, 0, v23 :: v_dual_and_b32 v22, 0x7fffff, v14
	s_delay_alu instid0(VALU_DEP_1) | instskip(SKIP_2) | instid1(VALU_DEP_4)
	v_or_b32_e32 v26, 0x800000, v22
	v_cmp_eq_u32_e32 vcc_lo, 0, v20
	v_add_nc_u32_e32 v20, 0xffffff91, v20
	v_cndmask_b32_e64 v23, v23, 0x6f, vcc_lo
	s_delay_alu instid0(VALU_DEP_2) | instskip(SKIP_1) | instid1(VALU_DEP_3)
	v_cndmask_b32_e64 v20, v20, 0xffffff92, vcc_lo
	v_cndmask_b32_e32 v22, v26, v22, vcc_lo
	v_lshl_add_u32 v26, 0x200000, v23, -1
	v_lshlrev_b32_e64 v37, v23, 0x100000
	s_delay_alu instid0(VALU_DEP_3) | instskip(SKIP_1) | instid1(VALU_DEP_4)
	v_lshrrev_b32_e32 v27, v23, v22
	v_add_nc_u32_e32 v23, v23, v20
	v_and_b32_e32 v22, v26, v22
	s_delay_alu instid0(VALU_DEP_3) | instskip(NEXT) | instid1(VALU_DEP_2)
	v_bfe_u32 v36, v27, 21, 1
	v_cmp_eq_u32_e64 s13, v22, v37
	s_delay_alu instid0(VALU_DEP_2) | instskip(NEXT) | instid1(VALU_DEP_1)
	v_add_nc_u32_e32 v26, -1, v36
	v_cndmask_b32_e64 v22, 0, v26, s13
	v_lshrrev_b32_e32 v26, 23, v27
	s_mov_b32 s13, exec_lo
	s_delay_alu instid0(VALU_DEP_2) | instskip(NEXT) | instid1(VALU_DEP_2)
	v_add_nc_u32_e32 v22, v22, v27
	v_xor_b32_e32 v26, 1, v26
	s_delay_alu instid0(VALU_DEP_2) | instskip(NEXT) | instid1(VALU_DEP_1)
	v_and_b32_e32 v20, 0x1fffff, v22
	v_add_nc_u32_e32 v22, v20, v27
                                        ; implicit-def: $vgpr20
	s_delay_alu instid0(VALU_DEP_3)
	v_cmpx_ne_u32_e64 v23, v26
	s_xor_b32 s13, exec_lo, s13
; %bb.6765:                             ;   in Loop: Header=BB6_6496 Depth=4
	s_delay_alu instid0(VALU_DEP_2) | instskip(SKIP_2) | instid1(VALU_DEP_2)
	v_cmp_lt_u32_e32 vcc_lo, 0xffffff, v22
	v_sub_nc_u32_e32 v20, v23, v26
	v_cndmask_b32_e64 v23, 0, 1, vcc_lo
	v_add_co_ci_u32_e32 v20, vcc_lo, 0, v20, vcc_lo
	s_delay_alu instid0(VALU_DEP_2)
	v_lshrrev_b32_e32 v22, v23, v22
; %bb.6766:                             ;   in Loop: Header=BB6_6496 Depth=4
	s_and_not1_saveexec_b32 s13, s13
; %bb.6767:                             ;   in Loop: Header=BB6_6496 Depth=4
	s_delay_alu instid0(VALU_DEP_1)
	v_bfe_u32 v20, v22, 23, 1
; %bb.6768:                             ;   in Loop: Header=BB6_6496 Depth=4
	s_or_b32 exec_lo, exec_lo, s13
	v_lshrrev_b32_e32 v22, 21, v22
	s_delay_alu instid0(VALU_DEP_2) | instskip(SKIP_2) | instid1(VALU_DEP_4)
	v_cmp_gt_i32_e32 vcc_lo, 32, v20
	v_lshrrev_b32_e32 v14, 24, v14
	v_min_i32_e32 v23, 31, v20
	v_cndmask_b32_e32 v22, 3, v22, vcc_lo
	s_delay_alu instid0(VALU_DEP_3) | instskip(NEXT) | instid1(VALU_DEP_3)
	v_and_b32_e32 v14, 0x80, v14
	v_lshlrev_b32_e32 v23, 2, v23
	s_delay_alu instid0(VALU_DEP_3) | instskip(SKIP_1) | instid1(VALU_DEP_2)
	v_and_b32_e32 v26, 3, v22
	v_or_b32_e32 v20, v20, v22
	v_or3_b32 v14, v23, v14, v26
	s_delay_alu instid0(VALU_DEP_2) | instskip(NEXT) | instid1(VALU_DEP_2)
	v_cmp_ne_u32_e32 vcc_lo, 0, v20
	v_cndmask_b32_e32 v76, 0, v14, vcc_lo
.LBB6_6769:                             ;   in Loop: Header=BB6_6496 Depth=4
	s_or_b32 exec_lo, exec_lo, s35
.LBB6_6770:                             ;   in Loop: Header=BB6_6496 Depth=4
	s_delay_alu instid0(SALU_CYCLE_1)
	s_or_b32 exec_lo, exec_lo, s34
	flat_load_u8 v14, v[8:9] offset:704 slc dlc
	s_mov_b32 s13, 0
	s_mov_b32 s35, exec_lo
                                        ; implicit-def: $sgpr34
	s_waitcnt vmcnt(0) lgkmcnt(0)
	v_cmpx_lt_i16_e32 0x7f, v14
	s_xor_b32 s35, exec_lo, s35
	s_cbranch_execnz .LBB6_7491
; %bb.6771:                             ;   in Loop: Header=BB6_6496 Depth=4
	s_or_saveexec_b32 s35, s35
	v_mov_b32_e32 v20, s34
	s_xor_b32 exec_lo, exec_lo, s35
	s_cbranch_execnz .LBB6_7494
.LBB6_6772:                             ;   in Loop: Header=BB6_6496 Depth=4
	s_or_b32 exec_lo, exec_lo, s35
	s_and_saveexec_b32 s34, s13
	s_cbranch_execz .LBB6_6774
.LBB6_6773:                             ;   in Loop: Header=BB6_6496 Depth=4
	v_and_b32_e32 v20, 0xffff, v14
	v_lshlrev_b32_e32 v14, 24, v14
	s_delay_alu instid0(VALU_DEP_2) | instskip(NEXT) | instid1(VALU_DEP_2)
	v_and_b32_e32 v22, 3, v20
	v_and_b32_e32 v14, 0x80000000, v14
	s_delay_alu instid0(VALU_DEP_2) | instskip(NEXT) | instid1(VALU_DEP_1)
	v_clz_i32_u32_e32 v23, v22
	v_min_u32_e32 v23, 32, v23
	s_delay_alu instid0(VALU_DEP_1) | instskip(SKIP_1) | instid1(VALU_DEP_2)
	v_subrev_nc_u32_e32 v26, 29, v23
	v_sub_nc_u32_e32 v23, 30, v23
	v_lshlrev_b32_e32 v26, v26, v20
	v_bfe_u32 v20, v20, 2, 5
	s_delay_alu instid0(VALU_DEP_2) | instskip(NEXT) | instid1(VALU_DEP_2)
	v_and_b32_e32 v26, 3, v26
	v_cmp_eq_u32_e32 vcc_lo, 0, v20
	v_cndmask_b32_e32 v20, v20, v23, vcc_lo
	s_delay_alu instid0(VALU_DEP_3) | instskip(NEXT) | instid1(VALU_DEP_2)
	v_cndmask_b32_e32 v22, v22, v26, vcc_lo
	v_lshl_add_u32 v20, v20, 23, 0x37800000
	s_delay_alu instid0(VALU_DEP_2) | instskip(NEXT) | instid1(VALU_DEP_1)
	v_lshlrev_b32_e32 v22, 21, v22
	v_or3_b32 v20, v14, v20, v22
.LBB6_6774:                             ;   in Loop: Header=BB6_6496 Depth=4
	s_or_b32 exec_lo, exec_lo, s34
	s_delay_alu instid0(VALU_DEP_1) | instskip(SKIP_1) | instid1(VALU_DEP_1)
	v_dual_mul_f32 v14, v15, v20 :: v_dual_mov_b32 v161, 0x80
	s_mov_b32 s34, exec_lo
	v_and_b32_e32 v20, 0x7f800000, v14
	s_delay_alu instid0(VALU_DEP_1)
	v_cmpx_ne_u32_e32 0x7f800000, v20
	s_cbranch_execz .LBB6_6782
; %bb.6775:                             ;   in Loop: Header=BB6_6496 Depth=4
	v_mov_b32_e32 v161, 0
	s_mov_b32 s35, exec_lo
	v_cmpx_ne_u32_e32 0, v14
	s_cbranch_execz .LBB6_6781
; %bb.6776:                             ;   in Loop: Header=BB6_6496 Depth=4
	v_bfe_u32 v20, v14, 23, 8
	s_delay_alu instid0(VALU_DEP_1) | instskip(SKIP_1) | instid1(VALU_DEP_2)
	v_sub_nc_u32_e32 v23, 0x70, v20
	v_cmp_gt_u32_e32 vcc_lo, 0x71, v20
	v_dual_cndmask_b32 v23, 0, v23 :: v_dual_and_b32 v22, 0x7fffff, v14
	s_delay_alu instid0(VALU_DEP_1) | instskip(SKIP_2) | instid1(VALU_DEP_4)
	v_or_b32_e32 v26, 0x800000, v22
	v_cmp_eq_u32_e32 vcc_lo, 0, v20
	v_add_nc_u32_e32 v20, 0xffffff91, v20
	v_cndmask_b32_e64 v23, v23, 0x6f, vcc_lo
	s_delay_alu instid0(VALU_DEP_2) | instskip(SKIP_1) | instid1(VALU_DEP_3)
	v_cndmask_b32_e64 v20, v20, 0xffffff92, vcc_lo
	v_cndmask_b32_e32 v22, v26, v22, vcc_lo
	v_lshl_add_u32 v26, 0x200000, v23, -1
	v_lshlrev_b32_e64 v37, v23, 0x100000
	s_delay_alu instid0(VALU_DEP_3) | instskip(SKIP_1) | instid1(VALU_DEP_4)
	v_lshrrev_b32_e32 v27, v23, v22
	v_add_nc_u32_e32 v23, v23, v20
	v_and_b32_e32 v22, v26, v22
	s_delay_alu instid0(VALU_DEP_3) | instskip(NEXT) | instid1(VALU_DEP_2)
	v_bfe_u32 v36, v27, 21, 1
	v_cmp_eq_u32_e64 s13, v22, v37
	s_delay_alu instid0(VALU_DEP_2) | instskip(NEXT) | instid1(VALU_DEP_1)
	v_add_nc_u32_e32 v26, -1, v36
	v_cndmask_b32_e64 v22, 0, v26, s13
	v_lshrrev_b32_e32 v26, 23, v27
	s_mov_b32 s13, exec_lo
	s_delay_alu instid0(VALU_DEP_2) | instskip(NEXT) | instid1(VALU_DEP_2)
	v_add_nc_u32_e32 v22, v22, v27
	v_xor_b32_e32 v26, 1, v26
	s_delay_alu instid0(VALU_DEP_2) | instskip(NEXT) | instid1(VALU_DEP_1)
	v_and_b32_e32 v20, 0x1fffff, v22
	v_add_nc_u32_e32 v22, v20, v27
                                        ; implicit-def: $vgpr20
	s_delay_alu instid0(VALU_DEP_3)
	v_cmpx_ne_u32_e64 v23, v26
	s_xor_b32 s13, exec_lo, s13
; %bb.6777:                             ;   in Loop: Header=BB6_6496 Depth=4
	s_delay_alu instid0(VALU_DEP_2) | instskip(SKIP_2) | instid1(VALU_DEP_2)
	v_cmp_lt_u32_e32 vcc_lo, 0xffffff, v22
	v_sub_nc_u32_e32 v20, v23, v26
	v_cndmask_b32_e64 v23, 0, 1, vcc_lo
	v_add_co_ci_u32_e32 v20, vcc_lo, 0, v20, vcc_lo
	s_delay_alu instid0(VALU_DEP_2)
	v_lshrrev_b32_e32 v22, v23, v22
; %bb.6778:                             ;   in Loop: Header=BB6_6496 Depth=4
	s_and_not1_saveexec_b32 s13, s13
; %bb.6779:                             ;   in Loop: Header=BB6_6496 Depth=4
	s_delay_alu instid0(VALU_DEP_1)
	v_bfe_u32 v20, v22, 23, 1
; %bb.6780:                             ;   in Loop: Header=BB6_6496 Depth=4
	s_or_b32 exec_lo, exec_lo, s13
	v_lshrrev_b32_e32 v22, 21, v22
	s_delay_alu instid0(VALU_DEP_2) | instskip(SKIP_2) | instid1(VALU_DEP_4)
	v_cmp_gt_i32_e32 vcc_lo, 32, v20
	v_lshrrev_b32_e32 v14, 24, v14
	v_min_i32_e32 v23, 31, v20
	v_cndmask_b32_e32 v22, 3, v22, vcc_lo
	s_delay_alu instid0(VALU_DEP_3) | instskip(NEXT) | instid1(VALU_DEP_3)
	v_and_b32_e32 v14, 0x80, v14
	v_lshlrev_b32_e32 v23, 2, v23
	s_delay_alu instid0(VALU_DEP_3) | instskip(SKIP_1) | instid1(VALU_DEP_2)
	v_and_b32_e32 v26, 3, v22
	v_or_b32_e32 v20, v20, v22
	v_or3_b32 v14, v23, v14, v26
	s_delay_alu instid0(VALU_DEP_2) | instskip(NEXT) | instid1(VALU_DEP_2)
	v_cmp_ne_u32_e32 vcc_lo, 0, v20
	v_cndmask_b32_e32 v161, 0, v14, vcc_lo
.LBB6_6781:                             ;   in Loop: Header=BB6_6496 Depth=4
	s_or_b32 exec_lo, exec_lo, s35
.LBB6_6782:                             ;   in Loop: Header=BB6_6496 Depth=4
	s_delay_alu instid0(SALU_CYCLE_1)
	s_or_b32 exec_lo, exec_lo, s34
	flat_load_u8 v14, v[8:9] offset:736 slc dlc
	s_mov_b32 s13, 0
	s_mov_b32 s35, exec_lo
                                        ; implicit-def: $sgpr34
	s_waitcnt vmcnt(0) lgkmcnt(0)
	v_cmpx_lt_i16_e32 0x7f, v14
	s_xor_b32 s35, exec_lo, s35
	s_cbranch_execnz .LBB6_7495
; %bb.6783:                             ;   in Loop: Header=BB6_6496 Depth=4
	s_or_saveexec_b32 s35, s35
	v_mov_b32_e32 v20, s34
	s_xor_b32 exec_lo, exec_lo, s35
	s_cbranch_execnz .LBB6_7498
.LBB6_6784:                             ;   in Loop: Header=BB6_6496 Depth=4
	s_or_b32 exec_lo, exec_lo, s35
	s_and_saveexec_b32 s34, s13
	s_cbranch_execz .LBB6_6786
.LBB6_6785:                             ;   in Loop: Header=BB6_6496 Depth=4
	v_and_b32_e32 v20, 0xffff, v14
	v_lshlrev_b32_e32 v14, 24, v14
	s_delay_alu instid0(VALU_DEP_2) | instskip(NEXT) | instid1(VALU_DEP_2)
	v_and_b32_e32 v22, 3, v20
	v_and_b32_e32 v14, 0x80000000, v14
	s_delay_alu instid0(VALU_DEP_2) | instskip(NEXT) | instid1(VALU_DEP_1)
	v_clz_i32_u32_e32 v23, v22
	v_min_u32_e32 v23, 32, v23
	s_delay_alu instid0(VALU_DEP_1) | instskip(SKIP_1) | instid1(VALU_DEP_2)
	v_subrev_nc_u32_e32 v26, 29, v23
	v_sub_nc_u32_e32 v23, 30, v23
	v_lshlrev_b32_e32 v26, v26, v20
	v_bfe_u32 v20, v20, 2, 5
	s_delay_alu instid0(VALU_DEP_2) | instskip(NEXT) | instid1(VALU_DEP_2)
	v_and_b32_e32 v26, 3, v26
	v_cmp_eq_u32_e32 vcc_lo, 0, v20
	v_cndmask_b32_e32 v20, v20, v23, vcc_lo
	s_delay_alu instid0(VALU_DEP_3) | instskip(NEXT) | instid1(VALU_DEP_2)
	v_cndmask_b32_e32 v22, v22, v26, vcc_lo
	v_lshl_add_u32 v20, v20, 23, 0x37800000
	s_delay_alu instid0(VALU_DEP_2) | instskip(NEXT) | instid1(VALU_DEP_1)
	v_lshlrev_b32_e32 v22, 21, v22
	v_or3_b32 v20, v14, v20, v22
.LBB6_6786:                             ;   in Loop: Header=BB6_6496 Depth=4
	s_or_b32 exec_lo, exec_lo, s34
	s_delay_alu instid0(VALU_DEP_1) | instskip(SKIP_1) | instid1(VALU_DEP_1)
	v_dual_mul_f32 v14, v15, v20 :: v_dual_mov_b32 v151, 0x80
	s_mov_b32 s34, exec_lo
	v_and_b32_e32 v20, 0x7f800000, v14
	s_delay_alu instid0(VALU_DEP_1)
	v_cmpx_ne_u32_e32 0x7f800000, v20
	s_cbranch_execz .LBB6_6794
; %bb.6787:                             ;   in Loop: Header=BB6_6496 Depth=4
	v_mov_b32_e32 v151, 0
	s_mov_b32 s35, exec_lo
	v_cmpx_ne_u32_e32 0, v14
	s_cbranch_execz .LBB6_6793
; %bb.6788:                             ;   in Loop: Header=BB6_6496 Depth=4
	v_bfe_u32 v20, v14, 23, 8
	s_delay_alu instid0(VALU_DEP_1) | instskip(SKIP_1) | instid1(VALU_DEP_2)
	v_sub_nc_u32_e32 v23, 0x70, v20
	v_cmp_gt_u32_e32 vcc_lo, 0x71, v20
	v_dual_cndmask_b32 v23, 0, v23 :: v_dual_and_b32 v22, 0x7fffff, v14
	s_delay_alu instid0(VALU_DEP_1) | instskip(SKIP_2) | instid1(VALU_DEP_4)
	v_or_b32_e32 v26, 0x800000, v22
	v_cmp_eq_u32_e32 vcc_lo, 0, v20
	v_add_nc_u32_e32 v20, 0xffffff91, v20
	v_cndmask_b32_e64 v23, v23, 0x6f, vcc_lo
	s_delay_alu instid0(VALU_DEP_2) | instskip(SKIP_1) | instid1(VALU_DEP_3)
	v_cndmask_b32_e64 v20, v20, 0xffffff92, vcc_lo
	v_cndmask_b32_e32 v22, v26, v22, vcc_lo
	v_lshl_add_u32 v26, 0x200000, v23, -1
	v_lshlrev_b32_e64 v37, v23, 0x100000
	s_delay_alu instid0(VALU_DEP_3) | instskip(SKIP_1) | instid1(VALU_DEP_4)
	v_lshrrev_b32_e32 v27, v23, v22
	v_add_nc_u32_e32 v23, v23, v20
	v_and_b32_e32 v22, v26, v22
	s_delay_alu instid0(VALU_DEP_3) | instskip(NEXT) | instid1(VALU_DEP_2)
	v_bfe_u32 v36, v27, 21, 1
	v_cmp_eq_u32_e64 s13, v22, v37
	s_delay_alu instid0(VALU_DEP_2) | instskip(NEXT) | instid1(VALU_DEP_1)
	v_add_nc_u32_e32 v26, -1, v36
	v_cndmask_b32_e64 v22, 0, v26, s13
	v_lshrrev_b32_e32 v26, 23, v27
	s_mov_b32 s13, exec_lo
	s_delay_alu instid0(VALU_DEP_2) | instskip(NEXT) | instid1(VALU_DEP_2)
	v_add_nc_u32_e32 v22, v22, v27
	v_xor_b32_e32 v26, 1, v26
	s_delay_alu instid0(VALU_DEP_2) | instskip(NEXT) | instid1(VALU_DEP_1)
	v_and_b32_e32 v20, 0x1fffff, v22
	v_add_nc_u32_e32 v22, v20, v27
                                        ; implicit-def: $vgpr20
	s_delay_alu instid0(VALU_DEP_3)
	v_cmpx_ne_u32_e64 v23, v26
	s_xor_b32 s13, exec_lo, s13
; %bb.6789:                             ;   in Loop: Header=BB6_6496 Depth=4
	s_delay_alu instid0(VALU_DEP_2) | instskip(SKIP_2) | instid1(VALU_DEP_2)
	v_cmp_lt_u32_e32 vcc_lo, 0xffffff, v22
	v_sub_nc_u32_e32 v20, v23, v26
	v_cndmask_b32_e64 v23, 0, 1, vcc_lo
	v_add_co_ci_u32_e32 v20, vcc_lo, 0, v20, vcc_lo
	s_delay_alu instid0(VALU_DEP_2)
	v_lshrrev_b32_e32 v22, v23, v22
; %bb.6790:                             ;   in Loop: Header=BB6_6496 Depth=4
	s_and_not1_saveexec_b32 s13, s13
; %bb.6791:                             ;   in Loop: Header=BB6_6496 Depth=4
	s_delay_alu instid0(VALU_DEP_1)
	v_bfe_u32 v20, v22, 23, 1
; %bb.6792:                             ;   in Loop: Header=BB6_6496 Depth=4
	s_or_b32 exec_lo, exec_lo, s13
	v_lshrrev_b32_e32 v22, 21, v22
	s_delay_alu instid0(VALU_DEP_2) | instskip(SKIP_2) | instid1(VALU_DEP_4)
	v_cmp_gt_i32_e32 vcc_lo, 32, v20
	v_lshrrev_b32_e32 v14, 24, v14
	v_min_i32_e32 v23, 31, v20
	v_cndmask_b32_e32 v22, 3, v22, vcc_lo
	s_delay_alu instid0(VALU_DEP_3) | instskip(NEXT) | instid1(VALU_DEP_3)
	v_and_b32_e32 v14, 0x80, v14
	v_lshlrev_b32_e32 v23, 2, v23
	s_delay_alu instid0(VALU_DEP_3) | instskip(SKIP_1) | instid1(VALU_DEP_2)
	v_and_b32_e32 v26, 3, v22
	v_or_b32_e32 v20, v20, v22
	v_or3_b32 v14, v23, v14, v26
	s_delay_alu instid0(VALU_DEP_2) | instskip(NEXT) | instid1(VALU_DEP_2)
	v_cmp_ne_u32_e32 vcc_lo, 0, v20
	v_cndmask_b32_e32 v151, 0, v14, vcc_lo
.LBB6_6793:                             ;   in Loop: Header=BB6_6496 Depth=4
	s_or_b32 exec_lo, exec_lo, s35
.LBB6_6794:                             ;   in Loop: Header=BB6_6496 Depth=4
	s_delay_alu instid0(SALU_CYCLE_1)
	s_or_b32 exec_lo, exec_lo, s34
	flat_load_u8 v14, v[8:9] offset:768 slc dlc
	s_mov_b32 s13, 0
	s_mov_b32 s35, exec_lo
                                        ; implicit-def: $sgpr34
	s_waitcnt vmcnt(0) lgkmcnt(0)
	v_cmpx_lt_i16_e32 0x7f, v14
	s_xor_b32 s35, exec_lo, s35
	s_cbranch_execnz .LBB6_7499
; %bb.6795:                             ;   in Loop: Header=BB6_6496 Depth=4
	s_or_saveexec_b32 s35, s35
	v_mov_b32_e32 v20, s34
	s_xor_b32 exec_lo, exec_lo, s35
	s_cbranch_execnz .LBB6_7502
.LBB6_6796:                             ;   in Loop: Header=BB6_6496 Depth=4
	s_or_b32 exec_lo, exec_lo, s35
	s_and_saveexec_b32 s34, s13
	s_cbranch_execz .LBB6_6798
.LBB6_6797:                             ;   in Loop: Header=BB6_6496 Depth=4
	v_and_b32_e32 v20, 0xffff, v14
	v_lshlrev_b32_e32 v14, 24, v14
	s_delay_alu instid0(VALU_DEP_2) | instskip(NEXT) | instid1(VALU_DEP_2)
	v_and_b32_e32 v22, 3, v20
	v_and_b32_e32 v14, 0x80000000, v14
	s_delay_alu instid0(VALU_DEP_2) | instskip(NEXT) | instid1(VALU_DEP_1)
	v_clz_i32_u32_e32 v23, v22
	v_min_u32_e32 v23, 32, v23
	s_delay_alu instid0(VALU_DEP_1) | instskip(SKIP_1) | instid1(VALU_DEP_2)
	v_subrev_nc_u32_e32 v26, 29, v23
	v_sub_nc_u32_e32 v23, 30, v23
	v_lshlrev_b32_e32 v26, v26, v20
	v_bfe_u32 v20, v20, 2, 5
	s_delay_alu instid0(VALU_DEP_2) | instskip(NEXT) | instid1(VALU_DEP_2)
	v_and_b32_e32 v26, 3, v26
	v_cmp_eq_u32_e32 vcc_lo, 0, v20
	v_cndmask_b32_e32 v20, v20, v23, vcc_lo
	s_delay_alu instid0(VALU_DEP_3) | instskip(NEXT) | instid1(VALU_DEP_2)
	v_cndmask_b32_e32 v22, v22, v26, vcc_lo
	v_lshl_add_u32 v20, v20, 23, 0x37800000
	s_delay_alu instid0(VALU_DEP_2) | instskip(NEXT) | instid1(VALU_DEP_1)
	v_lshlrev_b32_e32 v22, 21, v22
	v_or3_b32 v20, v14, v20, v22
.LBB6_6798:                             ;   in Loop: Header=BB6_6496 Depth=4
	s_or_b32 exec_lo, exec_lo, s34
	s_delay_alu instid0(VALU_DEP_1) | instskip(SKIP_1) | instid1(VALU_DEP_1)
	v_dual_mul_f32 v14, v15, v20 :: v_dual_mov_b32 v149, 0x80
	s_mov_b32 s34, exec_lo
	v_and_b32_e32 v20, 0x7f800000, v14
	s_delay_alu instid0(VALU_DEP_1)
	v_cmpx_ne_u32_e32 0x7f800000, v20
	s_cbranch_execz .LBB6_6806
; %bb.6799:                             ;   in Loop: Header=BB6_6496 Depth=4
	v_mov_b32_e32 v149, 0
	s_mov_b32 s35, exec_lo
	v_cmpx_ne_u32_e32 0, v14
	s_cbranch_execz .LBB6_6805
; %bb.6800:                             ;   in Loop: Header=BB6_6496 Depth=4
	v_bfe_u32 v20, v14, 23, 8
	s_delay_alu instid0(VALU_DEP_1) | instskip(SKIP_1) | instid1(VALU_DEP_2)
	v_sub_nc_u32_e32 v23, 0x70, v20
	v_cmp_gt_u32_e32 vcc_lo, 0x71, v20
	v_dual_cndmask_b32 v23, 0, v23 :: v_dual_and_b32 v22, 0x7fffff, v14
	s_delay_alu instid0(VALU_DEP_1) | instskip(SKIP_2) | instid1(VALU_DEP_4)
	v_or_b32_e32 v26, 0x800000, v22
	v_cmp_eq_u32_e32 vcc_lo, 0, v20
	v_add_nc_u32_e32 v20, 0xffffff91, v20
	v_cndmask_b32_e64 v23, v23, 0x6f, vcc_lo
	s_delay_alu instid0(VALU_DEP_2) | instskip(SKIP_1) | instid1(VALU_DEP_3)
	v_cndmask_b32_e64 v20, v20, 0xffffff92, vcc_lo
	v_cndmask_b32_e32 v22, v26, v22, vcc_lo
	v_lshl_add_u32 v26, 0x200000, v23, -1
	v_lshlrev_b32_e64 v37, v23, 0x100000
	s_delay_alu instid0(VALU_DEP_3) | instskip(SKIP_1) | instid1(VALU_DEP_4)
	v_lshrrev_b32_e32 v27, v23, v22
	v_add_nc_u32_e32 v23, v23, v20
	v_and_b32_e32 v22, v26, v22
	s_delay_alu instid0(VALU_DEP_3) | instskip(NEXT) | instid1(VALU_DEP_2)
	v_bfe_u32 v36, v27, 21, 1
	v_cmp_eq_u32_e64 s13, v22, v37
	s_delay_alu instid0(VALU_DEP_2) | instskip(NEXT) | instid1(VALU_DEP_1)
	v_add_nc_u32_e32 v26, -1, v36
	v_cndmask_b32_e64 v22, 0, v26, s13
	v_lshrrev_b32_e32 v26, 23, v27
	s_mov_b32 s13, exec_lo
	s_delay_alu instid0(VALU_DEP_2) | instskip(NEXT) | instid1(VALU_DEP_2)
	v_add_nc_u32_e32 v22, v22, v27
	v_xor_b32_e32 v26, 1, v26
	s_delay_alu instid0(VALU_DEP_2) | instskip(NEXT) | instid1(VALU_DEP_1)
	v_and_b32_e32 v20, 0x1fffff, v22
	v_add_nc_u32_e32 v22, v20, v27
                                        ; implicit-def: $vgpr20
	s_delay_alu instid0(VALU_DEP_3)
	v_cmpx_ne_u32_e64 v23, v26
	s_xor_b32 s13, exec_lo, s13
; %bb.6801:                             ;   in Loop: Header=BB6_6496 Depth=4
	s_delay_alu instid0(VALU_DEP_2) | instskip(SKIP_2) | instid1(VALU_DEP_2)
	v_cmp_lt_u32_e32 vcc_lo, 0xffffff, v22
	v_sub_nc_u32_e32 v20, v23, v26
	v_cndmask_b32_e64 v23, 0, 1, vcc_lo
	v_add_co_ci_u32_e32 v20, vcc_lo, 0, v20, vcc_lo
	s_delay_alu instid0(VALU_DEP_2)
	v_lshrrev_b32_e32 v22, v23, v22
; %bb.6802:                             ;   in Loop: Header=BB6_6496 Depth=4
	s_and_not1_saveexec_b32 s13, s13
; %bb.6803:                             ;   in Loop: Header=BB6_6496 Depth=4
	s_delay_alu instid0(VALU_DEP_1)
	v_bfe_u32 v20, v22, 23, 1
; %bb.6804:                             ;   in Loop: Header=BB6_6496 Depth=4
	s_or_b32 exec_lo, exec_lo, s13
	v_lshrrev_b32_e32 v22, 21, v22
	s_delay_alu instid0(VALU_DEP_2) | instskip(SKIP_2) | instid1(VALU_DEP_4)
	v_cmp_gt_i32_e32 vcc_lo, 32, v20
	v_lshrrev_b32_e32 v14, 24, v14
	v_min_i32_e32 v23, 31, v20
	v_cndmask_b32_e32 v22, 3, v22, vcc_lo
	s_delay_alu instid0(VALU_DEP_3) | instskip(NEXT) | instid1(VALU_DEP_3)
	v_and_b32_e32 v14, 0x80, v14
	v_lshlrev_b32_e32 v23, 2, v23
	s_delay_alu instid0(VALU_DEP_3) | instskip(SKIP_1) | instid1(VALU_DEP_2)
	v_and_b32_e32 v26, 3, v22
	v_or_b32_e32 v20, v20, v22
	v_or3_b32 v14, v23, v14, v26
	s_delay_alu instid0(VALU_DEP_2) | instskip(NEXT) | instid1(VALU_DEP_2)
	v_cmp_ne_u32_e32 vcc_lo, 0, v20
	v_cndmask_b32_e32 v149, 0, v14, vcc_lo
.LBB6_6805:                             ;   in Loop: Header=BB6_6496 Depth=4
	s_or_b32 exec_lo, exec_lo, s35
.LBB6_6806:                             ;   in Loop: Header=BB6_6496 Depth=4
	s_delay_alu instid0(SALU_CYCLE_1)
	s_or_b32 exec_lo, exec_lo, s34
	flat_load_u8 v14, v[8:9] offset:800 slc dlc
	s_mov_b32 s13, 0
	s_mov_b32 s35, exec_lo
                                        ; implicit-def: $sgpr34
	s_waitcnt vmcnt(0) lgkmcnt(0)
	v_cmpx_lt_i16_e32 0x7f, v14
	s_xor_b32 s35, exec_lo, s35
	s_cbranch_execnz .LBB6_7503
; %bb.6807:                             ;   in Loop: Header=BB6_6496 Depth=4
	s_or_saveexec_b32 s35, s35
	v_mov_b32_e32 v20, s34
	s_xor_b32 exec_lo, exec_lo, s35
	s_cbranch_execnz .LBB6_7506
.LBB6_6808:                             ;   in Loop: Header=BB6_6496 Depth=4
	s_or_b32 exec_lo, exec_lo, s35
	s_and_saveexec_b32 s34, s13
	s_cbranch_execz .LBB6_6810
.LBB6_6809:                             ;   in Loop: Header=BB6_6496 Depth=4
	v_and_b32_e32 v20, 0xffff, v14
	v_lshlrev_b32_e32 v14, 24, v14
	s_delay_alu instid0(VALU_DEP_2) | instskip(NEXT) | instid1(VALU_DEP_2)
	v_and_b32_e32 v22, 3, v20
	v_and_b32_e32 v14, 0x80000000, v14
	s_delay_alu instid0(VALU_DEP_2) | instskip(NEXT) | instid1(VALU_DEP_1)
	v_clz_i32_u32_e32 v23, v22
	v_min_u32_e32 v23, 32, v23
	s_delay_alu instid0(VALU_DEP_1) | instskip(SKIP_1) | instid1(VALU_DEP_2)
	v_subrev_nc_u32_e32 v26, 29, v23
	v_sub_nc_u32_e32 v23, 30, v23
	v_lshlrev_b32_e32 v26, v26, v20
	v_bfe_u32 v20, v20, 2, 5
	s_delay_alu instid0(VALU_DEP_2) | instskip(NEXT) | instid1(VALU_DEP_2)
	v_and_b32_e32 v26, 3, v26
	v_cmp_eq_u32_e32 vcc_lo, 0, v20
	v_cndmask_b32_e32 v20, v20, v23, vcc_lo
	s_delay_alu instid0(VALU_DEP_3) | instskip(NEXT) | instid1(VALU_DEP_2)
	v_cndmask_b32_e32 v22, v22, v26, vcc_lo
	v_lshl_add_u32 v20, v20, 23, 0x37800000
	s_delay_alu instid0(VALU_DEP_2) | instskip(NEXT) | instid1(VALU_DEP_1)
	v_lshlrev_b32_e32 v22, 21, v22
	v_or3_b32 v20, v14, v20, v22
.LBB6_6810:                             ;   in Loop: Header=BB6_6496 Depth=4
	s_or_b32 exec_lo, exec_lo, s34
	s_delay_alu instid0(VALU_DEP_1) | instskip(SKIP_1) | instid1(VALU_DEP_1)
	v_dual_mul_f32 v14, v15, v20 :: v_dual_mov_b32 v85, 0x80
	s_mov_b32 s34, exec_lo
	v_and_b32_e32 v20, 0x7f800000, v14
	s_delay_alu instid0(VALU_DEP_1)
	v_cmpx_ne_u32_e32 0x7f800000, v20
	s_cbranch_execz .LBB6_6818
; %bb.6811:                             ;   in Loop: Header=BB6_6496 Depth=4
	v_mov_b32_e32 v85, 0
	s_mov_b32 s35, exec_lo
	v_cmpx_ne_u32_e32 0, v14
	s_cbranch_execz .LBB6_6817
; %bb.6812:                             ;   in Loop: Header=BB6_6496 Depth=4
	v_bfe_u32 v20, v14, 23, 8
	s_delay_alu instid0(VALU_DEP_1) | instskip(SKIP_1) | instid1(VALU_DEP_2)
	v_sub_nc_u32_e32 v23, 0x70, v20
	v_cmp_gt_u32_e32 vcc_lo, 0x71, v20
	v_dual_cndmask_b32 v23, 0, v23 :: v_dual_and_b32 v22, 0x7fffff, v14
	s_delay_alu instid0(VALU_DEP_1) | instskip(SKIP_2) | instid1(VALU_DEP_4)
	v_or_b32_e32 v26, 0x800000, v22
	v_cmp_eq_u32_e32 vcc_lo, 0, v20
	v_add_nc_u32_e32 v20, 0xffffff91, v20
	v_cndmask_b32_e64 v23, v23, 0x6f, vcc_lo
	s_delay_alu instid0(VALU_DEP_2) | instskip(SKIP_1) | instid1(VALU_DEP_3)
	v_cndmask_b32_e64 v20, v20, 0xffffff92, vcc_lo
	v_cndmask_b32_e32 v22, v26, v22, vcc_lo
	v_lshl_add_u32 v26, 0x200000, v23, -1
	v_lshlrev_b32_e64 v37, v23, 0x100000
	s_delay_alu instid0(VALU_DEP_3) | instskip(SKIP_1) | instid1(VALU_DEP_4)
	v_lshrrev_b32_e32 v27, v23, v22
	v_add_nc_u32_e32 v23, v23, v20
	v_and_b32_e32 v22, v26, v22
	s_delay_alu instid0(VALU_DEP_3) | instskip(NEXT) | instid1(VALU_DEP_2)
	v_bfe_u32 v36, v27, 21, 1
	v_cmp_eq_u32_e64 s13, v22, v37
	s_delay_alu instid0(VALU_DEP_2) | instskip(NEXT) | instid1(VALU_DEP_1)
	v_add_nc_u32_e32 v26, -1, v36
	v_cndmask_b32_e64 v22, 0, v26, s13
	v_lshrrev_b32_e32 v26, 23, v27
	s_mov_b32 s13, exec_lo
	s_delay_alu instid0(VALU_DEP_2) | instskip(NEXT) | instid1(VALU_DEP_2)
	v_add_nc_u32_e32 v22, v22, v27
	v_xor_b32_e32 v26, 1, v26
	s_delay_alu instid0(VALU_DEP_2) | instskip(NEXT) | instid1(VALU_DEP_1)
	v_and_b32_e32 v20, 0x1fffff, v22
	v_add_nc_u32_e32 v22, v20, v27
                                        ; implicit-def: $vgpr20
	s_delay_alu instid0(VALU_DEP_3)
	v_cmpx_ne_u32_e64 v23, v26
	s_xor_b32 s13, exec_lo, s13
; %bb.6813:                             ;   in Loop: Header=BB6_6496 Depth=4
	s_delay_alu instid0(VALU_DEP_2) | instskip(SKIP_2) | instid1(VALU_DEP_2)
	v_cmp_lt_u32_e32 vcc_lo, 0xffffff, v22
	v_sub_nc_u32_e32 v20, v23, v26
	v_cndmask_b32_e64 v23, 0, 1, vcc_lo
	v_add_co_ci_u32_e32 v20, vcc_lo, 0, v20, vcc_lo
	s_delay_alu instid0(VALU_DEP_2)
	v_lshrrev_b32_e32 v22, v23, v22
; %bb.6814:                             ;   in Loop: Header=BB6_6496 Depth=4
	s_and_not1_saveexec_b32 s13, s13
; %bb.6815:                             ;   in Loop: Header=BB6_6496 Depth=4
	s_delay_alu instid0(VALU_DEP_1)
	v_bfe_u32 v20, v22, 23, 1
; %bb.6816:                             ;   in Loop: Header=BB6_6496 Depth=4
	s_or_b32 exec_lo, exec_lo, s13
	v_lshrrev_b32_e32 v22, 21, v22
	s_delay_alu instid0(VALU_DEP_2) | instskip(SKIP_2) | instid1(VALU_DEP_4)
	v_cmp_gt_i32_e32 vcc_lo, 32, v20
	v_lshrrev_b32_e32 v14, 24, v14
	v_min_i32_e32 v23, 31, v20
	v_cndmask_b32_e32 v22, 3, v22, vcc_lo
	s_delay_alu instid0(VALU_DEP_3) | instskip(NEXT) | instid1(VALU_DEP_3)
	v_and_b32_e32 v14, 0x80, v14
	v_lshlrev_b32_e32 v23, 2, v23
	s_delay_alu instid0(VALU_DEP_3) | instskip(SKIP_1) | instid1(VALU_DEP_2)
	v_and_b32_e32 v26, 3, v22
	v_or_b32_e32 v20, v20, v22
	v_or3_b32 v14, v23, v14, v26
	s_delay_alu instid0(VALU_DEP_2) | instskip(NEXT) | instid1(VALU_DEP_2)
	v_cmp_ne_u32_e32 vcc_lo, 0, v20
	v_cndmask_b32_e32 v85, 0, v14, vcc_lo
.LBB6_6817:                             ;   in Loop: Header=BB6_6496 Depth=4
	s_or_b32 exec_lo, exec_lo, s35
.LBB6_6818:                             ;   in Loop: Header=BB6_6496 Depth=4
	s_delay_alu instid0(SALU_CYCLE_1)
	s_or_b32 exec_lo, exec_lo, s34
	flat_load_u8 v14, v[8:9] offset:832 slc dlc
	s_mov_b32 s13, 0
	s_mov_b32 s35, exec_lo
                                        ; implicit-def: $sgpr34
	s_waitcnt vmcnt(0) lgkmcnt(0)
	v_cmpx_lt_i16_e32 0x7f, v14
	s_xor_b32 s35, exec_lo, s35
	s_cbranch_execnz .LBB6_7507
; %bb.6819:                             ;   in Loop: Header=BB6_6496 Depth=4
	s_or_saveexec_b32 s35, s35
	v_mov_b32_e32 v20, s34
	s_xor_b32 exec_lo, exec_lo, s35
	s_cbranch_execnz .LBB6_7510
.LBB6_6820:                             ;   in Loop: Header=BB6_6496 Depth=4
	s_or_b32 exec_lo, exec_lo, s35
	s_and_saveexec_b32 s34, s13
	s_cbranch_execz .LBB6_6822
.LBB6_6821:                             ;   in Loop: Header=BB6_6496 Depth=4
	v_and_b32_e32 v20, 0xffff, v14
	v_lshlrev_b32_e32 v14, 24, v14
	s_delay_alu instid0(VALU_DEP_2) | instskip(NEXT) | instid1(VALU_DEP_2)
	v_and_b32_e32 v22, 3, v20
	v_and_b32_e32 v14, 0x80000000, v14
	s_delay_alu instid0(VALU_DEP_2) | instskip(NEXT) | instid1(VALU_DEP_1)
	v_clz_i32_u32_e32 v23, v22
	v_min_u32_e32 v23, 32, v23
	s_delay_alu instid0(VALU_DEP_1) | instskip(SKIP_1) | instid1(VALU_DEP_2)
	v_subrev_nc_u32_e32 v26, 29, v23
	v_sub_nc_u32_e32 v23, 30, v23
	v_lshlrev_b32_e32 v26, v26, v20
	v_bfe_u32 v20, v20, 2, 5
	s_delay_alu instid0(VALU_DEP_2) | instskip(NEXT) | instid1(VALU_DEP_2)
	v_and_b32_e32 v26, 3, v26
	v_cmp_eq_u32_e32 vcc_lo, 0, v20
	v_cndmask_b32_e32 v20, v20, v23, vcc_lo
	s_delay_alu instid0(VALU_DEP_3) | instskip(NEXT) | instid1(VALU_DEP_2)
	v_cndmask_b32_e32 v22, v22, v26, vcc_lo
	v_lshl_add_u32 v20, v20, 23, 0x37800000
	s_delay_alu instid0(VALU_DEP_2) | instskip(NEXT) | instid1(VALU_DEP_1)
	v_lshlrev_b32_e32 v22, 21, v22
	v_or3_b32 v20, v14, v20, v22
.LBB6_6822:                             ;   in Loop: Header=BB6_6496 Depth=4
	s_or_b32 exec_lo, exec_lo, s34
	s_delay_alu instid0(VALU_DEP_1) | instskip(SKIP_1) | instid1(VALU_DEP_1)
	v_dual_mul_f32 v14, v15, v20 :: v_dual_mov_b32 v83, 0x80
	s_mov_b32 s34, exec_lo
	v_and_b32_e32 v20, 0x7f800000, v14
	s_delay_alu instid0(VALU_DEP_1)
	v_cmpx_ne_u32_e32 0x7f800000, v20
	s_cbranch_execz .LBB6_6830
; %bb.6823:                             ;   in Loop: Header=BB6_6496 Depth=4
	v_mov_b32_e32 v83, 0
	s_mov_b32 s35, exec_lo
	v_cmpx_ne_u32_e32 0, v14
	s_cbranch_execz .LBB6_6829
; %bb.6824:                             ;   in Loop: Header=BB6_6496 Depth=4
	v_bfe_u32 v20, v14, 23, 8
	s_delay_alu instid0(VALU_DEP_1) | instskip(SKIP_1) | instid1(VALU_DEP_2)
	v_sub_nc_u32_e32 v23, 0x70, v20
	v_cmp_gt_u32_e32 vcc_lo, 0x71, v20
	v_dual_cndmask_b32 v23, 0, v23 :: v_dual_and_b32 v22, 0x7fffff, v14
	s_delay_alu instid0(VALU_DEP_1) | instskip(SKIP_2) | instid1(VALU_DEP_4)
	v_or_b32_e32 v26, 0x800000, v22
	v_cmp_eq_u32_e32 vcc_lo, 0, v20
	v_add_nc_u32_e32 v20, 0xffffff91, v20
	v_cndmask_b32_e64 v23, v23, 0x6f, vcc_lo
	s_delay_alu instid0(VALU_DEP_2) | instskip(SKIP_1) | instid1(VALU_DEP_3)
	v_cndmask_b32_e64 v20, v20, 0xffffff92, vcc_lo
	v_cndmask_b32_e32 v22, v26, v22, vcc_lo
	v_lshl_add_u32 v26, 0x200000, v23, -1
	v_lshlrev_b32_e64 v37, v23, 0x100000
	s_delay_alu instid0(VALU_DEP_3) | instskip(SKIP_1) | instid1(VALU_DEP_4)
	v_lshrrev_b32_e32 v27, v23, v22
	v_add_nc_u32_e32 v23, v23, v20
	v_and_b32_e32 v22, v26, v22
	s_delay_alu instid0(VALU_DEP_3) | instskip(NEXT) | instid1(VALU_DEP_2)
	v_bfe_u32 v36, v27, 21, 1
	v_cmp_eq_u32_e64 s13, v22, v37
	s_delay_alu instid0(VALU_DEP_2) | instskip(NEXT) | instid1(VALU_DEP_1)
	v_add_nc_u32_e32 v26, -1, v36
	v_cndmask_b32_e64 v22, 0, v26, s13
	v_lshrrev_b32_e32 v26, 23, v27
	s_mov_b32 s13, exec_lo
	s_delay_alu instid0(VALU_DEP_2) | instskip(NEXT) | instid1(VALU_DEP_2)
	v_add_nc_u32_e32 v22, v22, v27
	v_xor_b32_e32 v26, 1, v26
	s_delay_alu instid0(VALU_DEP_2) | instskip(NEXT) | instid1(VALU_DEP_1)
	v_and_b32_e32 v20, 0x1fffff, v22
	v_add_nc_u32_e32 v22, v20, v27
                                        ; implicit-def: $vgpr20
	s_delay_alu instid0(VALU_DEP_3)
	v_cmpx_ne_u32_e64 v23, v26
	s_xor_b32 s13, exec_lo, s13
; %bb.6825:                             ;   in Loop: Header=BB6_6496 Depth=4
	s_delay_alu instid0(VALU_DEP_2) | instskip(SKIP_2) | instid1(VALU_DEP_2)
	v_cmp_lt_u32_e32 vcc_lo, 0xffffff, v22
	v_sub_nc_u32_e32 v20, v23, v26
	v_cndmask_b32_e64 v23, 0, 1, vcc_lo
	v_add_co_ci_u32_e32 v20, vcc_lo, 0, v20, vcc_lo
	s_delay_alu instid0(VALU_DEP_2)
	v_lshrrev_b32_e32 v22, v23, v22
; %bb.6826:                             ;   in Loop: Header=BB6_6496 Depth=4
	s_and_not1_saveexec_b32 s13, s13
; %bb.6827:                             ;   in Loop: Header=BB6_6496 Depth=4
	s_delay_alu instid0(VALU_DEP_1)
	v_bfe_u32 v20, v22, 23, 1
; %bb.6828:                             ;   in Loop: Header=BB6_6496 Depth=4
	s_or_b32 exec_lo, exec_lo, s13
	v_lshrrev_b32_e32 v22, 21, v22
	s_delay_alu instid0(VALU_DEP_2) | instskip(SKIP_2) | instid1(VALU_DEP_4)
	v_cmp_gt_i32_e32 vcc_lo, 32, v20
	v_lshrrev_b32_e32 v14, 24, v14
	v_min_i32_e32 v23, 31, v20
	v_cndmask_b32_e32 v22, 3, v22, vcc_lo
	s_delay_alu instid0(VALU_DEP_3) | instskip(NEXT) | instid1(VALU_DEP_3)
	v_and_b32_e32 v14, 0x80, v14
	v_lshlrev_b32_e32 v23, 2, v23
	s_delay_alu instid0(VALU_DEP_3) | instskip(SKIP_1) | instid1(VALU_DEP_2)
	v_and_b32_e32 v26, 3, v22
	v_or_b32_e32 v20, v20, v22
	v_or3_b32 v14, v23, v14, v26
	s_delay_alu instid0(VALU_DEP_2) | instskip(NEXT) | instid1(VALU_DEP_2)
	v_cmp_ne_u32_e32 vcc_lo, 0, v20
	v_cndmask_b32_e32 v83, 0, v14, vcc_lo
.LBB6_6829:                             ;   in Loop: Header=BB6_6496 Depth=4
	s_or_b32 exec_lo, exec_lo, s35
.LBB6_6830:                             ;   in Loop: Header=BB6_6496 Depth=4
	s_delay_alu instid0(SALU_CYCLE_1)
	s_or_b32 exec_lo, exec_lo, s34
	flat_load_u8 v14, v[8:9] offset:864 slc dlc
	s_mov_b32 s13, 0
	s_mov_b32 s35, exec_lo
                                        ; implicit-def: $sgpr34
	s_waitcnt vmcnt(0) lgkmcnt(0)
	v_cmpx_lt_i16_e32 0x7f, v14
	s_xor_b32 s35, exec_lo, s35
	s_cbranch_execnz .LBB6_7511
; %bb.6831:                             ;   in Loop: Header=BB6_6496 Depth=4
	s_or_saveexec_b32 s35, s35
	v_mov_b32_e32 v20, s34
	s_xor_b32 exec_lo, exec_lo, s35
	s_cbranch_execnz .LBB6_7514
.LBB6_6832:                             ;   in Loop: Header=BB6_6496 Depth=4
	s_or_b32 exec_lo, exec_lo, s35
	s_and_saveexec_b32 s34, s13
	s_cbranch_execz .LBB6_6834
.LBB6_6833:                             ;   in Loop: Header=BB6_6496 Depth=4
	v_and_b32_e32 v20, 0xffff, v14
	v_lshlrev_b32_e32 v14, 24, v14
	s_delay_alu instid0(VALU_DEP_2) | instskip(NEXT) | instid1(VALU_DEP_2)
	v_and_b32_e32 v22, 3, v20
	v_and_b32_e32 v14, 0x80000000, v14
	s_delay_alu instid0(VALU_DEP_2) | instskip(NEXT) | instid1(VALU_DEP_1)
	v_clz_i32_u32_e32 v23, v22
	v_min_u32_e32 v23, 32, v23
	s_delay_alu instid0(VALU_DEP_1) | instskip(SKIP_1) | instid1(VALU_DEP_2)
	v_subrev_nc_u32_e32 v26, 29, v23
	v_sub_nc_u32_e32 v23, 30, v23
	v_lshlrev_b32_e32 v26, v26, v20
	v_bfe_u32 v20, v20, 2, 5
	s_delay_alu instid0(VALU_DEP_2) | instskip(NEXT) | instid1(VALU_DEP_2)
	v_and_b32_e32 v26, 3, v26
	v_cmp_eq_u32_e32 vcc_lo, 0, v20
	v_cndmask_b32_e32 v20, v20, v23, vcc_lo
	s_delay_alu instid0(VALU_DEP_3) | instskip(NEXT) | instid1(VALU_DEP_2)
	v_cndmask_b32_e32 v22, v22, v26, vcc_lo
	v_lshl_add_u32 v20, v20, 23, 0x37800000
	s_delay_alu instid0(VALU_DEP_2) | instskip(NEXT) | instid1(VALU_DEP_1)
	v_lshlrev_b32_e32 v22, 21, v22
	v_or3_b32 v20, v14, v20, v22
.LBB6_6834:                             ;   in Loop: Header=BB6_6496 Depth=4
	s_or_b32 exec_lo, exec_lo, s34
	s_delay_alu instid0(VALU_DEP_1) | instskip(SKIP_1) | instid1(VALU_DEP_1)
	v_dual_mul_f32 v14, v15, v20 :: v_dual_mov_b32 v81, 0x80
	s_mov_b32 s34, exec_lo
	v_and_b32_e32 v20, 0x7f800000, v14
	s_delay_alu instid0(VALU_DEP_1)
	v_cmpx_ne_u32_e32 0x7f800000, v20
	s_cbranch_execz .LBB6_6842
; %bb.6835:                             ;   in Loop: Header=BB6_6496 Depth=4
	v_mov_b32_e32 v81, 0
	s_mov_b32 s35, exec_lo
	v_cmpx_ne_u32_e32 0, v14
	s_cbranch_execz .LBB6_6841
; %bb.6836:                             ;   in Loop: Header=BB6_6496 Depth=4
	v_bfe_u32 v20, v14, 23, 8
	s_delay_alu instid0(VALU_DEP_1) | instskip(SKIP_1) | instid1(VALU_DEP_2)
	v_sub_nc_u32_e32 v23, 0x70, v20
	v_cmp_gt_u32_e32 vcc_lo, 0x71, v20
	v_dual_cndmask_b32 v23, 0, v23 :: v_dual_and_b32 v22, 0x7fffff, v14
	s_delay_alu instid0(VALU_DEP_1) | instskip(SKIP_2) | instid1(VALU_DEP_4)
	v_or_b32_e32 v26, 0x800000, v22
	v_cmp_eq_u32_e32 vcc_lo, 0, v20
	v_add_nc_u32_e32 v20, 0xffffff91, v20
	v_cndmask_b32_e64 v23, v23, 0x6f, vcc_lo
	s_delay_alu instid0(VALU_DEP_2) | instskip(SKIP_1) | instid1(VALU_DEP_3)
	v_cndmask_b32_e64 v20, v20, 0xffffff92, vcc_lo
	v_cndmask_b32_e32 v22, v26, v22, vcc_lo
	v_lshl_add_u32 v26, 0x200000, v23, -1
	v_lshlrev_b32_e64 v37, v23, 0x100000
	s_delay_alu instid0(VALU_DEP_3) | instskip(SKIP_1) | instid1(VALU_DEP_4)
	v_lshrrev_b32_e32 v27, v23, v22
	v_add_nc_u32_e32 v23, v23, v20
	v_and_b32_e32 v22, v26, v22
	s_delay_alu instid0(VALU_DEP_3) | instskip(NEXT) | instid1(VALU_DEP_2)
	v_bfe_u32 v36, v27, 21, 1
	v_cmp_eq_u32_e64 s13, v22, v37
	s_delay_alu instid0(VALU_DEP_2) | instskip(NEXT) | instid1(VALU_DEP_1)
	v_add_nc_u32_e32 v26, -1, v36
	v_cndmask_b32_e64 v22, 0, v26, s13
	v_lshrrev_b32_e32 v26, 23, v27
	s_mov_b32 s13, exec_lo
	s_delay_alu instid0(VALU_DEP_2) | instskip(NEXT) | instid1(VALU_DEP_2)
	v_add_nc_u32_e32 v22, v22, v27
	v_xor_b32_e32 v26, 1, v26
	s_delay_alu instid0(VALU_DEP_2) | instskip(NEXT) | instid1(VALU_DEP_1)
	v_and_b32_e32 v20, 0x1fffff, v22
	v_add_nc_u32_e32 v22, v20, v27
                                        ; implicit-def: $vgpr20
	s_delay_alu instid0(VALU_DEP_3)
	v_cmpx_ne_u32_e64 v23, v26
	s_xor_b32 s13, exec_lo, s13
; %bb.6837:                             ;   in Loop: Header=BB6_6496 Depth=4
	s_delay_alu instid0(VALU_DEP_2) | instskip(SKIP_2) | instid1(VALU_DEP_2)
	v_cmp_lt_u32_e32 vcc_lo, 0xffffff, v22
	v_sub_nc_u32_e32 v20, v23, v26
	v_cndmask_b32_e64 v23, 0, 1, vcc_lo
	v_add_co_ci_u32_e32 v20, vcc_lo, 0, v20, vcc_lo
	s_delay_alu instid0(VALU_DEP_2)
	v_lshrrev_b32_e32 v22, v23, v22
; %bb.6838:                             ;   in Loop: Header=BB6_6496 Depth=4
	s_and_not1_saveexec_b32 s13, s13
; %bb.6839:                             ;   in Loop: Header=BB6_6496 Depth=4
	s_delay_alu instid0(VALU_DEP_1)
	v_bfe_u32 v20, v22, 23, 1
; %bb.6840:                             ;   in Loop: Header=BB6_6496 Depth=4
	s_or_b32 exec_lo, exec_lo, s13
	v_lshrrev_b32_e32 v22, 21, v22
	s_delay_alu instid0(VALU_DEP_2) | instskip(SKIP_2) | instid1(VALU_DEP_4)
	v_cmp_gt_i32_e32 vcc_lo, 32, v20
	v_lshrrev_b32_e32 v14, 24, v14
	v_min_i32_e32 v23, 31, v20
	v_cndmask_b32_e32 v22, 3, v22, vcc_lo
	s_delay_alu instid0(VALU_DEP_3) | instskip(NEXT) | instid1(VALU_DEP_3)
	v_and_b32_e32 v14, 0x80, v14
	v_lshlrev_b32_e32 v23, 2, v23
	s_delay_alu instid0(VALU_DEP_3) | instskip(SKIP_1) | instid1(VALU_DEP_2)
	v_and_b32_e32 v26, 3, v22
	v_or_b32_e32 v20, v20, v22
	v_or3_b32 v14, v23, v14, v26
	s_delay_alu instid0(VALU_DEP_2) | instskip(NEXT) | instid1(VALU_DEP_2)
	v_cmp_ne_u32_e32 vcc_lo, 0, v20
	v_cndmask_b32_e32 v81, 0, v14, vcc_lo
.LBB6_6841:                             ;   in Loop: Header=BB6_6496 Depth=4
	s_or_b32 exec_lo, exec_lo, s35
.LBB6_6842:                             ;   in Loop: Header=BB6_6496 Depth=4
	s_delay_alu instid0(SALU_CYCLE_1)
	s_or_b32 exec_lo, exec_lo, s34
	flat_load_u8 v14, v[8:9] offset:896 slc dlc
	s_mov_b32 s13, 0
	s_mov_b32 s35, exec_lo
                                        ; implicit-def: $sgpr34
	s_waitcnt vmcnt(0) lgkmcnt(0)
	v_cmpx_lt_i16_e32 0x7f, v14
	s_xor_b32 s35, exec_lo, s35
	s_cbranch_execnz .LBB6_7515
; %bb.6843:                             ;   in Loop: Header=BB6_6496 Depth=4
	s_or_saveexec_b32 s35, s35
	v_mov_b32_e32 v20, s34
	s_xor_b32 exec_lo, exec_lo, s35
	s_cbranch_execnz .LBB6_7518
.LBB6_6844:                             ;   in Loop: Header=BB6_6496 Depth=4
	s_or_b32 exec_lo, exec_lo, s35
	s_and_saveexec_b32 s34, s13
	s_cbranch_execz .LBB6_6846
.LBB6_6845:                             ;   in Loop: Header=BB6_6496 Depth=4
	v_and_b32_e32 v20, 0xffff, v14
	v_lshlrev_b32_e32 v14, 24, v14
	s_delay_alu instid0(VALU_DEP_2) | instskip(NEXT) | instid1(VALU_DEP_2)
	v_and_b32_e32 v22, 3, v20
	v_and_b32_e32 v14, 0x80000000, v14
	s_delay_alu instid0(VALU_DEP_2) | instskip(NEXT) | instid1(VALU_DEP_1)
	v_clz_i32_u32_e32 v23, v22
	v_min_u32_e32 v23, 32, v23
	s_delay_alu instid0(VALU_DEP_1) | instskip(SKIP_1) | instid1(VALU_DEP_2)
	v_subrev_nc_u32_e32 v26, 29, v23
	v_sub_nc_u32_e32 v23, 30, v23
	v_lshlrev_b32_e32 v26, v26, v20
	v_bfe_u32 v20, v20, 2, 5
	s_delay_alu instid0(VALU_DEP_2) | instskip(NEXT) | instid1(VALU_DEP_2)
	v_and_b32_e32 v26, 3, v26
	v_cmp_eq_u32_e32 vcc_lo, 0, v20
	v_cndmask_b32_e32 v20, v20, v23, vcc_lo
	s_delay_alu instid0(VALU_DEP_3) | instskip(NEXT) | instid1(VALU_DEP_2)
	v_cndmask_b32_e32 v22, v22, v26, vcc_lo
	v_lshl_add_u32 v20, v20, 23, 0x37800000
	s_delay_alu instid0(VALU_DEP_2) | instskip(NEXT) | instid1(VALU_DEP_1)
	v_lshlrev_b32_e32 v22, 21, v22
	v_or3_b32 v20, v14, v20, v22
.LBB6_6846:                             ;   in Loop: Header=BB6_6496 Depth=4
	s_or_b32 exec_lo, exec_lo, s34
	s_delay_alu instid0(VALU_DEP_1) | instskip(SKIP_2) | instid1(VALU_DEP_2)
	v_mul_f32_e32 v14, v15, v20
	v_mov_b32_e32 v80, 0x80
	s_mov_b32 s34, exec_lo
	v_and_b32_e32 v20, 0x7f800000, v14
	s_delay_alu instid0(VALU_DEP_1)
	v_cmpx_ne_u32_e32 0x7f800000, v20
	s_cbranch_execz .LBB6_6854
; %bb.6847:                             ;   in Loop: Header=BB6_6496 Depth=4
	v_mov_b32_e32 v80, 0
	s_mov_b32 s35, exec_lo
	v_cmpx_ne_u32_e32 0, v14
	s_cbranch_execz .LBB6_6853
; %bb.6848:                             ;   in Loop: Header=BB6_6496 Depth=4
	v_bfe_u32 v20, v14, 23, 8
	s_delay_alu instid0(VALU_DEP_1) | instskip(SKIP_1) | instid1(VALU_DEP_2)
	v_sub_nc_u32_e32 v23, 0x70, v20
	v_cmp_gt_u32_e32 vcc_lo, 0x71, v20
	v_dual_cndmask_b32 v23, 0, v23 :: v_dual_and_b32 v22, 0x7fffff, v14
	s_delay_alu instid0(VALU_DEP_1) | instskip(SKIP_2) | instid1(VALU_DEP_4)
	v_or_b32_e32 v26, 0x800000, v22
	v_cmp_eq_u32_e32 vcc_lo, 0, v20
	v_add_nc_u32_e32 v20, 0xffffff91, v20
	v_cndmask_b32_e64 v23, v23, 0x6f, vcc_lo
	s_delay_alu instid0(VALU_DEP_2) | instskip(SKIP_1) | instid1(VALU_DEP_3)
	v_cndmask_b32_e64 v20, v20, 0xffffff92, vcc_lo
	v_cndmask_b32_e32 v22, v26, v22, vcc_lo
	v_lshl_add_u32 v26, 0x200000, v23, -1
	v_lshlrev_b32_e64 v37, v23, 0x100000
	s_delay_alu instid0(VALU_DEP_3) | instskip(SKIP_1) | instid1(VALU_DEP_4)
	v_lshrrev_b32_e32 v27, v23, v22
	v_add_nc_u32_e32 v23, v23, v20
	v_and_b32_e32 v22, v26, v22
	s_delay_alu instid0(VALU_DEP_3) | instskip(NEXT) | instid1(VALU_DEP_2)
	v_bfe_u32 v36, v27, 21, 1
	v_cmp_eq_u32_e64 s13, v22, v37
	s_delay_alu instid0(VALU_DEP_2) | instskip(NEXT) | instid1(VALU_DEP_1)
	v_add_nc_u32_e32 v26, -1, v36
	v_cndmask_b32_e64 v22, 0, v26, s13
	v_lshrrev_b32_e32 v26, 23, v27
	s_mov_b32 s13, exec_lo
	s_delay_alu instid0(VALU_DEP_2) | instskip(NEXT) | instid1(VALU_DEP_2)
	v_add_nc_u32_e32 v22, v22, v27
	v_xor_b32_e32 v26, 1, v26
	s_delay_alu instid0(VALU_DEP_2) | instskip(NEXT) | instid1(VALU_DEP_1)
	v_and_b32_e32 v20, 0x1fffff, v22
	v_add_nc_u32_e32 v22, v20, v27
                                        ; implicit-def: $vgpr20
	s_delay_alu instid0(VALU_DEP_3)
	v_cmpx_ne_u32_e64 v23, v26
	s_xor_b32 s13, exec_lo, s13
; %bb.6849:                             ;   in Loop: Header=BB6_6496 Depth=4
	s_delay_alu instid0(VALU_DEP_2) | instskip(SKIP_2) | instid1(VALU_DEP_2)
	v_cmp_lt_u32_e32 vcc_lo, 0xffffff, v22
	v_sub_nc_u32_e32 v20, v23, v26
	v_cndmask_b32_e64 v23, 0, 1, vcc_lo
	v_add_co_ci_u32_e32 v20, vcc_lo, 0, v20, vcc_lo
	s_delay_alu instid0(VALU_DEP_2)
	v_lshrrev_b32_e32 v22, v23, v22
; %bb.6850:                             ;   in Loop: Header=BB6_6496 Depth=4
	s_and_not1_saveexec_b32 s13, s13
; %bb.6851:                             ;   in Loop: Header=BB6_6496 Depth=4
	s_delay_alu instid0(VALU_DEP_1)
	v_bfe_u32 v20, v22, 23, 1
; %bb.6852:                             ;   in Loop: Header=BB6_6496 Depth=4
	s_or_b32 exec_lo, exec_lo, s13
	v_lshrrev_b32_e32 v22, 21, v22
	s_delay_alu instid0(VALU_DEP_2) | instskip(SKIP_2) | instid1(VALU_DEP_4)
	v_cmp_gt_i32_e32 vcc_lo, 32, v20
	v_lshrrev_b32_e32 v14, 24, v14
	v_min_i32_e32 v23, 31, v20
	v_cndmask_b32_e32 v22, 3, v22, vcc_lo
	s_delay_alu instid0(VALU_DEP_3) | instskip(NEXT) | instid1(VALU_DEP_3)
	v_and_b32_e32 v14, 0x80, v14
	v_lshlrev_b32_e32 v23, 2, v23
	s_delay_alu instid0(VALU_DEP_3) | instskip(SKIP_1) | instid1(VALU_DEP_2)
	v_and_b32_e32 v26, 3, v22
	v_or_b32_e32 v20, v20, v22
	v_or3_b32 v14, v23, v14, v26
	s_delay_alu instid0(VALU_DEP_2) | instskip(NEXT) | instid1(VALU_DEP_2)
	v_cmp_ne_u32_e32 vcc_lo, 0, v20
	v_cndmask_b32_e32 v80, 0, v14, vcc_lo
.LBB6_6853:                             ;   in Loop: Header=BB6_6496 Depth=4
	s_or_b32 exec_lo, exec_lo, s35
.LBB6_6854:                             ;   in Loop: Header=BB6_6496 Depth=4
	s_delay_alu instid0(SALU_CYCLE_1)
	s_or_b32 exec_lo, exec_lo, s34
	flat_load_u8 v14, v[8:9] offset:928 slc dlc
	s_mov_b32 s13, 0
	s_mov_b32 s35, exec_lo
                                        ; implicit-def: $sgpr34
	s_waitcnt vmcnt(0) lgkmcnt(0)
	v_cmpx_lt_i16_e32 0x7f, v14
	s_xor_b32 s35, exec_lo, s35
	s_cbranch_execnz .LBB6_7519
; %bb.6855:                             ;   in Loop: Header=BB6_6496 Depth=4
	s_or_saveexec_b32 s35, s35
	v_mov_b32_e32 v20, s34
	s_xor_b32 exec_lo, exec_lo, s35
	s_cbranch_execnz .LBB6_7522
.LBB6_6856:                             ;   in Loop: Header=BB6_6496 Depth=4
	s_or_b32 exec_lo, exec_lo, s35
	s_and_saveexec_b32 s34, s13
	s_cbranch_execz .LBB6_6858
.LBB6_6857:                             ;   in Loop: Header=BB6_6496 Depth=4
	v_and_b32_e32 v20, 0xffff, v14
	v_lshlrev_b32_e32 v14, 24, v14
	s_delay_alu instid0(VALU_DEP_2) | instskip(NEXT) | instid1(VALU_DEP_2)
	v_and_b32_e32 v22, 3, v20
	v_and_b32_e32 v14, 0x80000000, v14
	s_delay_alu instid0(VALU_DEP_2) | instskip(NEXT) | instid1(VALU_DEP_1)
	v_clz_i32_u32_e32 v23, v22
	v_min_u32_e32 v23, 32, v23
	s_delay_alu instid0(VALU_DEP_1) | instskip(SKIP_1) | instid1(VALU_DEP_2)
	v_subrev_nc_u32_e32 v26, 29, v23
	v_sub_nc_u32_e32 v23, 30, v23
	v_lshlrev_b32_e32 v26, v26, v20
	v_bfe_u32 v20, v20, 2, 5
	s_delay_alu instid0(VALU_DEP_2) | instskip(NEXT) | instid1(VALU_DEP_2)
	v_and_b32_e32 v26, 3, v26
	v_cmp_eq_u32_e32 vcc_lo, 0, v20
	v_cndmask_b32_e32 v20, v20, v23, vcc_lo
	s_delay_alu instid0(VALU_DEP_3) | instskip(NEXT) | instid1(VALU_DEP_2)
	v_cndmask_b32_e32 v22, v22, v26, vcc_lo
	v_lshl_add_u32 v20, v20, 23, 0x37800000
	s_delay_alu instid0(VALU_DEP_2) | instskip(NEXT) | instid1(VALU_DEP_1)
	v_lshlrev_b32_e32 v22, 21, v22
	v_or3_b32 v20, v14, v20, v22
.LBB6_6858:                             ;   in Loop: Header=BB6_6496 Depth=4
	s_or_b32 exec_lo, exec_lo, s34
	s_delay_alu instid0(VALU_DEP_1) | instskip(SKIP_2) | instid1(VALU_DEP_2)
	v_mul_f32_e32 v14, v15, v20
	v_mov_b32_e32 v22, 0x80
	s_mov_b32 s34, exec_lo
	v_and_b32_e32 v20, 0x7f800000, v14
	s_delay_alu instid0(VALU_DEP_1)
	v_cmpx_ne_u32_e32 0x7f800000, v20
	s_cbranch_execz .LBB6_6866
; %bb.6859:                             ;   in Loop: Header=BB6_6496 Depth=4
	v_mov_b32_e32 v22, 0
	s_mov_b32 s35, exec_lo
	v_cmpx_ne_u32_e32 0, v14
	s_cbranch_execz .LBB6_6865
; %bb.6860:                             ;   in Loop: Header=BB6_6496 Depth=4
	v_bfe_u32 v20, v14, 23, 8
	s_delay_alu instid0(VALU_DEP_1) | instskip(SKIP_1) | instid1(VALU_DEP_2)
	v_sub_nc_u32_e32 v23, 0x70, v20
	v_cmp_gt_u32_e32 vcc_lo, 0x71, v20
	v_dual_cndmask_b32 v23, 0, v23 :: v_dual_and_b32 v22, 0x7fffff, v14
	s_delay_alu instid0(VALU_DEP_1) | instskip(SKIP_2) | instid1(VALU_DEP_4)
	v_or_b32_e32 v26, 0x800000, v22
	v_cmp_eq_u32_e32 vcc_lo, 0, v20
	v_add_nc_u32_e32 v20, 0xffffff91, v20
	v_cndmask_b32_e64 v23, v23, 0x6f, vcc_lo
	s_delay_alu instid0(VALU_DEP_2) | instskip(SKIP_1) | instid1(VALU_DEP_3)
	v_cndmask_b32_e64 v20, v20, 0xffffff92, vcc_lo
	v_cndmask_b32_e32 v22, v26, v22, vcc_lo
	v_lshl_add_u32 v26, 0x200000, v23, -1
	v_lshlrev_b32_e64 v37, v23, 0x100000
	s_delay_alu instid0(VALU_DEP_3) | instskip(SKIP_1) | instid1(VALU_DEP_4)
	v_lshrrev_b32_e32 v27, v23, v22
	v_add_nc_u32_e32 v23, v23, v20
	v_and_b32_e32 v22, v26, v22
	s_delay_alu instid0(VALU_DEP_3) | instskip(NEXT) | instid1(VALU_DEP_2)
	v_bfe_u32 v36, v27, 21, 1
	v_cmp_eq_u32_e64 s13, v22, v37
	s_delay_alu instid0(VALU_DEP_2) | instskip(NEXT) | instid1(VALU_DEP_1)
	v_add_nc_u32_e32 v26, -1, v36
	v_cndmask_b32_e64 v22, 0, v26, s13
	v_lshrrev_b32_e32 v26, 23, v27
	s_mov_b32 s13, exec_lo
	s_delay_alu instid0(VALU_DEP_2) | instskip(NEXT) | instid1(VALU_DEP_2)
	v_add_nc_u32_e32 v22, v22, v27
	v_xor_b32_e32 v26, 1, v26
	s_delay_alu instid0(VALU_DEP_2) | instskip(NEXT) | instid1(VALU_DEP_1)
	v_and_b32_e32 v20, 0x1fffff, v22
	v_add_nc_u32_e32 v22, v20, v27
                                        ; implicit-def: $vgpr20
	s_delay_alu instid0(VALU_DEP_3)
	v_cmpx_ne_u32_e64 v23, v26
	s_xor_b32 s13, exec_lo, s13
; %bb.6861:                             ;   in Loop: Header=BB6_6496 Depth=4
	s_delay_alu instid0(VALU_DEP_2) | instskip(SKIP_2) | instid1(VALU_DEP_2)
	v_cmp_lt_u32_e32 vcc_lo, 0xffffff, v22
	v_sub_nc_u32_e32 v20, v23, v26
	v_cndmask_b32_e64 v23, 0, 1, vcc_lo
	v_add_co_ci_u32_e32 v20, vcc_lo, 0, v20, vcc_lo
	s_delay_alu instid0(VALU_DEP_2)
	v_lshrrev_b32_e32 v22, v23, v22
; %bb.6862:                             ;   in Loop: Header=BB6_6496 Depth=4
	s_and_not1_saveexec_b32 s13, s13
; %bb.6863:                             ;   in Loop: Header=BB6_6496 Depth=4
	s_delay_alu instid0(VALU_DEP_1)
	v_bfe_u32 v20, v22, 23, 1
; %bb.6864:                             ;   in Loop: Header=BB6_6496 Depth=4
	s_or_b32 exec_lo, exec_lo, s13
	v_lshrrev_b32_e32 v22, 21, v22
	s_delay_alu instid0(VALU_DEP_2) | instskip(SKIP_2) | instid1(VALU_DEP_4)
	v_cmp_gt_i32_e32 vcc_lo, 32, v20
	v_lshrrev_b32_e32 v14, 24, v14
	v_min_i32_e32 v23, 31, v20
	v_cndmask_b32_e32 v22, 3, v22, vcc_lo
	s_delay_alu instid0(VALU_DEP_3) | instskip(NEXT) | instid1(VALU_DEP_3)
	v_and_b32_e32 v14, 0x80, v14
	v_lshlrev_b32_e32 v23, 2, v23
	s_delay_alu instid0(VALU_DEP_3) | instskip(SKIP_1) | instid1(VALU_DEP_2)
	v_and_b32_e32 v26, 3, v22
	v_or_b32_e32 v20, v20, v22
	v_or3_b32 v14, v23, v14, v26
	s_delay_alu instid0(VALU_DEP_2) | instskip(NEXT) | instid1(VALU_DEP_2)
	v_cmp_ne_u32_e32 vcc_lo, 0, v20
	v_cndmask_b32_e32 v22, 0, v14, vcc_lo
.LBB6_6865:                             ;   in Loop: Header=BB6_6496 Depth=4
	s_or_b32 exec_lo, exec_lo, s35
.LBB6_6866:                             ;   in Loop: Header=BB6_6496 Depth=4
	s_delay_alu instid0(SALU_CYCLE_1)
	s_or_b32 exec_lo, exec_lo, s34
	flat_load_u8 v14, v[8:9] offset:960 slc dlc
	s_mov_b32 s13, 0
	s_mov_b32 s35, exec_lo
                                        ; implicit-def: $sgpr34
	s_waitcnt vmcnt(0) lgkmcnt(0)
	v_cmpx_lt_i16_e32 0x7f, v14
	s_xor_b32 s35, exec_lo, s35
	s_cbranch_execnz .LBB6_7523
; %bb.6867:                             ;   in Loop: Header=BB6_6496 Depth=4
	s_or_saveexec_b32 s35, s35
	v_mov_b32_e32 v20, s34
	s_xor_b32 exec_lo, exec_lo, s35
	s_cbranch_execnz .LBB6_7526
.LBB6_6868:                             ;   in Loop: Header=BB6_6496 Depth=4
	s_or_b32 exec_lo, exec_lo, s35
	s_and_saveexec_b32 s34, s13
	s_cbranch_execz .LBB6_6870
.LBB6_6869:                             ;   in Loop: Header=BB6_6496 Depth=4
	v_and_b32_e32 v20, 0xffff, v14
	v_lshlrev_b32_e32 v14, 24, v14
	s_delay_alu instid0(VALU_DEP_2) | instskip(NEXT) | instid1(VALU_DEP_2)
	v_and_b32_e32 v23, 3, v20
	v_and_b32_e32 v14, 0x80000000, v14
	s_delay_alu instid0(VALU_DEP_2) | instskip(NEXT) | instid1(VALU_DEP_1)
	v_clz_i32_u32_e32 v26, v23
	v_min_u32_e32 v26, 32, v26
	s_delay_alu instid0(VALU_DEP_1) | instskip(SKIP_1) | instid1(VALU_DEP_2)
	v_subrev_nc_u32_e32 v27, 29, v26
	v_sub_nc_u32_e32 v26, 30, v26
	v_lshlrev_b32_e32 v27, v27, v20
	v_bfe_u32 v20, v20, 2, 5
	s_delay_alu instid0(VALU_DEP_2) | instskip(NEXT) | instid1(VALU_DEP_2)
	v_and_b32_e32 v27, 3, v27
	v_cmp_eq_u32_e32 vcc_lo, 0, v20
	s_delay_alu instid0(VALU_DEP_2) | instskip(NEXT) | instid1(VALU_DEP_1)
	v_dual_cndmask_b32 v20, v20, v26 :: v_dual_cndmask_b32 v23, v23, v27
	v_lshl_add_u32 v20, v20, 23, 0x37800000
	s_delay_alu instid0(VALU_DEP_2) | instskip(NEXT) | instid1(VALU_DEP_1)
	v_lshlrev_b32_e32 v23, 21, v23
	v_or3_b32 v20, v14, v20, v23
.LBB6_6870:                             ;   in Loop: Header=BB6_6496 Depth=4
	s_or_b32 exec_lo, exec_lo, s34
	s_delay_alu instid0(VALU_DEP_1) | instskip(NEXT) | instid1(VALU_DEP_1)
	v_mul_f32_e32 v14, v15, v20
	v_and_b32_e32 v20, 0x7f800000, v14
	s_delay_alu instid0(VALU_DEP_1)
	v_cmp_ne_u32_e32 vcc_lo, 0x7f800000, v20
	v_mov_b32_e32 v20, 0x80
	s_and_saveexec_b32 s34, vcc_lo
	s_cbranch_execz .LBB6_6878
; %bb.6871:                             ;   in Loop: Header=BB6_6496 Depth=4
	v_mov_b32_e32 v20, 0
	s_mov_b32 s35, exec_lo
	v_cmpx_ne_u32_e32 0, v14
	s_cbranch_execz .LBB6_6877
; %bb.6872:                             ;   in Loop: Header=BB6_6496 Depth=4
	v_bfe_u32 v20, v14, 23, 8
	v_and_b32_e32 v23, 0x7fffff, v14
	s_delay_alu instid0(VALU_DEP_2) | instskip(SKIP_1) | instid1(VALU_DEP_3)
	v_sub_nc_u32_e32 v26, 0x70, v20
	v_cmp_gt_u32_e32 vcc_lo, 0x71, v20
	v_or_b32_e32 v27, 0x800000, v23
	s_delay_alu instid0(VALU_DEP_3) | instskip(SKIP_1) | instid1(VALU_DEP_3)
	v_cndmask_b32_e32 v26, 0, v26, vcc_lo
	v_cmp_eq_u32_e32 vcc_lo, 0, v20
	v_dual_cndmask_b32 v23, v27, v23 :: v_dual_add_nc_u32 v20, 0xffffff91, v20
	s_delay_alu instid0(VALU_DEP_3) | instskip(NEXT) | instid1(VALU_DEP_2)
	v_cndmask_b32_e64 v26, v26, 0x6f, vcc_lo
	v_cndmask_b32_e64 v20, v20, 0xffffff92, vcc_lo
	s_delay_alu instid0(VALU_DEP_2) | instskip(SKIP_2) | instid1(VALU_DEP_4)
	v_lshrrev_b32_e32 v36, v26, v23
	v_lshl_add_u32 v27, 0x200000, v26, -1
	v_lshlrev_b32_e64 v38, v26, 0x100000
	v_add_nc_u32_e32 v26, v26, v20
	s_delay_alu instid0(VALU_DEP_4) | instskip(NEXT) | instid1(VALU_DEP_4)
	v_bfe_u32 v37, v36, 21, 1
	v_and_b32_e32 v23, v27, v23
	s_delay_alu instid0(VALU_DEP_2) | instskip(NEXT) | instid1(VALU_DEP_2)
	v_add_nc_u32_e32 v27, -1, v37
	v_cmp_eq_u32_e64 s13, v23, v38
	s_delay_alu instid0(VALU_DEP_1) | instskip(SKIP_2) | instid1(VALU_DEP_2)
	v_cndmask_b32_e64 v23, 0, v27, s13
	v_lshrrev_b32_e32 v27, 23, v36
	s_mov_b32 s13, exec_lo
	v_add_nc_u32_e32 v23, v23, v36
	s_delay_alu instid0(VALU_DEP_2) | instskip(NEXT) | instid1(VALU_DEP_2)
	v_xor_b32_e32 v27, 1, v27
	v_and_b32_e32 v20, 0x1fffff, v23
	s_delay_alu instid0(VALU_DEP_1) | instskip(NEXT) | instid1(VALU_DEP_3)
	v_add_nc_u32_e32 v23, v20, v36
                                        ; implicit-def: $vgpr20
	v_cmpx_ne_u32_e64 v26, v27
	s_xor_b32 s13, exec_lo, s13
; %bb.6873:                             ;   in Loop: Header=BB6_6496 Depth=4
	s_delay_alu instid0(VALU_DEP_2) | instskip(SKIP_2) | instid1(VALU_DEP_2)
	v_cmp_lt_u32_e32 vcc_lo, 0xffffff, v23
	v_sub_nc_u32_e32 v20, v26, v27
	v_cndmask_b32_e64 v26, 0, 1, vcc_lo
	v_add_co_ci_u32_e32 v20, vcc_lo, 0, v20, vcc_lo
	s_delay_alu instid0(VALU_DEP_2)
	v_lshrrev_b32_e32 v23, v26, v23
; %bb.6874:                             ;   in Loop: Header=BB6_6496 Depth=4
	s_and_not1_saveexec_b32 s13, s13
; %bb.6875:                             ;   in Loop: Header=BB6_6496 Depth=4
	s_delay_alu instid0(VALU_DEP_1)
	v_bfe_u32 v20, v23, 23, 1
; %bb.6876:                             ;   in Loop: Header=BB6_6496 Depth=4
	s_or_b32 exec_lo, exec_lo, s13
	v_lshrrev_b32_e32 v23, 21, v23
	s_delay_alu instid0(VALU_DEP_2) | instskip(SKIP_2) | instid1(VALU_DEP_2)
	v_cmp_gt_i32_e32 vcc_lo, 32, v20
	v_lshrrev_b32_e32 v14, 24, v14
	v_min_i32_e32 v26, 31, v20
	v_dual_cndmask_b32 v23, 3, v23 :: v_dual_and_b32 v14, 0x80, v14
	s_delay_alu instid0(VALU_DEP_2) | instskip(NEXT) | instid1(VALU_DEP_2)
	v_lshlrev_b32_e32 v26, 2, v26
	v_or_b32_e32 v20, v20, v23
	s_delay_alu instid0(VALU_DEP_1) | instskip(SKIP_1) | instid1(VALU_DEP_1)
	v_cmp_ne_u32_e32 vcc_lo, 0, v20
	v_and_b32_e32 v27, 3, v23
	v_or3_b32 v14, v26, v14, v27
	s_delay_alu instid0(VALU_DEP_1)
	v_cndmask_b32_e32 v20, 0, v14, vcc_lo
.LBB6_6877:                             ;   in Loop: Header=BB6_6496 Depth=4
	s_or_b32 exec_lo, exec_lo, s35
.LBB6_6878:                             ;   in Loop: Header=BB6_6496 Depth=4
	s_delay_alu instid0(SALU_CYCLE_1)
	s_or_b32 exec_lo, exec_lo, s34
	flat_load_u8 v14, v[8:9] offset:992 slc dlc
	s_mov_b32 s13, 0
	s_mov_b32 s35, exec_lo
                                        ; implicit-def: $sgpr34
	s_waitcnt vmcnt(0) lgkmcnt(0)
	v_cmpx_lt_i16_e32 0x7f, v14
	s_xor_b32 s35, exec_lo, s35
	s_cbranch_execnz .LBB6_7527
; %bb.6879:                             ;   in Loop: Header=BB6_6496 Depth=4
	s_or_saveexec_b32 s35, s35
	v_mov_b32_e32 v23, s34
	s_xor_b32 exec_lo, exec_lo, s35
	s_cbranch_execnz .LBB6_7530
.LBB6_6880:                             ;   in Loop: Header=BB6_6496 Depth=4
	s_or_b32 exec_lo, exec_lo, s35
	s_and_saveexec_b32 s34, s13
	s_cbranch_execz .LBB6_6882
.LBB6_6881:                             ;   in Loop: Header=BB6_6496 Depth=4
	v_and_b32_e32 v23, 0xffff, v14
	v_lshlrev_b32_e32 v14, 24, v14
	s_delay_alu instid0(VALU_DEP_2) | instskip(NEXT) | instid1(VALU_DEP_2)
	v_and_b32_e32 v26, 3, v23
	v_and_b32_e32 v14, 0x80000000, v14
	s_delay_alu instid0(VALU_DEP_2) | instskip(NEXT) | instid1(VALU_DEP_1)
	v_clz_i32_u32_e32 v27, v26
	v_min_u32_e32 v27, 32, v27
	s_delay_alu instid0(VALU_DEP_1) | instskip(SKIP_1) | instid1(VALU_DEP_2)
	v_subrev_nc_u32_e32 v36, 29, v27
	v_sub_nc_u32_e32 v27, 30, v27
	v_lshlrev_b32_e32 v36, v36, v23
	v_bfe_u32 v23, v23, 2, 5
	s_delay_alu instid0(VALU_DEP_1) | instskip(NEXT) | instid1(VALU_DEP_3)
	v_cmp_eq_u32_e32 vcc_lo, 0, v23
	v_dual_cndmask_b32 v23, v23, v27 :: v_dual_and_b32 v36, 3, v36
	s_delay_alu instid0(VALU_DEP_1) | instskip(NEXT) | instid1(VALU_DEP_2)
	v_cndmask_b32_e32 v26, v26, v36, vcc_lo
	v_lshl_add_u32 v23, v23, 23, 0x37800000
	s_delay_alu instid0(VALU_DEP_2) | instskip(NEXT) | instid1(VALU_DEP_1)
	v_lshlrev_b32_e32 v26, 21, v26
	v_or3_b32 v23, v14, v23, v26
.LBB6_6882:                             ;   in Loop: Header=BB6_6496 Depth=4
	s_or_b32 exec_lo, exec_lo, s34
	s_delay_alu instid0(VALU_DEP_1) | instskip(NEXT) | instid1(VALU_DEP_1)
	v_mul_f32_e32 v14, v15, v23
	v_and_b32_e32 v15, 0x7f800000, v14
	s_delay_alu instid0(VALU_DEP_1)
	v_cmp_ne_u32_e32 vcc_lo, 0x7f800000, v15
	v_mov_b32_e32 v15, 0x80
	s_and_saveexec_b32 s34, vcc_lo
	s_cbranch_execz .LBB6_6890
; %bb.6883:                             ;   in Loop: Header=BB6_6496 Depth=4
	v_mov_b32_e32 v15, 0
	s_mov_b32 s35, exec_lo
	v_cmpx_ne_u32_e32 0, v14
	s_cbranch_execz .LBB6_6889
; %bb.6884:                             ;   in Loop: Header=BB6_6496 Depth=4
	v_bfe_u32 v15, v14, 23, 8
	v_and_b32_e32 v23, 0x7fffff, v14
	s_delay_alu instid0(VALU_DEP_2) | instskip(SKIP_1) | instid1(VALU_DEP_3)
	v_sub_nc_u32_e32 v26, 0x70, v15
	v_cmp_gt_u32_e32 vcc_lo, 0x71, v15
	v_or_b32_e32 v27, 0x800000, v23
	s_delay_alu instid0(VALU_DEP_3) | instskip(SKIP_2) | instid1(VALU_DEP_4)
	v_cndmask_b32_e32 v26, 0, v26, vcc_lo
	v_cmp_eq_u32_e32 vcc_lo, 0, v15
	v_add_nc_u32_e32 v15, 0xffffff91, v15
	v_cndmask_b32_e32 v23, v27, v23, vcc_lo
	s_delay_alu instid0(VALU_DEP_4) | instskip(NEXT) | instid1(VALU_DEP_3)
	v_cndmask_b32_e64 v26, v26, 0x6f, vcc_lo
	v_cndmask_b32_e64 v15, v15, 0xffffff92, vcc_lo
	s_delay_alu instid0(VALU_DEP_2) | instskip(SKIP_2) | instid1(VALU_DEP_4)
	v_lshrrev_b32_e32 v36, v26, v23
	v_lshl_add_u32 v27, 0x200000, v26, -1
	v_lshlrev_b32_e64 v38, v26, 0x100000
	v_add_nc_u32_e32 v26, v26, v15
	s_delay_alu instid0(VALU_DEP_4) | instskip(NEXT) | instid1(VALU_DEP_4)
	v_bfe_u32 v37, v36, 21, 1
	v_and_b32_e32 v23, v27, v23
	s_delay_alu instid0(VALU_DEP_2) | instskip(NEXT) | instid1(VALU_DEP_2)
	v_add_nc_u32_e32 v27, -1, v37
	v_cmp_eq_u32_e64 s13, v23, v38
	s_delay_alu instid0(VALU_DEP_1) | instskip(SKIP_2) | instid1(VALU_DEP_2)
	v_cndmask_b32_e64 v23, 0, v27, s13
	v_lshrrev_b32_e32 v27, 23, v36
	s_mov_b32 s13, exec_lo
	v_add_nc_u32_e32 v23, v23, v36
	s_delay_alu instid0(VALU_DEP_2) | instskip(NEXT) | instid1(VALU_DEP_2)
	v_xor_b32_e32 v27, 1, v27
	v_and_b32_e32 v15, 0x1fffff, v23
	s_delay_alu instid0(VALU_DEP_1) | instskip(NEXT) | instid1(VALU_DEP_3)
	v_add_nc_u32_e32 v23, v15, v36
                                        ; implicit-def: $vgpr15
	v_cmpx_ne_u32_e64 v26, v27
	s_xor_b32 s13, exec_lo, s13
; %bb.6885:                             ;   in Loop: Header=BB6_6496 Depth=4
	s_delay_alu instid0(VALU_DEP_2) | instskip(SKIP_2) | instid1(VALU_DEP_2)
	v_cmp_lt_u32_e32 vcc_lo, 0xffffff, v23
	v_sub_nc_u32_e32 v15, v26, v27
	v_cndmask_b32_e64 v26, 0, 1, vcc_lo
	v_add_co_ci_u32_e32 v15, vcc_lo, 0, v15, vcc_lo
	s_delay_alu instid0(VALU_DEP_2)
	v_lshrrev_b32_e32 v23, v26, v23
; %bb.6886:                             ;   in Loop: Header=BB6_6496 Depth=4
	s_and_not1_saveexec_b32 s13, s13
; %bb.6887:                             ;   in Loop: Header=BB6_6496 Depth=4
	s_delay_alu instid0(VALU_DEP_1)
	v_bfe_u32 v15, v23, 23, 1
; %bb.6888:                             ;   in Loop: Header=BB6_6496 Depth=4
	s_or_b32 exec_lo, exec_lo, s13
	v_lshrrev_b32_e32 v23, 21, v23
	s_delay_alu instid0(VALU_DEP_2) | instskip(SKIP_2) | instid1(VALU_DEP_2)
	v_cmp_gt_i32_e32 vcc_lo, 32, v15
	v_lshrrev_b32_e32 v14, 24, v14
	v_min_i32_e32 v26, 31, v15
	v_dual_cndmask_b32 v23, 3, v23 :: v_dual_and_b32 v14, 0x80, v14
	s_delay_alu instid0(VALU_DEP_2) | instskip(NEXT) | instid1(VALU_DEP_2)
	v_lshlrev_b32_e32 v26, 2, v26
	v_and_b32_e32 v27, 3, v23
	v_or_b32_e32 v15, v15, v23
	s_delay_alu instid0(VALU_DEP_2) | instskip(NEXT) | instid1(VALU_DEP_2)
	v_or3_b32 v14, v26, v14, v27
	v_cmp_ne_u32_e32 vcc_lo, 0, v15
	s_delay_alu instid0(VALU_DEP_2)
	v_cndmask_b32_e32 v15, 0, v14, vcc_lo
.LBB6_6889:                             ;   in Loop: Header=BB6_6496 Depth=4
	s_or_b32 exec_lo, exec_lo, s35
.LBB6_6890:                             ;   in Loop: Header=BB6_6496 Depth=4
	s_delay_alu instid0(SALU_CYCLE_1)
	s_or_b32 exec_lo, exec_lo, s34
	s_clause 0x1f
	flat_load_u8 v48, v[10:11] slc dlc
	flat_load_u8 v39, v[10:11] offset:32 slc dlc
	flat_load_u8 v38, v[10:11] offset:64 slc dlc
	;; [unrolled: 1-line block ×31, first 2 shown]
	v_and_b32_e32 v52, 0xff, v21
	s_mov_b32 s13, 0
	s_mov_b32 s35, exec_lo
                                        ; implicit-def: $sgpr34
	s_delay_alu instid0(VALU_DEP_1)
	v_cmpx_lt_i16_e32 0x7f, v52
	s_xor_b32 s35, exec_lo, s35
	s_cbranch_execnz .LBB6_7531
; %bb.6891:                             ;   in Loop: Header=BB6_6496 Depth=4
	s_or_saveexec_b32 s35, s35
	v_mov_b32_e32 v49, s34
	s_xor_b32 exec_lo, exec_lo, s35
	s_cbranch_execnz .LBB6_7534
.LBB6_6892:                             ;   in Loop: Header=BB6_6496 Depth=4
	s_or_b32 exec_lo, exec_lo, s35
	s_and_saveexec_b32 s34, s13
	s_cbranch_execz .LBB6_6894
.LBB6_6893:                             ;   in Loop: Header=BB6_6496 Depth=4
	v_lshrrev_b16 v52, 2, v21
	s_delay_alu instid0(VALU_DEP_1) | instskip(NEXT) | instid1(VALU_DEP_1)
	v_and_b32_e32 v52, 31, v52
	v_cmp_eq_u32_e32 vcc_lo, 0, v52
	v_and_b32_e32 v49, 3, v21
	s_delay_alu instid0(VALU_DEP_1) | instskip(NEXT) | instid1(VALU_DEP_1)
	v_clz_i32_u32_e32 v50, v49
	v_min_u32_e32 v50, 32, v50
	s_delay_alu instid0(VALU_DEP_1) | instskip(SKIP_1) | instid1(VALU_DEP_1)
	v_subrev_nc_u32_e32 v51, 29, v50
	v_sub_nc_u32_e32 v50, 30, v50
	v_dual_cndmask_b32 v50, v52, v50 :: v_dual_lshlrev_b32 v51, v51, v21
	v_lshlrev_b32_e32 v21, 24, v21
	s_delay_alu instid0(VALU_DEP_2) | instskip(NEXT) | instid1(VALU_DEP_3)
	v_and_b32_e32 v51, 3, v51
	v_lshl_add_u32 v50, v50, 23, 0x37800000
	s_delay_alu instid0(VALU_DEP_3) | instskip(NEXT) | instid1(VALU_DEP_3)
	v_and_b32_e32 v21, 0x80000000, v21
	v_cndmask_b32_e32 v49, v49, v51, vcc_lo
	s_delay_alu instid0(VALU_DEP_1) | instskip(NEXT) | instid1(VALU_DEP_1)
	v_lshlrev_b32_e32 v49, 21, v49
	v_or3_b32 v49, v21, v50, v49
.LBB6_6894:                             ;   in Loop: Header=BB6_6496 Depth=4
	s_or_b32 exec_lo, exec_lo, s34
	s_waitcnt vmcnt(31) lgkmcnt(31)
	v_and_b32_e32 v52, 0xff, v48
	s_mov_b32 s13, 0
	s_mov_b32 s35, exec_lo
                                        ; implicit-def: $sgpr34
	s_delay_alu instid0(VALU_DEP_1)
	v_cmpx_lt_i16_e32 0x7f, v52
	s_xor_b32 s35, exec_lo, s35
	s_cbranch_execnz .LBB6_7535
; %bb.6895:                             ;   in Loop: Header=BB6_6496 Depth=4
	s_or_saveexec_b32 s35, s35
	v_mov_b32_e32 v21, s34
	s_xor_b32 exec_lo, exec_lo, s35
	s_cbranch_execnz .LBB6_7538
.LBB6_6896:                             ;   in Loop: Header=BB6_6496 Depth=4
	s_or_b32 exec_lo, exec_lo, s35
	s_and_saveexec_b32 s34, s13
	s_cbranch_execz .LBB6_6898
.LBB6_6897:                             ;   in Loop: Header=BB6_6496 Depth=4
	v_lshrrev_b16 v52, 2, v48
	s_delay_alu instid0(VALU_DEP_1) | instskip(NEXT) | instid1(VALU_DEP_1)
	v_and_b32_e32 v52, 31, v52
	v_cmp_eq_u32_e32 vcc_lo, 0, v52
	v_and_b32_e32 v21, 3, v48
	s_delay_alu instid0(VALU_DEP_1) | instskip(NEXT) | instid1(VALU_DEP_1)
	v_clz_i32_u32_e32 v50, v21
	v_min_u32_e32 v50, 32, v50
	s_delay_alu instid0(VALU_DEP_1) | instskip(SKIP_1) | instid1(VALU_DEP_1)
	v_subrev_nc_u32_e32 v51, 29, v50
	v_sub_nc_u32_e32 v50, 30, v50
	v_dual_cndmask_b32 v50, v52, v50 :: v_dual_lshlrev_b32 v51, v51, v48
	v_lshlrev_b32_e32 v48, 24, v48
	s_delay_alu instid0(VALU_DEP_2) | instskip(NEXT) | instid1(VALU_DEP_3)
	v_and_b32_e32 v51, 3, v51
	v_lshl_add_u32 v50, v50, 23, 0x37800000
	s_delay_alu instid0(VALU_DEP_2) | instskip(NEXT) | instid1(VALU_DEP_1)
	v_dual_cndmask_b32 v21, v21, v51 :: v_dual_and_b32 v48, 0x80000000, v48
	v_lshlrev_b32_e32 v21, 21, v21
	s_delay_alu instid0(VALU_DEP_1)
	v_or3_b32 v21, v48, v50, v21
.LBB6_6898:                             ;   in Loop: Header=BB6_6496 Depth=4
	s_or_b32 exec_lo, exec_lo, s34
	s_delay_alu instid0(VALU_DEP_1) | instskip(NEXT) | instid1(VALU_DEP_1)
	v_add_f32_e32 v48, v49, v21
	v_and_b32_e32 v21, 0x7f800000, v48
	s_delay_alu instid0(VALU_DEP_1)
	v_cmp_ne_u32_e32 vcc_lo, 0x7f800000, v21
	v_mov_b32_e32 v21, 0x80
	s_and_saveexec_b32 s34, vcc_lo
	s_cbranch_execz .LBB6_6906
; %bb.6899:                             ;   in Loop: Header=BB6_6496 Depth=4
	v_mov_b32_e32 v21, 0
	s_mov_b32 s35, exec_lo
	v_cmpx_ne_u32_e32 0, v48
	s_cbranch_execz .LBB6_6905
; %bb.6900:                             ;   in Loop: Header=BB6_6496 Depth=4
	v_bfe_u32 v21, v48, 23, 8
	s_delay_alu instid0(VALU_DEP_1) | instskip(SKIP_1) | instid1(VALU_DEP_2)
	v_sub_nc_u32_e32 v50, 0x70, v21
	v_cmp_gt_u32_e32 vcc_lo, 0x71, v21
	v_dual_cndmask_b32 v50, 0, v50 :: v_dual_and_b32 v49, 0x7fffff, v48
	s_delay_alu instid0(VALU_DEP_1) | instskip(SKIP_2) | instid1(VALU_DEP_4)
	v_or_b32_e32 v51, 0x800000, v49
	v_cmp_eq_u32_e32 vcc_lo, 0, v21
	v_add_nc_u32_e32 v21, 0xffffff91, v21
	v_cndmask_b32_e64 v50, v50, 0x6f, vcc_lo
	s_delay_alu instid0(VALU_DEP_4) | instskip(NEXT) | instid1(VALU_DEP_3)
	v_cndmask_b32_e32 v49, v51, v49, vcc_lo
	v_cndmask_b32_e64 v21, v21, 0xffffff92, vcc_lo
	s_delay_alu instid0(VALU_DEP_3) | instskip(NEXT) | instid1(VALU_DEP_3)
	v_lshl_add_u32 v52, 0x200000, v50, -1
	v_lshrrev_b32_e32 v51, v50, v49
	v_lshlrev_b32_e64 v54, v50, 0x100000
	s_delay_alu instid0(VALU_DEP_3) | instskip(NEXT) | instid1(VALU_DEP_3)
	v_and_b32_e32 v49, v52, v49
	v_bfe_u32 v53, v51, 21, 1
	s_delay_alu instid0(VALU_DEP_2) | instskip(NEXT) | instid1(VALU_DEP_2)
	v_cmp_eq_u32_e64 s13, v49, v54
	v_add_nc_u32_e32 v52, -1, v53
	v_lshrrev_b32_e32 v53, 23, v51
	s_delay_alu instid0(VALU_DEP_2) | instskip(SKIP_1) | instid1(VALU_DEP_3)
	v_cndmask_b32_e64 v49, 0, v52, s13
	v_add_nc_u32_e32 v52, v50, v21
	v_xor_b32_e32 v53, 1, v53
	s_mov_b32 s13, exec_lo
	s_delay_alu instid0(VALU_DEP_3) | instskip(NEXT) | instid1(VALU_DEP_1)
	v_add_nc_u32_e32 v49, v49, v51
	v_and_b32_e32 v21, 0x1fffff, v49
	s_delay_alu instid0(VALU_DEP_1)
	v_add_nc_u32_e32 v49, v21, v51
                                        ; implicit-def: $vgpr21
	v_cmpx_ne_u32_e64 v52, v53
	s_xor_b32 s13, exec_lo, s13
; %bb.6901:                             ;   in Loop: Header=BB6_6496 Depth=4
	s_delay_alu instid0(VALU_DEP_2) | instskip(SKIP_2) | instid1(VALU_DEP_2)
	v_cmp_lt_u32_e32 vcc_lo, 0xffffff, v49
	v_sub_nc_u32_e32 v21, v52, v53
	v_cndmask_b32_e64 v50, 0, 1, vcc_lo
	v_add_co_ci_u32_e32 v21, vcc_lo, 0, v21, vcc_lo
	s_delay_alu instid0(VALU_DEP_2)
	v_lshrrev_b32_e32 v49, v50, v49
; %bb.6902:                             ;   in Loop: Header=BB6_6496 Depth=4
	s_and_not1_saveexec_b32 s13, s13
; %bb.6903:                             ;   in Loop: Header=BB6_6496 Depth=4
	s_delay_alu instid0(VALU_DEP_1)
	v_bfe_u32 v21, v49, 23, 1
; %bb.6904:                             ;   in Loop: Header=BB6_6496 Depth=4
	s_or_b32 exec_lo, exec_lo, s13
	v_lshrrev_b32_e32 v49, 21, v49
	s_delay_alu instid0(VALU_DEP_2) | instskip(SKIP_2) | instid1(VALU_DEP_2)
	v_cmp_gt_i32_e32 vcc_lo, 32, v21
	v_lshrrev_b32_e32 v48, 24, v48
	v_min_i32_e32 v50, 31, v21
	v_dual_cndmask_b32 v49, 3, v49 :: v_dual_and_b32 v48, 0x80, v48
	s_delay_alu instid0(VALU_DEP_1) | instskip(SKIP_1) | instid1(VALU_DEP_2)
	v_or_b32_e32 v21, v21, v49
	v_and_b32_e32 v51, 3, v49
	v_cmp_ne_u32_e32 vcc_lo, 0, v21
	v_lshlrev_b32_e32 v50, 2, v50
	s_delay_alu instid0(VALU_DEP_1) | instskip(NEXT) | instid1(VALU_DEP_1)
	v_or3_b32 v48, v50, v48, v51
	v_cndmask_b32_e32 v21, 0, v48, vcc_lo
.LBB6_6905:                             ;   in Loop: Header=BB6_6496 Depth=4
	s_or_b32 exec_lo, exec_lo, s35
.LBB6_6906:                             ;   in Loop: Header=BB6_6496 Depth=4
	s_delay_alu instid0(SALU_CYCLE_1) | instskip(SKIP_3) | instid1(VALU_DEP_1)
	s_or_b32 exec_lo, exec_lo, s34
	v_and_b32_e32 v49, 0xff, v82
	s_mov_b32 s13, 0
	s_mov_b32 s35, exec_lo
                                        ; implicit-def: $sgpr34
	v_cmpx_lt_i16_e32 0x7f, v49
	s_xor_b32 s35, exec_lo, s35
	s_cbranch_execnz .LBB6_7539
; %bb.6907:                             ;   in Loop: Header=BB6_6496 Depth=4
	s_or_saveexec_b32 s35, s35
	v_mov_b32_e32 v48, s34
	s_xor_b32 exec_lo, exec_lo, s35
	s_cbranch_execnz .LBB6_7542
.LBB6_6908:                             ;   in Loop: Header=BB6_6496 Depth=4
	s_or_b32 exec_lo, exec_lo, s35
	s_and_saveexec_b32 s34, s13
	s_cbranch_execz .LBB6_6910
.LBB6_6909:                             ;   in Loop: Header=BB6_6496 Depth=4
	v_lshrrev_b16 v51, 2, v82
	v_lshlrev_b32_e32 v52, 24, v82
	s_delay_alu instid0(VALU_DEP_2) | instskip(NEXT) | instid1(VALU_DEP_1)
	v_and_b32_e32 v51, 31, v51
	v_cmp_eq_u32_e32 vcc_lo, 0, v51
	v_and_b32_e32 v48, 3, v82
	s_delay_alu instid0(VALU_DEP_1) | instskip(NEXT) | instid1(VALU_DEP_1)
	v_clz_i32_u32_e32 v49, v48
	v_min_u32_e32 v49, 32, v49
	s_delay_alu instid0(VALU_DEP_1) | instskip(SKIP_1) | instid1(VALU_DEP_1)
	v_subrev_nc_u32_e32 v50, 29, v49
	v_sub_nc_u32_e32 v49, 30, v49
	v_dual_cndmask_b32 v49, v51, v49 :: v_dual_lshlrev_b32 v50, v50, v82
	s_delay_alu instid0(VALU_DEP_1) | instskip(NEXT) | instid1(VALU_DEP_2)
	v_and_b32_e32 v50, 3, v50
	v_lshl_add_u32 v49, v49, 23, 0x37800000
	s_delay_alu instid0(VALU_DEP_2) | instskip(SKIP_1) | instid1(VALU_DEP_2)
	v_cndmask_b32_e32 v48, v48, v50, vcc_lo
	v_and_b32_e32 v50, 0x80000000, v52
	v_lshlrev_b32_e32 v48, 21, v48
	s_delay_alu instid0(VALU_DEP_1)
	v_or3_b32 v48, v50, v49, v48
.LBB6_6910:                             ;   in Loop: Header=BB6_6496 Depth=4
	s_or_b32 exec_lo, exec_lo, s34
	s_waitcnt vmcnt(30) lgkmcnt(30)
	v_and_b32_e32 v52, 0xff, v39
	s_mov_b32 s13, 0
	s_mov_b32 s35, exec_lo
                                        ; implicit-def: $sgpr34
	s_delay_alu instid0(VALU_DEP_1)
	v_cmpx_lt_i16_e32 0x7f, v52
	s_xor_b32 s35, exec_lo, s35
	s_cbranch_execnz .LBB6_7543
; %bb.6911:                             ;   in Loop: Header=BB6_6496 Depth=4
	s_or_saveexec_b32 s35, s35
	v_mov_b32_e32 v49, s34
	s_xor_b32 exec_lo, exec_lo, s35
	s_cbranch_execnz .LBB6_7546
.LBB6_6912:                             ;   in Loop: Header=BB6_6496 Depth=4
	s_or_b32 exec_lo, exec_lo, s35
	s_and_saveexec_b32 s34, s13
	s_cbranch_execz .LBB6_6914
.LBB6_6913:                             ;   in Loop: Header=BB6_6496 Depth=4
	v_lshrrev_b16 v52, 2, v39
	s_delay_alu instid0(VALU_DEP_1) | instskip(NEXT) | instid1(VALU_DEP_1)
	v_and_b32_e32 v52, 31, v52
	v_cmp_eq_u32_e32 vcc_lo, 0, v52
	v_and_b32_e32 v49, 3, v39
	s_delay_alu instid0(VALU_DEP_1) | instskip(NEXT) | instid1(VALU_DEP_1)
	v_clz_i32_u32_e32 v50, v49
	v_min_u32_e32 v50, 32, v50
	s_delay_alu instid0(VALU_DEP_1) | instskip(SKIP_1) | instid1(VALU_DEP_1)
	v_subrev_nc_u32_e32 v51, 29, v50
	v_sub_nc_u32_e32 v50, 30, v50
	v_dual_cndmask_b32 v50, v52, v50 :: v_dual_lshlrev_b32 v51, v51, v39
	v_lshlrev_b32_e32 v39, 24, v39
	s_delay_alu instid0(VALU_DEP_2) | instskip(NEXT) | instid1(VALU_DEP_3)
	v_and_b32_e32 v51, 3, v51
	v_lshl_add_u32 v50, v50, 23, 0x37800000
	s_delay_alu instid0(VALU_DEP_3) | instskip(NEXT) | instid1(VALU_DEP_3)
	v_and_b32_e32 v39, 0x80000000, v39
	v_cndmask_b32_e32 v49, v49, v51, vcc_lo
	s_delay_alu instid0(VALU_DEP_1) | instskip(NEXT) | instid1(VALU_DEP_1)
	v_lshlrev_b32_e32 v49, 21, v49
	v_or3_b32 v49, v39, v50, v49
.LBB6_6914:                             ;   in Loop: Header=BB6_6496 Depth=4
	s_or_b32 exec_lo, exec_lo, s34
	s_delay_alu instid0(VALU_DEP_1) | instskip(SKIP_1) | instid1(VALU_DEP_1)
	v_dual_add_f32 v39, v48, v49 :: v_dual_mov_b32 v82, 0x80
	s_mov_b32 s34, exec_lo
	v_and_b32_e32 v48, 0x7f800000, v39
	s_delay_alu instid0(VALU_DEP_1)
	v_cmpx_ne_u32_e32 0x7f800000, v48
	s_cbranch_execz .LBB6_6922
; %bb.6915:                             ;   in Loop: Header=BB6_6496 Depth=4
	v_mov_b32_e32 v82, 0
	s_mov_b32 s35, exec_lo
	v_cmpx_ne_u32_e32 0, v39
	s_cbranch_execz .LBB6_6921
; %bb.6916:                             ;   in Loop: Header=BB6_6496 Depth=4
	v_bfe_u32 v48, v39, 23, 8
	s_delay_alu instid0(VALU_DEP_1) | instskip(SKIP_1) | instid1(VALU_DEP_2)
	v_sub_nc_u32_e32 v50, 0x70, v48
	v_cmp_gt_u32_e32 vcc_lo, 0x71, v48
	v_dual_cndmask_b32 v50, 0, v50 :: v_dual_and_b32 v49, 0x7fffff, v39
	s_delay_alu instid0(VALU_DEP_1) | instskip(SKIP_2) | instid1(VALU_DEP_4)
	v_or_b32_e32 v51, 0x800000, v49
	v_cmp_eq_u32_e32 vcc_lo, 0, v48
	v_add_nc_u32_e32 v48, 0xffffff91, v48
	v_cndmask_b32_e64 v50, v50, 0x6f, vcc_lo
	s_delay_alu instid0(VALU_DEP_4) | instskip(NEXT) | instid1(VALU_DEP_3)
	v_cndmask_b32_e32 v49, v51, v49, vcc_lo
	v_cndmask_b32_e64 v48, v48, 0xffffff92, vcc_lo
	s_delay_alu instid0(VALU_DEP_3) | instskip(NEXT) | instid1(VALU_DEP_3)
	v_lshl_add_u32 v52, 0x200000, v50, -1
	v_lshrrev_b32_e32 v51, v50, v49
	v_lshlrev_b32_e64 v54, v50, 0x100000
	s_delay_alu instid0(VALU_DEP_3) | instskip(NEXT) | instid1(VALU_DEP_3)
	v_and_b32_e32 v49, v52, v49
	v_bfe_u32 v53, v51, 21, 1
	s_delay_alu instid0(VALU_DEP_2) | instskip(NEXT) | instid1(VALU_DEP_2)
	v_cmp_eq_u32_e64 s13, v49, v54
	v_add_nc_u32_e32 v52, -1, v53
	v_lshrrev_b32_e32 v53, 23, v51
	s_delay_alu instid0(VALU_DEP_2) | instskip(SKIP_1) | instid1(VALU_DEP_3)
	v_cndmask_b32_e64 v49, 0, v52, s13
	v_add_nc_u32_e32 v52, v50, v48
	v_xor_b32_e32 v53, 1, v53
	s_mov_b32 s13, exec_lo
	s_delay_alu instid0(VALU_DEP_3) | instskip(NEXT) | instid1(VALU_DEP_1)
	v_add_nc_u32_e32 v49, v49, v51
	v_and_b32_e32 v48, 0x1fffff, v49
	s_delay_alu instid0(VALU_DEP_1)
	v_add_nc_u32_e32 v49, v48, v51
                                        ; implicit-def: $vgpr48
	v_cmpx_ne_u32_e64 v52, v53
	s_xor_b32 s13, exec_lo, s13
; %bb.6917:                             ;   in Loop: Header=BB6_6496 Depth=4
	s_delay_alu instid0(VALU_DEP_2) | instskip(SKIP_2) | instid1(VALU_DEP_2)
	v_cmp_lt_u32_e32 vcc_lo, 0xffffff, v49
	v_sub_nc_u32_e32 v48, v52, v53
	v_cndmask_b32_e64 v50, 0, 1, vcc_lo
	v_add_co_ci_u32_e32 v48, vcc_lo, 0, v48, vcc_lo
	s_delay_alu instid0(VALU_DEP_2)
	v_lshrrev_b32_e32 v49, v50, v49
; %bb.6918:                             ;   in Loop: Header=BB6_6496 Depth=4
	s_and_not1_saveexec_b32 s13, s13
; %bb.6919:                             ;   in Loop: Header=BB6_6496 Depth=4
	s_delay_alu instid0(VALU_DEP_1)
	v_bfe_u32 v48, v49, 23, 1
; %bb.6920:                             ;   in Loop: Header=BB6_6496 Depth=4
	s_or_b32 exec_lo, exec_lo, s13
	v_lshrrev_b32_e32 v49, 21, v49
	s_delay_alu instid0(VALU_DEP_2) | instskip(SKIP_2) | instid1(VALU_DEP_2)
	v_cmp_gt_i32_e32 vcc_lo, 32, v48
	v_min_i32_e32 v50, 31, v48
	v_lshrrev_b32_e32 v39, 24, v39
	v_dual_cndmask_b32 v49, 3, v49 :: v_dual_lshlrev_b32 v50, 2, v50
	s_delay_alu instid0(VALU_DEP_2) | instskip(NEXT) | instid1(VALU_DEP_2)
	v_and_b32_e32 v39, 0x80, v39
	v_or_b32_e32 v48, v48, v49
	s_delay_alu instid0(VALU_DEP_1) | instskip(SKIP_1) | instid1(VALU_DEP_1)
	v_cmp_ne_u32_e32 vcc_lo, 0, v48
	v_and_b32_e32 v51, 3, v49
	v_or3_b32 v39, v50, v39, v51
	s_delay_alu instid0(VALU_DEP_1)
	v_cndmask_b32_e32 v82, 0, v39, vcc_lo
.LBB6_6921:                             ;   in Loop: Header=BB6_6496 Depth=4
	s_or_b32 exec_lo, exec_lo, s35
.LBB6_6922:                             ;   in Loop: Header=BB6_6496 Depth=4
	s_delay_alu instid0(SALU_CYCLE_1) | instskip(SKIP_3) | instid1(VALU_DEP_1)
	s_or_b32 exec_lo, exec_lo, s34
	v_and_b32_e32 v48, 0xff, v150
	s_mov_b32 s13, 0
	s_mov_b32 s35, exec_lo
                                        ; implicit-def: $sgpr34
	v_cmpx_lt_i16_e32 0x7f, v48
	s_xor_b32 s35, exec_lo, s35
	s_cbranch_execnz .LBB6_7547
; %bb.6923:                             ;   in Loop: Header=BB6_6496 Depth=4
	s_or_saveexec_b32 s35, s35
	v_mov_b32_e32 v39, s34
	s_xor_b32 exec_lo, exec_lo, s35
	s_cbranch_execnz .LBB6_7550
.LBB6_6924:                             ;   in Loop: Header=BB6_6496 Depth=4
	s_or_b32 exec_lo, exec_lo, s35
	s_and_saveexec_b32 s34, s13
	s_cbranch_execz .LBB6_6926
.LBB6_6925:                             ;   in Loop: Header=BB6_6496 Depth=4
	v_lshrrev_b16 v50, 2, v150
	v_lshlrev_b32_e32 v51, 24, v150
	s_delay_alu instid0(VALU_DEP_2) | instskip(NEXT) | instid1(VALU_DEP_1)
	v_and_b32_e32 v50, 31, v50
	v_cmp_eq_u32_e32 vcc_lo, 0, v50
	v_and_b32_e32 v39, 3, v150
	s_delay_alu instid0(VALU_DEP_1) | instskip(NEXT) | instid1(VALU_DEP_1)
	v_clz_i32_u32_e32 v48, v39
	v_min_u32_e32 v48, 32, v48
	s_delay_alu instid0(VALU_DEP_1) | instskip(SKIP_1) | instid1(VALU_DEP_1)
	v_subrev_nc_u32_e32 v49, 29, v48
	v_sub_nc_u32_e32 v48, 30, v48
	v_dual_cndmask_b32 v48, v50, v48 :: v_dual_lshlrev_b32 v49, v49, v150
	s_delay_alu instid0(VALU_DEP_1) | instskip(NEXT) | instid1(VALU_DEP_2)
	v_and_b32_e32 v49, 3, v49
	v_lshl_add_u32 v48, v48, 23, 0x37800000
	s_delay_alu instid0(VALU_DEP_2) | instskip(SKIP_1) | instid1(VALU_DEP_2)
	v_cndmask_b32_e32 v39, v39, v49, vcc_lo
	v_and_b32_e32 v49, 0x80000000, v51
	v_lshlrev_b32_e32 v39, 21, v39
	s_delay_alu instid0(VALU_DEP_1)
	v_or3_b32 v39, v49, v48, v39
.LBB6_6926:                             ;   in Loop: Header=BB6_6496 Depth=4
	s_or_b32 exec_lo, exec_lo, s34
	s_waitcnt vmcnt(29) lgkmcnt(29)
	v_and_b32_e32 v49, 0xff, v38
	s_mov_b32 s13, 0
	s_mov_b32 s35, exec_lo
                                        ; implicit-def: $sgpr34
	s_delay_alu instid0(VALU_DEP_1)
	v_cmpx_lt_i16_e32 0x7f, v49
	s_xor_b32 s35, exec_lo, s35
	s_cbranch_execnz .LBB6_7551
; %bb.6927:                             ;   in Loop: Header=BB6_6496 Depth=4
	s_or_saveexec_b32 s35, s35
	v_mov_b32_e32 v48, s34
	s_xor_b32 exec_lo, exec_lo, s35
	s_cbranch_execnz .LBB6_7554
.LBB6_6928:                             ;   in Loop: Header=BB6_6496 Depth=4
	s_or_b32 exec_lo, exec_lo, s35
	s_and_saveexec_b32 s34, s13
	s_cbranch_execz .LBB6_6930
.LBB6_6929:                             ;   in Loop: Header=BB6_6496 Depth=4
	v_lshrrev_b16 v51, 2, v38
	s_delay_alu instid0(VALU_DEP_1) | instskip(NEXT) | instid1(VALU_DEP_1)
	v_and_b32_e32 v51, 31, v51
	v_cmp_eq_u32_e32 vcc_lo, 0, v51
	v_and_b32_e32 v48, 3, v38
	s_delay_alu instid0(VALU_DEP_1) | instskip(NEXT) | instid1(VALU_DEP_1)
	v_clz_i32_u32_e32 v49, v48
	v_min_u32_e32 v49, 32, v49
	s_delay_alu instid0(VALU_DEP_1) | instskip(SKIP_1) | instid1(VALU_DEP_1)
	v_subrev_nc_u32_e32 v50, 29, v49
	v_sub_nc_u32_e32 v49, 30, v49
	v_dual_cndmask_b32 v49, v51, v49 :: v_dual_lshlrev_b32 v50, v50, v38
	v_lshlrev_b32_e32 v38, 24, v38
	s_delay_alu instid0(VALU_DEP_2) | instskip(NEXT) | instid1(VALU_DEP_3)
	v_and_b32_e32 v50, 3, v50
	v_lshl_add_u32 v49, v49, 23, 0x37800000
	s_delay_alu instid0(VALU_DEP_3) | instskip(NEXT) | instid1(VALU_DEP_3)
	v_and_b32_e32 v38, 0x80000000, v38
	v_cndmask_b32_e32 v48, v48, v50, vcc_lo
	s_delay_alu instid0(VALU_DEP_1) | instskip(NEXT) | instid1(VALU_DEP_1)
	v_lshlrev_b32_e32 v48, 21, v48
	v_or3_b32 v48, v38, v49, v48
.LBB6_6930:                             ;   in Loop: Header=BB6_6496 Depth=4
	s_or_b32 exec_lo, exec_lo, s34
	s_delay_alu instid0(VALU_DEP_1) | instskip(SKIP_2) | instid1(VALU_DEP_2)
	v_add_f32_e32 v38, v39, v48
	v_mov_b32_e32 v150, 0x80
	s_mov_b32 s34, exec_lo
	v_and_b32_e32 v39, 0x7f800000, v38
	s_delay_alu instid0(VALU_DEP_1)
	v_cmpx_ne_u32_e32 0x7f800000, v39
	s_cbranch_execz .LBB6_6938
; %bb.6931:                             ;   in Loop: Header=BB6_6496 Depth=4
	v_mov_b32_e32 v150, 0
	s_mov_b32 s35, exec_lo
	v_cmpx_ne_u32_e32 0, v38
	s_cbranch_execz .LBB6_6937
; %bb.6932:                             ;   in Loop: Header=BB6_6496 Depth=4
	v_bfe_u32 v39, v38, 23, 8
	s_delay_alu instid0(VALU_DEP_1) | instskip(SKIP_1) | instid1(VALU_DEP_2)
	v_sub_nc_u32_e32 v49, 0x70, v39
	v_cmp_gt_u32_e32 vcc_lo, 0x71, v39
	v_dual_cndmask_b32 v49, 0, v49 :: v_dual_and_b32 v48, 0x7fffff, v38
	s_delay_alu instid0(VALU_DEP_1) | instskip(SKIP_2) | instid1(VALU_DEP_4)
	v_or_b32_e32 v50, 0x800000, v48
	v_cmp_eq_u32_e32 vcc_lo, 0, v39
	v_add_nc_u32_e32 v39, 0xffffff91, v39
	v_cndmask_b32_e64 v49, v49, 0x6f, vcc_lo
	s_delay_alu instid0(VALU_DEP_4) | instskip(NEXT) | instid1(VALU_DEP_3)
	v_cndmask_b32_e32 v48, v50, v48, vcc_lo
	v_cndmask_b32_e64 v39, v39, 0xffffff92, vcc_lo
	s_delay_alu instid0(VALU_DEP_3) | instskip(NEXT) | instid1(VALU_DEP_3)
	v_lshl_add_u32 v51, 0x200000, v49, -1
	v_lshrrev_b32_e32 v50, v49, v48
	v_lshlrev_b32_e64 v53, v49, 0x100000
	s_delay_alu instid0(VALU_DEP_4) | instskip(NEXT) | instid1(VALU_DEP_4)
	v_add_nc_u32_e32 v49, v49, v39
	v_and_b32_e32 v48, v51, v48
	s_delay_alu instid0(VALU_DEP_4) | instskip(NEXT) | instid1(VALU_DEP_2)
	v_bfe_u32 v52, v50, 21, 1
	v_cmp_eq_u32_e64 s13, v48, v53
	s_delay_alu instid0(VALU_DEP_2) | instskip(NEXT) | instid1(VALU_DEP_1)
	v_add_nc_u32_e32 v51, -1, v52
	v_cndmask_b32_e64 v48, 0, v51, s13
	v_lshrrev_b32_e32 v51, 23, v50
	s_mov_b32 s13, exec_lo
	s_delay_alu instid0(VALU_DEP_2) | instskip(NEXT) | instid1(VALU_DEP_2)
	v_add_nc_u32_e32 v48, v48, v50
	v_xor_b32_e32 v52, 1, v51
	s_delay_alu instid0(VALU_DEP_2) | instskip(NEXT) | instid1(VALU_DEP_1)
	v_and_b32_e32 v39, 0x1fffff, v48
	v_add_nc_u32_e32 v48, v39, v50
                                        ; implicit-def: $vgpr39
	s_delay_alu instid0(VALU_DEP_3)
	v_cmpx_ne_u32_e64 v49, v52
	s_xor_b32 s13, exec_lo, s13
; %bb.6933:                             ;   in Loop: Header=BB6_6496 Depth=4
	s_delay_alu instid0(VALU_DEP_2) | instskip(SKIP_2) | instid1(VALU_DEP_2)
	v_cmp_lt_u32_e32 vcc_lo, 0xffffff, v48
	v_sub_nc_u32_e32 v39, v49, v52
	v_cndmask_b32_e64 v49, 0, 1, vcc_lo
	v_add_co_ci_u32_e32 v39, vcc_lo, 0, v39, vcc_lo
	s_delay_alu instid0(VALU_DEP_2)
	v_lshrrev_b32_e32 v48, v49, v48
; %bb.6934:                             ;   in Loop: Header=BB6_6496 Depth=4
	s_and_not1_saveexec_b32 s13, s13
; %bb.6935:                             ;   in Loop: Header=BB6_6496 Depth=4
	s_delay_alu instid0(VALU_DEP_1)
	v_bfe_u32 v39, v48, 23, 1
; %bb.6936:                             ;   in Loop: Header=BB6_6496 Depth=4
	s_or_b32 exec_lo, exec_lo, s13
	v_lshrrev_b32_e32 v48, 21, v48
	s_delay_alu instid0(VALU_DEP_2) | instskip(SKIP_2) | instid1(VALU_DEP_4)
	v_cmp_gt_i32_e32 vcc_lo, 32, v39
	v_lshrrev_b32_e32 v38, 24, v38
	v_min_i32_e32 v49, 31, v39
	v_cndmask_b32_e32 v48, 3, v48, vcc_lo
	s_delay_alu instid0(VALU_DEP_3) | instskip(NEXT) | instid1(VALU_DEP_3)
	v_and_b32_e32 v38, 0x80, v38
	v_lshlrev_b32_e32 v49, 2, v49
	s_delay_alu instid0(VALU_DEP_3) | instskip(SKIP_1) | instid1(VALU_DEP_2)
	v_and_b32_e32 v50, 3, v48
	v_or_b32_e32 v39, v39, v48
	v_or3_b32 v38, v49, v38, v50
	s_delay_alu instid0(VALU_DEP_2) | instskip(NEXT) | instid1(VALU_DEP_2)
	v_cmp_ne_u32_e32 vcc_lo, 0, v39
	v_cndmask_b32_e32 v150, 0, v38, vcc_lo
.LBB6_6937:                             ;   in Loop: Header=BB6_6496 Depth=4
	s_or_b32 exec_lo, exec_lo, s35
.LBB6_6938:                             ;   in Loop: Header=BB6_6496 Depth=4
	s_delay_alu instid0(SALU_CYCLE_1) | instskip(SKIP_3) | instid1(VALU_DEP_1)
	s_or_b32 exec_lo, exec_lo, s34
	v_and_b32_e32 v39, 0xff, v163
	s_mov_b32 s13, 0
	s_mov_b32 s35, exec_lo
                                        ; implicit-def: $sgpr34
	v_cmpx_lt_i16_e32 0x7f, v39
	s_xor_b32 s35, exec_lo, s35
	s_cbranch_execnz .LBB6_7555
; %bb.6939:                             ;   in Loop: Header=BB6_6496 Depth=4
	s_or_saveexec_b32 s35, s35
	v_mov_b32_e32 v38, s34
	s_xor_b32 exec_lo, exec_lo, s35
	s_cbranch_execnz .LBB6_7558
.LBB6_6940:                             ;   in Loop: Header=BB6_6496 Depth=4
	s_or_b32 exec_lo, exec_lo, s35
	s_and_saveexec_b32 s34, s13
	s_cbranch_execz .LBB6_6942
.LBB6_6941:                             ;   in Loop: Header=BB6_6496 Depth=4
	v_and_b32_e32 v38, 3, v163
	v_lshrrev_b16 v49, 2, v163
	v_lshlrev_b32_e32 v50, 24, v163
	s_delay_alu instid0(VALU_DEP_3) | instskip(NEXT) | instid1(VALU_DEP_1)
	v_clz_i32_u32_e32 v39, v38
	v_min_u32_e32 v39, 32, v39
	s_delay_alu instid0(VALU_DEP_1) | instskip(SKIP_1) | instid1(VALU_DEP_2)
	v_subrev_nc_u32_e32 v48, 29, v39
	v_sub_nc_u32_e32 v39, 30, v39
	v_lshlrev_b32_e32 v48, v48, v163
	s_delay_alu instid0(VALU_DEP_1) | instskip(SKIP_1) | instid1(VALU_DEP_1)
	v_and_b32_e32 v48, 3, v48
	v_and_b32_e32 v49, 31, v49
	v_cmp_eq_u32_e32 vcc_lo, 0, v49
	s_delay_alu instid0(VALU_DEP_3) | instskip(SKIP_1) | instid1(VALU_DEP_2)
	v_dual_cndmask_b32 v38, v38, v48 :: v_dual_cndmask_b32 v39, v49, v39
	v_and_b32_e32 v48, 0x80000000, v50
	v_lshlrev_b32_e32 v38, 21, v38
	s_delay_alu instid0(VALU_DEP_3) | instskip(NEXT) | instid1(VALU_DEP_1)
	v_lshl_add_u32 v39, v39, 23, 0x37800000
	v_or3_b32 v38, v48, v39, v38
.LBB6_6942:                             ;   in Loop: Header=BB6_6496 Depth=4
	s_or_b32 exec_lo, exec_lo, s34
	s_waitcnt vmcnt(28) lgkmcnt(28)
	v_and_b32_e32 v48, 0xff, v37
	s_mov_b32 s13, 0
	s_mov_b32 s35, exec_lo
                                        ; implicit-def: $sgpr34
	s_delay_alu instid0(VALU_DEP_1)
	v_cmpx_lt_i16_e32 0x7f, v48
	s_xor_b32 s35, exec_lo, s35
	s_cbranch_execnz .LBB6_7559
; %bb.6943:                             ;   in Loop: Header=BB6_6496 Depth=4
	s_or_saveexec_b32 s35, s35
	v_mov_b32_e32 v39, s34
	s_xor_b32 exec_lo, exec_lo, s35
	s_cbranch_execnz .LBB6_7562
.LBB6_6944:                             ;   in Loop: Header=BB6_6496 Depth=4
	s_or_b32 exec_lo, exec_lo, s35
	s_and_saveexec_b32 s34, s13
	s_cbranch_execz .LBB6_6946
.LBB6_6945:                             ;   in Loop: Header=BB6_6496 Depth=4
	v_lshrrev_b16 v50, 2, v37
	s_delay_alu instid0(VALU_DEP_1) | instskip(NEXT) | instid1(VALU_DEP_1)
	v_and_b32_e32 v50, 31, v50
	v_cmp_eq_u32_e32 vcc_lo, 0, v50
	v_and_b32_e32 v39, 3, v37
	s_delay_alu instid0(VALU_DEP_1) | instskip(NEXT) | instid1(VALU_DEP_1)
	v_clz_i32_u32_e32 v48, v39
	v_min_u32_e32 v48, 32, v48
	s_delay_alu instid0(VALU_DEP_1) | instskip(SKIP_1) | instid1(VALU_DEP_1)
	v_subrev_nc_u32_e32 v49, 29, v48
	v_sub_nc_u32_e32 v48, 30, v48
	v_dual_cndmask_b32 v48, v50, v48 :: v_dual_lshlrev_b32 v49, v49, v37
	v_lshlrev_b32_e32 v37, 24, v37
	s_delay_alu instid0(VALU_DEP_2) | instskip(NEXT) | instid1(VALU_DEP_3)
	v_and_b32_e32 v49, 3, v49
	v_lshl_add_u32 v48, v48, 23, 0x37800000
	s_delay_alu instid0(VALU_DEP_3) | instskip(NEXT) | instid1(VALU_DEP_3)
	v_and_b32_e32 v37, 0x80000000, v37
	v_cndmask_b32_e32 v39, v39, v49, vcc_lo
	s_delay_alu instid0(VALU_DEP_1) | instskip(NEXT) | instid1(VALU_DEP_1)
	v_lshlrev_b32_e32 v39, 21, v39
	v_or3_b32 v39, v37, v48, v39
.LBB6_6946:                             ;   in Loop: Header=BB6_6496 Depth=4
	s_or_b32 exec_lo, exec_lo, s34
	s_delay_alu instid0(VALU_DEP_1) | instskip(SKIP_2) | instid1(VALU_DEP_2)
	v_add_f32_e32 v37, v38, v39
	v_mov_b32_e32 v163, 0x80
	s_mov_b32 s34, exec_lo
	v_and_b32_e32 v38, 0x7f800000, v37
	s_delay_alu instid0(VALU_DEP_1)
	v_cmpx_ne_u32_e32 0x7f800000, v38
	s_cbranch_execz .LBB6_6954
; %bb.6947:                             ;   in Loop: Header=BB6_6496 Depth=4
	v_mov_b32_e32 v163, 0
	s_mov_b32 s35, exec_lo
	v_cmpx_ne_u32_e32 0, v37
	s_cbranch_execz .LBB6_6953
; %bb.6948:                             ;   in Loop: Header=BB6_6496 Depth=4
	v_bfe_u32 v38, v37, 23, 8
	s_delay_alu instid0(VALU_DEP_1) | instskip(SKIP_1) | instid1(VALU_DEP_2)
	v_sub_nc_u32_e32 v48, 0x70, v38
	v_cmp_gt_u32_e32 vcc_lo, 0x71, v38
	v_dual_cndmask_b32 v48, 0, v48 :: v_dual_and_b32 v39, 0x7fffff, v37
	s_delay_alu instid0(VALU_DEP_1) | instskip(SKIP_2) | instid1(VALU_DEP_4)
	v_or_b32_e32 v49, 0x800000, v39
	v_cmp_eq_u32_e32 vcc_lo, 0, v38
	v_add_nc_u32_e32 v38, 0xffffff91, v38
	v_cndmask_b32_e64 v48, v48, 0x6f, vcc_lo
	s_delay_alu instid0(VALU_DEP_4) | instskip(NEXT) | instid1(VALU_DEP_3)
	v_cndmask_b32_e32 v39, v49, v39, vcc_lo
	v_cndmask_b32_e64 v38, v38, 0xffffff92, vcc_lo
	s_delay_alu instid0(VALU_DEP_3) | instskip(NEXT) | instid1(VALU_DEP_3)
	v_lshl_add_u32 v49, 0x200000, v48, -1
	v_lshrrev_b32_e32 v50, v48, v39
	v_lshlrev_b32_e64 v52, v48, 0x100000
	s_delay_alu instid0(VALU_DEP_4) | instskip(NEXT) | instid1(VALU_DEP_4)
	v_add_nc_u32_e32 v48, v48, v38
	v_and_b32_e32 v39, v49, v39
	s_delay_alu instid0(VALU_DEP_4) | instskip(NEXT) | instid1(VALU_DEP_2)
	v_bfe_u32 v51, v50, 21, 1
	v_cmp_eq_u32_e64 s13, v39, v52
	s_delay_alu instid0(VALU_DEP_2) | instskip(NEXT) | instid1(VALU_DEP_1)
	v_add_nc_u32_e32 v49, -1, v51
	v_cndmask_b32_e64 v39, 0, v49, s13
	v_lshrrev_b32_e32 v49, 23, v50
	s_mov_b32 s13, exec_lo
	s_delay_alu instid0(VALU_DEP_2) | instskip(NEXT) | instid1(VALU_DEP_2)
	v_add_nc_u32_e32 v39, v39, v50
	v_xor_b32_e32 v49, 1, v49
	s_delay_alu instid0(VALU_DEP_2) | instskip(NEXT) | instid1(VALU_DEP_1)
	v_and_b32_e32 v38, 0x1fffff, v39
	v_add_nc_u32_e32 v39, v38, v50
                                        ; implicit-def: $vgpr38
	s_delay_alu instid0(VALU_DEP_3)
	v_cmpx_ne_u32_e64 v48, v49
	s_xor_b32 s13, exec_lo, s13
; %bb.6949:                             ;   in Loop: Header=BB6_6496 Depth=4
	s_delay_alu instid0(VALU_DEP_2) | instskip(SKIP_2) | instid1(VALU_DEP_2)
	v_cmp_lt_u32_e32 vcc_lo, 0xffffff, v39
	v_sub_nc_u32_e32 v38, v48, v49
	v_cndmask_b32_e64 v48, 0, 1, vcc_lo
	v_add_co_ci_u32_e32 v38, vcc_lo, 0, v38, vcc_lo
	s_delay_alu instid0(VALU_DEP_2)
	v_lshrrev_b32_e32 v39, v48, v39
; %bb.6950:                             ;   in Loop: Header=BB6_6496 Depth=4
	s_and_not1_saveexec_b32 s13, s13
; %bb.6951:                             ;   in Loop: Header=BB6_6496 Depth=4
	s_delay_alu instid0(VALU_DEP_1)
	v_bfe_u32 v38, v39, 23, 1
; %bb.6952:                             ;   in Loop: Header=BB6_6496 Depth=4
	s_or_b32 exec_lo, exec_lo, s13
	v_lshrrev_b32_e32 v39, 21, v39
	s_delay_alu instid0(VALU_DEP_2) | instskip(SKIP_2) | instid1(VALU_DEP_4)
	v_cmp_gt_i32_e32 vcc_lo, 32, v38
	v_lshrrev_b32_e32 v37, 24, v37
	v_min_i32_e32 v48, 31, v38
	v_cndmask_b32_e32 v39, 3, v39, vcc_lo
	s_delay_alu instid0(VALU_DEP_3) | instskip(NEXT) | instid1(VALU_DEP_3)
	v_and_b32_e32 v37, 0x80, v37
	v_lshlrev_b32_e32 v48, 2, v48
	s_delay_alu instid0(VALU_DEP_3) | instskip(SKIP_1) | instid1(VALU_DEP_2)
	v_and_b32_e32 v49, 3, v39
	v_or_b32_e32 v38, v38, v39
	v_or3_b32 v37, v48, v37, v49
	s_delay_alu instid0(VALU_DEP_2) | instskip(NEXT) | instid1(VALU_DEP_2)
	v_cmp_ne_u32_e32 vcc_lo, 0, v38
	v_cndmask_b32_e32 v163, 0, v37, vcc_lo
.LBB6_6953:                             ;   in Loop: Header=BB6_6496 Depth=4
	s_or_b32 exec_lo, exec_lo, s35
.LBB6_6954:                             ;   in Loop: Header=BB6_6496 Depth=4
	s_delay_alu instid0(SALU_CYCLE_1) | instskip(SKIP_3) | instid1(VALU_DEP_1)
	s_or_b32 exec_lo, exec_lo, s34
	v_and_b32_e32 v38, 0xff, v176
	s_mov_b32 s13, 0
	s_mov_b32 s35, exec_lo
                                        ; implicit-def: $sgpr34
	v_cmpx_lt_i16_e32 0x7f, v38
	s_xor_b32 s35, exec_lo, s35
	s_cbranch_execnz .LBB6_7563
; %bb.6955:                             ;   in Loop: Header=BB6_6496 Depth=4
	s_or_saveexec_b32 s35, s35
	v_mov_b32_e32 v37, s34
	s_xor_b32 exec_lo, exec_lo, s35
	s_cbranch_execnz .LBB6_7566
.LBB6_6956:                             ;   in Loop: Header=BB6_6496 Depth=4
	s_or_b32 exec_lo, exec_lo, s35
	s_and_saveexec_b32 s34, s13
	s_cbranch_execz .LBB6_6958
.LBB6_6957:                             ;   in Loop: Header=BB6_6496 Depth=4
	v_lshrrev_b16 v48, 2, v176
	v_lshlrev_b32_e32 v49, 24, v176
	s_delay_alu instid0(VALU_DEP_2) | instskip(NEXT) | instid1(VALU_DEP_1)
	v_and_b32_e32 v48, 31, v48
	v_cmp_eq_u32_e32 vcc_lo, 0, v48
	v_and_b32_e32 v37, 3, v176
	s_delay_alu instid0(VALU_DEP_1) | instskip(NEXT) | instid1(VALU_DEP_1)
	v_clz_i32_u32_e32 v38, v37
	v_min_u32_e32 v38, 32, v38
	s_delay_alu instid0(VALU_DEP_1) | instskip(SKIP_1) | instid1(VALU_DEP_1)
	v_subrev_nc_u32_e32 v39, 29, v38
	v_sub_nc_u32_e32 v38, 30, v38
	v_dual_cndmask_b32 v38, v48, v38 :: v_dual_lshlrev_b32 v39, v39, v176
	s_delay_alu instid0(VALU_DEP_1) | instskip(NEXT) | instid1(VALU_DEP_2)
	v_and_b32_e32 v39, 3, v39
	v_lshl_add_u32 v38, v38, 23, 0x37800000
	s_delay_alu instid0(VALU_DEP_2) | instskip(SKIP_1) | instid1(VALU_DEP_2)
	v_cndmask_b32_e32 v37, v37, v39, vcc_lo
	v_and_b32_e32 v39, 0x80000000, v49
	v_lshlrev_b32_e32 v37, 21, v37
	s_delay_alu instid0(VALU_DEP_1)
	v_or3_b32 v37, v39, v38, v37
.LBB6_6958:                             ;   in Loop: Header=BB6_6496 Depth=4
	s_or_b32 exec_lo, exec_lo, s34
	s_waitcnt vmcnt(27) lgkmcnt(27)
	v_and_b32_e32 v39, 0xff, v36
	s_mov_b32 s13, 0
	s_mov_b32 s35, exec_lo
                                        ; implicit-def: $sgpr34
	s_delay_alu instid0(VALU_DEP_1)
	v_cmpx_lt_i16_e32 0x7f, v39
	s_xor_b32 s35, exec_lo, s35
	s_cbranch_execnz .LBB6_7567
; %bb.6959:                             ;   in Loop: Header=BB6_6496 Depth=4
	s_or_saveexec_b32 s35, s35
	v_mov_b32_e32 v38, s34
	s_xor_b32 exec_lo, exec_lo, s35
	s_cbranch_execnz .LBB6_7570
.LBB6_6960:                             ;   in Loop: Header=BB6_6496 Depth=4
	s_or_b32 exec_lo, exec_lo, s35
	s_and_saveexec_b32 s34, s13
	s_cbranch_execz .LBB6_6962
.LBB6_6961:                             ;   in Loop: Header=BB6_6496 Depth=4
	v_lshrrev_b16 v49, 2, v36
	s_delay_alu instid0(VALU_DEP_1) | instskip(NEXT) | instid1(VALU_DEP_1)
	v_and_b32_e32 v49, 31, v49
	v_cmp_eq_u32_e32 vcc_lo, 0, v49
	v_and_b32_e32 v38, 3, v36
	s_delay_alu instid0(VALU_DEP_1) | instskip(NEXT) | instid1(VALU_DEP_1)
	v_clz_i32_u32_e32 v39, v38
	v_min_u32_e32 v39, 32, v39
	s_delay_alu instid0(VALU_DEP_1) | instskip(SKIP_1) | instid1(VALU_DEP_1)
	v_subrev_nc_u32_e32 v48, 29, v39
	v_sub_nc_u32_e32 v39, 30, v39
	v_dual_cndmask_b32 v39, v49, v39 :: v_dual_lshlrev_b32 v48, v48, v36
	v_lshlrev_b32_e32 v36, 24, v36
	s_delay_alu instid0(VALU_DEP_2) | instskip(NEXT) | instid1(VALU_DEP_3)
	v_and_b32_e32 v48, 3, v48
	v_lshl_add_u32 v39, v39, 23, 0x37800000
	s_delay_alu instid0(VALU_DEP_3) | instskip(NEXT) | instid1(VALU_DEP_3)
	v_and_b32_e32 v36, 0x80000000, v36
	v_cndmask_b32_e32 v38, v38, v48, vcc_lo
	s_delay_alu instid0(VALU_DEP_1) | instskip(NEXT) | instid1(VALU_DEP_1)
	v_lshlrev_b32_e32 v38, 21, v38
	v_or3_b32 v38, v36, v39, v38
.LBB6_6962:                             ;   in Loop: Header=BB6_6496 Depth=4
	s_or_b32 exec_lo, exec_lo, s34
	s_delay_alu instid0(VALU_DEP_1) | instskip(SKIP_2) | instid1(VALU_DEP_2)
	v_add_f32_e32 v36, v37, v38
	v_mov_b32_e32 v176, 0x80
	s_mov_b32 s34, exec_lo
	v_and_b32_e32 v37, 0x7f800000, v36
	s_delay_alu instid0(VALU_DEP_1)
	v_cmpx_ne_u32_e32 0x7f800000, v37
	s_cbranch_execz .LBB6_6970
; %bb.6963:                             ;   in Loop: Header=BB6_6496 Depth=4
	v_mov_b32_e32 v176, 0
	s_mov_b32 s35, exec_lo
	v_cmpx_ne_u32_e32 0, v36
	s_cbranch_execz .LBB6_6969
; %bb.6964:                             ;   in Loop: Header=BB6_6496 Depth=4
	v_bfe_u32 v37, v36, 23, 8
	s_delay_alu instid0(VALU_DEP_1) | instskip(SKIP_1) | instid1(VALU_DEP_2)
	v_sub_nc_u32_e32 v39, 0x70, v37
	v_cmp_gt_u32_e32 vcc_lo, 0x71, v37
	v_dual_cndmask_b32 v39, 0, v39 :: v_dual_and_b32 v38, 0x7fffff, v36
	s_delay_alu instid0(VALU_DEP_1) | instskip(SKIP_2) | instid1(VALU_DEP_4)
	v_or_b32_e32 v48, 0x800000, v38
	v_cmp_eq_u32_e32 vcc_lo, 0, v37
	v_add_nc_u32_e32 v37, 0xffffff91, v37
	v_cndmask_b32_e64 v39, v39, 0x6f, vcc_lo
	s_delay_alu instid0(VALU_DEP_4) | instskip(NEXT) | instid1(VALU_DEP_3)
	v_cndmask_b32_e32 v38, v48, v38, vcc_lo
	v_cndmask_b32_e64 v37, v37, 0xffffff92, vcc_lo
	s_delay_alu instid0(VALU_DEP_3) | instskip(NEXT) | instid1(VALU_DEP_3)
	v_lshl_add_u32 v48, 0x200000, v39, -1
	v_lshrrev_b32_e32 v49, v39, v38
	v_lshlrev_b32_e64 v51, v39, 0x100000
	s_delay_alu instid0(VALU_DEP_4) | instskip(NEXT) | instid1(VALU_DEP_4)
	v_add_nc_u32_e32 v39, v39, v37
	v_and_b32_e32 v38, v48, v38
	s_delay_alu instid0(VALU_DEP_4) | instskip(NEXT) | instid1(VALU_DEP_2)
	v_bfe_u32 v50, v49, 21, 1
	v_cmp_eq_u32_e64 s13, v38, v51
	s_delay_alu instid0(VALU_DEP_2) | instskip(NEXT) | instid1(VALU_DEP_1)
	v_add_nc_u32_e32 v48, -1, v50
	v_cndmask_b32_e64 v38, 0, v48, s13
	v_lshrrev_b32_e32 v48, 23, v49
	s_mov_b32 s13, exec_lo
	s_delay_alu instid0(VALU_DEP_2) | instskip(NEXT) | instid1(VALU_DEP_2)
	v_add_nc_u32_e32 v38, v38, v49
	v_xor_b32_e32 v48, 1, v48
	s_delay_alu instid0(VALU_DEP_2) | instskip(NEXT) | instid1(VALU_DEP_1)
	v_and_b32_e32 v37, 0x1fffff, v38
	v_add_nc_u32_e32 v38, v37, v49
                                        ; implicit-def: $vgpr37
	s_delay_alu instid0(VALU_DEP_3)
	v_cmpx_ne_u32_e64 v39, v48
	s_xor_b32 s13, exec_lo, s13
; %bb.6965:                             ;   in Loop: Header=BB6_6496 Depth=4
	s_delay_alu instid0(VALU_DEP_2) | instskip(SKIP_2) | instid1(VALU_DEP_2)
	v_cmp_lt_u32_e32 vcc_lo, 0xffffff, v38
	v_sub_nc_u32_e32 v37, v39, v48
	v_cndmask_b32_e64 v39, 0, 1, vcc_lo
	v_add_co_ci_u32_e32 v37, vcc_lo, 0, v37, vcc_lo
	s_delay_alu instid0(VALU_DEP_2)
	v_lshrrev_b32_e32 v38, v39, v38
; %bb.6966:                             ;   in Loop: Header=BB6_6496 Depth=4
	s_and_not1_saveexec_b32 s13, s13
; %bb.6967:                             ;   in Loop: Header=BB6_6496 Depth=4
	s_delay_alu instid0(VALU_DEP_1)
	v_bfe_u32 v37, v38, 23, 1
; %bb.6968:                             ;   in Loop: Header=BB6_6496 Depth=4
	s_or_b32 exec_lo, exec_lo, s13
	v_lshrrev_b32_e32 v38, 21, v38
	s_delay_alu instid0(VALU_DEP_2) | instskip(SKIP_2) | instid1(VALU_DEP_4)
	v_cmp_gt_i32_e32 vcc_lo, 32, v37
	v_lshrrev_b32_e32 v36, 24, v36
	v_min_i32_e32 v39, 31, v37
	v_cndmask_b32_e32 v38, 3, v38, vcc_lo
	s_delay_alu instid0(VALU_DEP_3) | instskip(NEXT) | instid1(VALU_DEP_3)
	v_and_b32_e32 v36, 0x80, v36
	v_lshlrev_b32_e32 v39, 2, v39
	s_delay_alu instid0(VALU_DEP_3) | instskip(SKIP_1) | instid1(VALU_DEP_2)
	v_and_b32_e32 v48, 3, v38
	v_or_b32_e32 v37, v37, v38
	v_or3_b32 v36, v39, v36, v48
	s_delay_alu instid0(VALU_DEP_2) | instskip(NEXT) | instid1(VALU_DEP_2)
	v_cmp_ne_u32_e32 vcc_lo, 0, v37
	v_cndmask_b32_e32 v176, 0, v36, vcc_lo
.LBB6_6969:                             ;   in Loop: Header=BB6_6496 Depth=4
	s_or_b32 exec_lo, exec_lo, s35
.LBB6_6970:                             ;   in Loop: Header=BB6_6496 Depth=4
	s_delay_alu instid0(SALU_CYCLE_1) | instskip(SKIP_3) | instid1(VALU_DEP_1)
	s_or_b32 exec_lo, exec_lo, s34
	v_and_b32_e32 v37, 0xff, v181
	s_mov_b32 s13, 0
	s_mov_b32 s35, exec_lo
                                        ; implicit-def: $sgpr34
	v_cmpx_lt_i16_e32 0x7f, v37
	s_xor_b32 s35, exec_lo, s35
	s_cbranch_execnz .LBB6_7571
; %bb.6971:                             ;   in Loop: Header=BB6_6496 Depth=4
	s_or_saveexec_b32 s35, s35
	v_mov_b32_e32 v36, s34
	s_xor_b32 exec_lo, exec_lo, s35
	s_cbranch_execnz .LBB6_7574
.LBB6_6972:                             ;   in Loop: Header=BB6_6496 Depth=4
	s_or_b32 exec_lo, exec_lo, s35
	s_and_saveexec_b32 s34, s13
	s_cbranch_execz .LBB6_6974
.LBB6_6973:                             ;   in Loop: Header=BB6_6496 Depth=4
	v_and_b32_e32 v36, 3, v181
	v_lshrrev_b16 v39, 2, v181
	v_lshlrev_b32_e32 v48, 24, v181
	s_delay_alu instid0(VALU_DEP_3) | instskip(NEXT) | instid1(VALU_DEP_1)
	v_clz_i32_u32_e32 v37, v36
	v_min_u32_e32 v37, 32, v37
	s_delay_alu instid0(VALU_DEP_1) | instskip(SKIP_1) | instid1(VALU_DEP_2)
	v_subrev_nc_u32_e32 v38, 29, v37
	v_sub_nc_u32_e32 v37, 30, v37
	v_lshlrev_b32_e32 v38, v38, v181
	s_delay_alu instid0(VALU_DEP_1) | instskip(SKIP_1) | instid1(VALU_DEP_1)
	v_and_b32_e32 v38, 3, v38
	v_and_b32_e32 v39, 31, v39
	v_cmp_eq_u32_e32 vcc_lo, 0, v39
	s_delay_alu instid0(VALU_DEP_3) | instskip(SKIP_1) | instid1(VALU_DEP_2)
	v_dual_cndmask_b32 v36, v36, v38 :: v_dual_cndmask_b32 v37, v39, v37
	v_and_b32_e32 v38, 0x80000000, v48
	v_lshlrev_b32_e32 v36, 21, v36
	s_delay_alu instid0(VALU_DEP_3) | instskip(NEXT) | instid1(VALU_DEP_1)
	v_lshl_add_u32 v37, v37, 23, 0x37800000
	v_or3_b32 v36, v38, v37, v36
.LBB6_6974:                             ;   in Loop: Header=BB6_6496 Depth=4
	s_or_b32 exec_lo, exec_lo, s34
	s_waitcnt vmcnt(26) lgkmcnt(26)
	v_and_b32_e32 v38, 0xff, v27
	s_mov_b32 s13, 0
	s_mov_b32 s35, exec_lo
                                        ; implicit-def: $sgpr34
	s_delay_alu instid0(VALU_DEP_1)
	v_cmpx_lt_i16_e32 0x7f, v38
	s_xor_b32 s35, exec_lo, s35
	s_cbranch_execnz .LBB6_7575
; %bb.6975:                             ;   in Loop: Header=BB6_6496 Depth=4
	s_or_saveexec_b32 s35, s35
	v_mov_b32_e32 v37, s34
	s_xor_b32 exec_lo, exec_lo, s35
	s_cbranch_execnz .LBB6_7578
.LBB6_6976:                             ;   in Loop: Header=BB6_6496 Depth=4
	s_or_b32 exec_lo, exec_lo, s35
	s_and_saveexec_b32 s34, s13
	s_cbranch_execz .LBB6_6978
.LBB6_6977:                             ;   in Loop: Header=BB6_6496 Depth=4
	v_lshrrev_b16 v48, 2, v27
	s_delay_alu instid0(VALU_DEP_1) | instskip(NEXT) | instid1(VALU_DEP_1)
	v_and_b32_e32 v48, 31, v48
	v_cmp_eq_u32_e32 vcc_lo, 0, v48
	v_and_b32_e32 v37, 3, v27
	s_delay_alu instid0(VALU_DEP_1) | instskip(NEXT) | instid1(VALU_DEP_1)
	v_clz_i32_u32_e32 v38, v37
	v_min_u32_e32 v38, 32, v38
	s_delay_alu instid0(VALU_DEP_1) | instskip(SKIP_1) | instid1(VALU_DEP_1)
	v_subrev_nc_u32_e32 v39, 29, v38
	v_sub_nc_u32_e32 v38, 30, v38
	v_dual_cndmask_b32 v38, v48, v38 :: v_dual_lshlrev_b32 v39, v39, v27
	v_lshlrev_b32_e32 v27, 24, v27
	s_delay_alu instid0(VALU_DEP_2) | instskip(NEXT) | instid1(VALU_DEP_3)
	v_and_b32_e32 v39, 3, v39
	v_lshl_add_u32 v38, v38, 23, 0x37800000
	s_delay_alu instid0(VALU_DEP_3) | instskip(NEXT) | instid1(VALU_DEP_3)
	v_and_b32_e32 v27, 0x80000000, v27
	v_cndmask_b32_e32 v37, v37, v39, vcc_lo
	s_delay_alu instid0(VALU_DEP_1) | instskip(NEXT) | instid1(VALU_DEP_1)
	v_lshlrev_b32_e32 v37, 21, v37
	v_or3_b32 v37, v27, v38, v37
.LBB6_6978:                             ;   in Loop: Header=BB6_6496 Depth=4
	s_or_b32 exec_lo, exec_lo, s34
	s_delay_alu instid0(VALU_DEP_1) | instskip(SKIP_2) | instid1(VALU_DEP_2)
	v_add_f32_e32 v27, v36, v37
	v_mov_b32_e32 v181, 0x80
	s_mov_b32 s34, exec_lo
	v_and_b32_e32 v36, 0x7f800000, v27
	s_delay_alu instid0(VALU_DEP_1)
	v_cmpx_ne_u32_e32 0x7f800000, v36
	s_cbranch_execz .LBB6_6986
; %bb.6979:                             ;   in Loop: Header=BB6_6496 Depth=4
	v_mov_b32_e32 v181, 0
	s_mov_b32 s35, exec_lo
	v_cmpx_ne_u32_e32 0, v27
	s_cbranch_execz .LBB6_6985
; %bb.6980:                             ;   in Loop: Header=BB6_6496 Depth=4
	v_bfe_u32 v36, v27, 23, 8
	s_delay_alu instid0(VALU_DEP_1) | instskip(SKIP_1) | instid1(VALU_DEP_2)
	v_sub_nc_u32_e32 v38, 0x70, v36
	v_cmp_gt_u32_e32 vcc_lo, 0x71, v36
	v_dual_cndmask_b32 v38, 0, v38 :: v_dual_and_b32 v37, 0x7fffff, v27
	s_delay_alu instid0(VALU_DEP_1) | instskip(SKIP_2) | instid1(VALU_DEP_4)
	v_or_b32_e32 v39, 0x800000, v37
	v_cmp_eq_u32_e32 vcc_lo, 0, v36
	v_add_nc_u32_e32 v36, 0xffffff91, v36
	v_cndmask_b32_e64 v38, v38, 0x6f, vcc_lo
	s_delay_alu instid0(VALU_DEP_4) | instskip(NEXT) | instid1(VALU_DEP_3)
	v_cndmask_b32_e32 v37, v39, v37, vcc_lo
	v_cndmask_b32_e64 v36, v36, 0xffffff92, vcc_lo
	s_delay_alu instid0(VALU_DEP_3) | instskip(NEXT) | instid1(VALU_DEP_3)
	v_lshl_add_u32 v39, 0x200000, v38, -1
	v_lshrrev_b32_e32 v48, v38, v37
	v_lshlrev_b32_e64 v50, v38, 0x100000
	s_delay_alu instid0(VALU_DEP_4) | instskip(NEXT) | instid1(VALU_DEP_4)
	v_add_nc_u32_e32 v38, v38, v36
	v_and_b32_e32 v37, v39, v37
	s_delay_alu instid0(VALU_DEP_4) | instskip(NEXT) | instid1(VALU_DEP_2)
	v_bfe_u32 v49, v48, 21, 1
	v_cmp_eq_u32_e64 s13, v37, v50
	s_delay_alu instid0(VALU_DEP_2) | instskip(NEXT) | instid1(VALU_DEP_1)
	v_add_nc_u32_e32 v39, -1, v49
	v_cndmask_b32_e64 v37, 0, v39, s13
	v_lshrrev_b32_e32 v39, 23, v48
	s_mov_b32 s13, exec_lo
	s_delay_alu instid0(VALU_DEP_2) | instskip(NEXT) | instid1(VALU_DEP_2)
	v_add_nc_u32_e32 v37, v37, v48
	v_xor_b32_e32 v39, 1, v39
	s_delay_alu instid0(VALU_DEP_2) | instskip(NEXT) | instid1(VALU_DEP_1)
	v_and_b32_e32 v36, 0x1fffff, v37
	v_add_nc_u32_e32 v37, v36, v48
                                        ; implicit-def: $vgpr36
	s_delay_alu instid0(VALU_DEP_3)
	v_cmpx_ne_u32_e64 v38, v39
	s_xor_b32 s13, exec_lo, s13
; %bb.6981:                             ;   in Loop: Header=BB6_6496 Depth=4
	s_delay_alu instid0(VALU_DEP_2) | instskip(SKIP_2) | instid1(VALU_DEP_2)
	v_cmp_lt_u32_e32 vcc_lo, 0xffffff, v37
	v_sub_nc_u32_e32 v36, v38, v39
	v_cndmask_b32_e64 v38, 0, 1, vcc_lo
	v_add_co_ci_u32_e32 v36, vcc_lo, 0, v36, vcc_lo
	s_delay_alu instid0(VALU_DEP_2)
	v_lshrrev_b32_e32 v37, v38, v37
; %bb.6982:                             ;   in Loop: Header=BB6_6496 Depth=4
	s_and_not1_saveexec_b32 s13, s13
; %bb.6983:                             ;   in Loop: Header=BB6_6496 Depth=4
	s_delay_alu instid0(VALU_DEP_1)
	v_bfe_u32 v36, v37, 23, 1
; %bb.6984:                             ;   in Loop: Header=BB6_6496 Depth=4
	s_or_b32 exec_lo, exec_lo, s13
	v_lshrrev_b32_e32 v37, 21, v37
	s_delay_alu instid0(VALU_DEP_2) | instskip(SKIP_2) | instid1(VALU_DEP_4)
	v_cmp_gt_i32_e32 vcc_lo, 32, v36
	v_lshrrev_b32_e32 v27, 24, v27
	v_min_i32_e32 v38, 31, v36
	v_cndmask_b32_e32 v37, 3, v37, vcc_lo
	s_delay_alu instid0(VALU_DEP_3) | instskip(NEXT) | instid1(VALU_DEP_3)
	v_and_b32_e32 v27, 0x80, v27
	v_lshlrev_b32_e32 v38, 2, v38
	s_delay_alu instid0(VALU_DEP_3) | instskip(SKIP_1) | instid1(VALU_DEP_2)
	v_and_b32_e32 v39, 3, v37
	v_or_b32_e32 v36, v36, v37
	v_or3_b32 v27, v38, v27, v39
	s_delay_alu instid0(VALU_DEP_2) | instskip(NEXT) | instid1(VALU_DEP_2)
	v_cmp_ne_u32_e32 vcc_lo, 0, v36
	v_cndmask_b32_e32 v181, 0, v27, vcc_lo
.LBB6_6985:                             ;   in Loop: Header=BB6_6496 Depth=4
	s_or_b32 exec_lo, exec_lo, s35
.LBB6_6986:                             ;   in Loop: Header=BB6_6496 Depth=4
	s_delay_alu instid0(SALU_CYCLE_1) | instskip(SKIP_3) | instid1(VALU_DEP_1)
	s_or_b32 exec_lo, exec_lo, s34
	v_and_b32_e32 v36, 0xff, v42
	s_mov_b32 s13, 0
	s_mov_b32 s35, exec_lo
                                        ; implicit-def: $sgpr34
	v_cmpx_lt_i16_e32 0x7f, v36
	s_xor_b32 s35, exec_lo, s35
	s_cbranch_execnz .LBB6_7579
; %bb.6987:                             ;   in Loop: Header=BB6_6496 Depth=4
	s_or_saveexec_b32 s35, s35
	v_mov_b32_e32 v27, s34
	s_xor_b32 exec_lo, exec_lo, s35
	s_cbranch_execnz .LBB6_7582
.LBB6_6988:                             ;   in Loop: Header=BB6_6496 Depth=4
	s_or_b32 exec_lo, exec_lo, s35
	s_and_saveexec_b32 s34, s13
	s_cbranch_execz .LBB6_6990
.LBB6_6989:                             ;   in Loop: Header=BB6_6496 Depth=4
	v_lshrrev_b16 v38, 2, v42
	v_lshlrev_b32_e32 v39, 24, v42
	s_delay_alu instid0(VALU_DEP_2) | instskip(NEXT) | instid1(VALU_DEP_1)
	v_and_b32_e32 v38, 31, v38
	v_cmp_eq_u32_e32 vcc_lo, 0, v38
	v_and_b32_e32 v27, 3, v42
	s_delay_alu instid0(VALU_DEP_1) | instskip(NEXT) | instid1(VALU_DEP_1)
	v_clz_i32_u32_e32 v36, v27
	v_min_u32_e32 v36, 32, v36
	s_delay_alu instid0(VALU_DEP_1) | instskip(SKIP_1) | instid1(VALU_DEP_1)
	v_subrev_nc_u32_e32 v37, 29, v36
	v_sub_nc_u32_e32 v36, 30, v36
	v_dual_cndmask_b32 v36, v38, v36 :: v_dual_lshlrev_b32 v37, v37, v42
	s_delay_alu instid0(VALU_DEP_1) | instskip(NEXT) | instid1(VALU_DEP_2)
	v_and_b32_e32 v37, 3, v37
	v_lshl_add_u32 v36, v36, 23, 0x37800000
	s_delay_alu instid0(VALU_DEP_2) | instskip(SKIP_1) | instid1(VALU_DEP_2)
	v_cndmask_b32_e32 v27, v27, v37, vcc_lo
	v_and_b32_e32 v37, 0x80000000, v39
	v_lshlrev_b32_e32 v27, 21, v27
	s_delay_alu instid0(VALU_DEP_1)
	v_or3_b32 v27, v37, v36, v27
.LBB6_6990:                             ;   in Loop: Header=BB6_6496 Depth=4
	s_or_b32 exec_lo, exec_lo, s34
	s_waitcnt vmcnt(25) lgkmcnt(25)
	v_and_b32_e32 v37, 0xff, v26
	s_mov_b32 s13, 0
	s_mov_b32 s35, exec_lo
                                        ; implicit-def: $sgpr34
	s_delay_alu instid0(VALU_DEP_1)
	v_cmpx_lt_i16_e32 0x7f, v37
	s_xor_b32 s35, exec_lo, s35
	s_cbranch_execnz .LBB6_7583
; %bb.6991:                             ;   in Loop: Header=BB6_6496 Depth=4
	s_or_saveexec_b32 s35, s35
	v_mov_b32_e32 v36, s34
	s_xor_b32 exec_lo, exec_lo, s35
	s_cbranch_execnz .LBB6_7586
.LBB6_6992:                             ;   in Loop: Header=BB6_6496 Depth=4
	s_or_b32 exec_lo, exec_lo, s35
	s_and_saveexec_b32 s34, s13
	s_cbranch_execz .LBB6_6994
.LBB6_6993:                             ;   in Loop: Header=BB6_6496 Depth=4
	v_lshrrev_b16 v39, 2, v26
	s_delay_alu instid0(VALU_DEP_1) | instskip(NEXT) | instid1(VALU_DEP_1)
	v_and_b32_e32 v39, 31, v39
	v_cmp_eq_u32_e32 vcc_lo, 0, v39
	v_and_b32_e32 v36, 3, v26
	s_delay_alu instid0(VALU_DEP_1) | instskip(NEXT) | instid1(VALU_DEP_1)
	v_clz_i32_u32_e32 v37, v36
	v_min_u32_e32 v37, 32, v37
	s_delay_alu instid0(VALU_DEP_1) | instskip(SKIP_1) | instid1(VALU_DEP_1)
	v_subrev_nc_u32_e32 v38, 29, v37
	v_sub_nc_u32_e32 v37, 30, v37
	v_dual_cndmask_b32 v37, v39, v37 :: v_dual_lshlrev_b32 v38, v38, v26
	v_lshlrev_b32_e32 v26, 24, v26
	s_delay_alu instid0(VALU_DEP_2) | instskip(NEXT) | instid1(VALU_DEP_3)
	v_and_b32_e32 v38, 3, v38
	v_lshl_add_u32 v37, v37, 23, 0x37800000
	s_delay_alu instid0(VALU_DEP_3) | instskip(NEXT) | instid1(VALU_DEP_3)
	v_and_b32_e32 v26, 0x80000000, v26
	v_cndmask_b32_e32 v36, v36, v38, vcc_lo
	s_delay_alu instid0(VALU_DEP_1) | instskip(NEXT) | instid1(VALU_DEP_1)
	v_lshlrev_b32_e32 v36, 21, v36
	v_or3_b32 v36, v26, v37, v36
.LBB6_6994:                             ;   in Loop: Header=BB6_6496 Depth=4
	s_or_b32 exec_lo, exec_lo, s34
	s_delay_alu instid0(VALU_DEP_1) | instskip(SKIP_2) | instid1(VALU_DEP_2)
	v_add_f32_e32 v26, v27, v36
	v_mov_b32_e32 v42, 0x80
	s_mov_b32 s34, exec_lo
	v_and_b32_e32 v27, 0x7f800000, v26
	s_delay_alu instid0(VALU_DEP_1)
	v_cmpx_ne_u32_e32 0x7f800000, v27
	s_cbranch_execz .LBB6_7002
; %bb.6995:                             ;   in Loop: Header=BB6_6496 Depth=4
	v_mov_b32_e32 v42, 0
	s_mov_b32 s35, exec_lo
	v_cmpx_ne_u32_e32 0, v26
	s_cbranch_execz .LBB6_7001
; %bb.6996:                             ;   in Loop: Header=BB6_6496 Depth=4
	v_bfe_u32 v27, v26, 23, 8
	s_delay_alu instid0(VALU_DEP_1) | instskip(SKIP_1) | instid1(VALU_DEP_2)
	v_sub_nc_u32_e32 v37, 0x70, v27
	v_cmp_gt_u32_e32 vcc_lo, 0x71, v27
	v_dual_cndmask_b32 v37, 0, v37 :: v_dual_and_b32 v36, 0x7fffff, v26
	s_delay_alu instid0(VALU_DEP_1) | instskip(SKIP_2) | instid1(VALU_DEP_4)
	v_or_b32_e32 v38, 0x800000, v36
	v_cmp_eq_u32_e32 vcc_lo, 0, v27
	v_add_nc_u32_e32 v27, 0xffffff91, v27
	v_cndmask_b32_e64 v37, v37, 0x6f, vcc_lo
	s_delay_alu instid0(VALU_DEP_4) | instskip(NEXT) | instid1(VALU_DEP_3)
	v_cndmask_b32_e32 v36, v38, v36, vcc_lo
	v_cndmask_b32_e64 v27, v27, 0xffffff92, vcc_lo
	s_delay_alu instid0(VALU_DEP_3) | instskip(NEXT) | instid1(VALU_DEP_3)
	v_lshl_add_u32 v38, 0x200000, v37, -1
	v_lshrrev_b32_e32 v39, v37, v36
	v_lshlrev_b32_e64 v49, v37, 0x100000
	s_delay_alu instid0(VALU_DEP_4) | instskip(NEXT) | instid1(VALU_DEP_4)
	v_add_nc_u32_e32 v37, v37, v27
	v_and_b32_e32 v36, v38, v36
	s_delay_alu instid0(VALU_DEP_4) | instskip(NEXT) | instid1(VALU_DEP_2)
	v_bfe_u32 v48, v39, 21, 1
	v_cmp_eq_u32_e64 s13, v36, v49
	s_delay_alu instid0(VALU_DEP_2) | instskip(NEXT) | instid1(VALU_DEP_1)
	v_add_nc_u32_e32 v38, -1, v48
	v_cndmask_b32_e64 v36, 0, v38, s13
	v_lshrrev_b32_e32 v38, 23, v39
	s_mov_b32 s13, exec_lo
	s_delay_alu instid0(VALU_DEP_2) | instskip(NEXT) | instid1(VALU_DEP_2)
	v_add_nc_u32_e32 v36, v36, v39
	v_xor_b32_e32 v38, 1, v38
	s_delay_alu instid0(VALU_DEP_2) | instskip(NEXT) | instid1(VALU_DEP_1)
	v_and_b32_e32 v27, 0x1fffff, v36
	v_add_nc_u32_e32 v36, v27, v39
                                        ; implicit-def: $vgpr27
	s_delay_alu instid0(VALU_DEP_3)
	v_cmpx_ne_u32_e64 v37, v38
	s_xor_b32 s13, exec_lo, s13
; %bb.6997:                             ;   in Loop: Header=BB6_6496 Depth=4
	s_delay_alu instid0(VALU_DEP_2) | instskip(SKIP_2) | instid1(VALU_DEP_2)
	v_cmp_lt_u32_e32 vcc_lo, 0xffffff, v36
	v_sub_nc_u32_e32 v27, v37, v38
	v_cndmask_b32_e64 v37, 0, 1, vcc_lo
	v_add_co_ci_u32_e32 v27, vcc_lo, 0, v27, vcc_lo
	s_delay_alu instid0(VALU_DEP_2)
	v_lshrrev_b32_e32 v36, v37, v36
; %bb.6998:                             ;   in Loop: Header=BB6_6496 Depth=4
	s_and_not1_saveexec_b32 s13, s13
; %bb.6999:                             ;   in Loop: Header=BB6_6496 Depth=4
	s_delay_alu instid0(VALU_DEP_1)
	v_bfe_u32 v27, v36, 23, 1
; %bb.7000:                             ;   in Loop: Header=BB6_6496 Depth=4
	s_or_b32 exec_lo, exec_lo, s13
	v_lshrrev_b32_e32 v36, 21, v36
	s_delay_alu instid0(VALU_DEP_2) | instskip(SKIP_2) | instid1(VALU_DEP_4)
	v_cmp_gt_i32_e32 vcc_lo, 32, v27
	v_lshrrev_b32_e32 v26, 24, v26
	v_min_i32_e32 v37, 31, v27
	v_cndmask_b32_e32 v36, 3, v36, vcc_lo
	s_delay_alu instid0(VALU_DEP_3) | instskip(NEXT) | instid1(VALU_DEP_3)
	v_and_b32_e32 v26, 0x80, v26
	v_lshlrev_b32_e32 v37, 2, v37
	s_delay_alu instid0(VALU_DEP_3) | instskip(SKIP_1) | instid1(VALU_DEP_2)
	v_and_b32_e32 v38, 3, v36
	v_or_b32_e32 v27, v27, v36
	v_or3_b32 v26, v37, v26, v38
	s_delay_alu instid0(VALU_DEP_2) | instskip(NEXT) | instid1(VALU_DEP_2)
	v_cmp_ne_u32_e32 vcc_lo, 0, v27
	v_cndmask_b32_e32 v42, 0, v26, vcc_lo
.LBB6_7001:                             ;   in Loop: Header=BB6_6496 Depth=4
	s_or_b32 exec_lo, exec_lo, s35
.LBB6_7002:                             ;   in Loop: Header=BB6_6496 Depth=4
	s_delay_alu instid0(SALU_CYCLE_1) | instskip(SKIP_3) | instid1(VALU_DEP_1)
	s_or_b32 exec_lo, exec_lo, s34
	v_and_b32_e32 v27, 0xff, v47
	s_mov_b32 s13, 0
	s_mov_b32 s35, exec_lo
                                        ; implicit-def: $sgpr34
	v_cmpx_lt_i16_e32 0x7f, v27
	s_xor_b32 s35, exec_lo, s35
	s_cbranch_execnz .LBB6_7587
; %bb.7003:                             ;   in Loop: Header=BB6_6496 Depth=4
	s_or_saveexec_b32 s35, s35
	v_mov_b32_e32 v26, s34
	s_xor_b32 exec_lo, exec_lo, s35
	s_cbranch_execnz .LBB6_7590
.LBB6_7004:                             ;   in Loop: Header=BB6_6496 Depth=4
	s_or_b32 exec_lo, exec_lo, s35
	s_and_saveexec_b32 s34, s13
	s_cbranch_execz .LBB6_7006
.LBB6_7005:                             ;   in Loop: Header=BB6_6496 Depth=4
	v_and_b32_e32 v26, 3, v47
	v_lshrrev_b16 v37, 2, v47
	v_lshlrev_b32_e32 v38, 24, v47
	s_delay_alu instid0(VALU_DEP_3) | instskip(NEXT) | instid1(VALU_DEP_1)
	v_clz_i32_u32_e32 v27, v26
	v_min_u32_e32 v27, 32, v27
	s_delay_alu instid0(VALU_DEP_1) | instskip(SKIP_1) | instid1(VALU_DEP_2)
	v_subrev_nc_u32_e32 v36, 29, v27
	v_sub_nc_u32_e32 v27, 30, v27
	v_lshlrev_b32_e32 v36, v36, v47
	s_delay_alu instid0(VALU_DEP_1) | instskip(SKIP_1) | instid1(VALU_DEP_1)
	v_and_b32_e32 v36, 3, v36
	v_and_b32_e32 v37, 31, v37
	v_cmp_eq_u32_e32 vcc_lo, 0, v37
	s_delay_alu instid0(VALU_DEP_3) | instskip(SKIP_1) | instid1(VALU_DEP_2)
	v_dual_cndmask_b32 v26, v26, v36 :: v_dual_cndmask_b32 v27, v37, v27
	v_and_b32_e32 v36, 0x80000000, v38
	v_lshlrev_b32_e32 v26, 21, v26
	s_delay_alu instid0(VALU_DEP_3) | instskip(NEXT) | instid1(VALU_DEP_1)
	v_lshl_add_u32 v27, v27, 23, 0x37800000
	v_or3_b32 v26, v36, v27, v26
.LBB6_7006:                             ;   in Loop: Header=BB6_6496 Depth=4
	s_or_b32 exec_lo, exec_lo, s34
	s_waitcnt vmcnt(24) lgkmcnt(24)
	v_and_b32_e32 v36, 0xff, v75
	s_mov_b32 s13, 0
	s_mov_b32 s35, exec_lo
                                        ; implicit-def: $sgpr34
	s_delay_alu instid0(VALU_DEP_1)
	v_cmpx_lt_i16_e32 0x7f, v36
	s_xor_b32 s35, exec_lo, s35
	s_cbranch_execnz .LBB6_7591
; %bb.7007:                             ;   in Loop: Header=BB6_6496 Depth=4
	s_or_saveexec_b32 s35, s35
	v_mov_b32_e32 v27, s34
	s_xor_b32 exec_lo, exec_lo, s35
	s_cbranch_execnz .LBB6_7594
.LBB6_7008:                             ;   in Loop: Header=BB6_6496 Depth=4
	s_or_b32 exec_lo, exec_lo, s35
	s_and_saveexec_b32 s34, s13
	s_cbranch_execz .LBB6_7010
.LBB6_7009:                             ;   in Loop: Header=BB6_6496 Depth=4
	v_lshrrev_b16 v38, 2, v75
	v_lshlrev_b32_e32 v39, 24, v75
	s_delay_alu instid0(VALU_DEP_2) | instskip(NEXT) | instid1(VALU_DEP_1)
	v_and_b32_e32 v38, 31, v38
	v_cmp_eq_u32_e32 vcc_lo, 0, v38
	v_and_b32_e32 v27, 3, v75
	s_delay_alu instid0(VALU_DEP_1) | instskip(NEXT) | instid1(VALU_DEP_1)
	v_clz_i32_u32_e32 v36, v27
	v_min_u32_e32 v36, 32, v36
	s_delay_alu instid0(VALU_DEP_1) | instskip(SKIP_1) | instid1(VALU_DEP_1)
	v_subrev_nc_u32_e32 v37, 29, v36
	v_sub_nc_u32_e32 v36, 30, v36
	v_dual_cndmask_b32 v36, v38, v36 :: v_dual_lshlrev_b32 v37, v37, v75
	s_delay_alu instid0(VALU_DEP_1) | instskip(NEXT) | instid1(VALU_DEP_2)
	v_and_b32_e32 v37, 3, v37
	v_lshl_add_u32 v36, v36, 23, 0x37800000
	s_delay_alu instid0(VALU_DEP_2) | instskip(SKIP_1) | instid1(VALU_DEP_2)
	v_cndmask_b32_e32 v27, v27, v37, vcc_lo
	v_and_b32_e32 v37, 0x80000000, v39
	v_lshlrev_b32_e32 v27, 21, v27
	s_delay_alu instid0(VALU_DEP_1)
	v_or3_b32 v27, v37, v36, v27
.LBB6_7010:                             ;   in Loop: Header=BB6_6496 Depth=4
	s_or_b32 exec_lo, exec_lo, s34
	s_delay_alu instid0(VALU_DEP_1) | instskip(SKIP_1) | instid1(VALU_DEP_1)
	v_dual_add_f32 v26, v26, v27 :: v_dual_mov_b32 v47, 0x80
	s_mov_b32 s34, exec_lo
	v_and_b32_e32 v27, 0x7f800000, v26
	s_delay_alu instid0(VALU_DEP_1)
	v_cmpx_ne_u32_e32 0x7f800000, v27
	s_cbranch_execz .LBB6_7018
; %bb.7011:                             ;   in Loop: Header=BB6_6496 Depth=4
	v_mov_b32_e32 v47, 0
	s_mov_b32 s35, exec_lo
	v_cmpx_ne_u32_e32 0, v26
	s_cbranch_execz .LBB6_7017
; %bb.7012:                             ;   in Loop: Header=BB6_6496 Depth=4
	v_bfe_u32 v27, v26, 23, 8
	s_delay_alu instid0(VALU_DEP_1) | instskip(SKIP_1) | instid1(VALU_DEP_2)
	v_sub_nc_u32_e32 v37, 0x70, v27
	v_cmp_gt_u32_e32 vcc_lo, 0x71, v27
	v_dual_cndmask_b32 v37, 0, v37 :: v_dual_and_b32 v36, 0x7fffff, v26
	s_delay_alu instid0(VALU_DEP_1) | instskip(SKIP_2) | instid1(VALU_DEP_4)
	v_or_b32_e32 v38, 0x800000, v36
	v_cmp_eq_u32_e32 vcc_lo, 0, v27
	v_add_nc_u32_e32 v27, 0xffffff91, v27
	v_cndmask_b32_e64 v37, v37, 0x6f, vcc_lo
	s_delay_alu instid0(VALU_DEP_4) | instskip(NEXT) | instid1(VALU_DEP_3)
	v_cndmask_b32_e32 v36, v38, v36, vcc_lo
	v_cndmask_b32_e64 v27, v27, 0xffffff92, vcc_lo
	s_delay_alu instid0(VALU_DEP_3) | instskip(NEXT) | instid1(VALU_DEP_3)
	v_lshl_add_u32 v38, 0x200000, v37, -1
	v_lshrrev_b32_e32 v39, v37, v36
	v_lshlrev_b32_e64 v49, v37, 0x100000
	s_delay_alu instid0(VALU_DEP_4) | instskip(NEXT) | instid1(VALU_DEP_4)
	v_add_nc_u32_e32 v37, v37, v27
	v_and_b32_e32 v36, v38, v36
	s_delay_alu instid0(VALU_DEP_4) | instskip(NEXT) | instid1(VALU_DEP_2)
	v_bfe_u32 v48, v39, 21, 1
	v_cmp_eq_u32_e64 s13, v36, v49
	s_delay_alu instid0(VALU_DEP_2) | instskip(NEXT) | instid1(VALU_DEP_1)
	v_add_nc_u32_e32 v38, -1, v48
	v_cndmask_b32_e64 v36, 0, v38, s13
	v_lshrrev_b32_e32 v38, 23, v39
	s_mov_b32 s13, exec_lo
	s_delay_alu instid0(VALU_DEP_2) | instskip(NEXT) | instid1(VALU_DEP_2)
	v_add_nc_u32_e32 v36, v36, v39
	v_xor_b32_e32 v38, 1, v38
	s_delay_alu instid0(VALU_DEP_2) | instskip(NEXT) | instid1(VALU_DEP_1)
	v_and_b32_e32 v27, 0x1fffff, v36
	v_add_nc_u32_e32 v36, v27, v39
                                        ; implicit-def: $vgpr27
	s_delay_alu instid0(VALU_DEP_3)
	v_cmpx_ne_u32_e64 v37, v38
	s_xor_b32 s13, exec_lo, s13
; %bb.7013:                             ;   in Loop: Header=BB6_6496 Depth=4
	s_delay_alu instid0(VALU_DEP_2) | instskip(SKIP_2) | instid1(VALU_DEP_2)
	v_cmp_lt_u32_e32 vcc_lo, 0xffffff, v36
	v_sub_nc_u32_e32 v27, v37, v38
	v_cndmask_b32_e64 v37, 0, 1, vcc_lo
	v_add_co_ci_u32_e32 v27, vcc_lo, 0, v27, vcc_lo
	s_delay_alu instid0(VALU_DEP_2)
	v_lshrrev_b32_e32 v36, v37, v36
; %bb.7014:                             ;   in Loop: Header=BB6_6496 Depth=4
	s_and_not1_saveexec_b32 s13, s13
; %bb.7015:                             ;   in Loop: Header=BB6_6496 Depth=4
	s_delay_alu instid0(VALU_DEP_1)
	v_bfe_u32 v27, v36, 23, 1
; %bb.7016:                             ;   in Loop: Header=BB6_6496 Depth=4
	s_or_b32 exec_lo, exec_lo, s13
	v_lshrrev_b32_e32 v36, 21, v36
	s_delay_alu instid0(VALU_DEP_2) | instskip(SKIP_2) | instid1(VALU_DEP_2)
	v_cmp_gt_i32_e32 vcc_lo, 32, v27
	v_min_i32_e32 v37, 31, v27
	v_lshrrev_b32_e32 v26, 24, v26
	v_dual_cndmask_b32 v36, 3, v36 :: v_dual_lshlrev_b32 v37, 2, v37
	s_delay_alu instid0(VALU_DEP_2) | instskip(NEXT) | instid1(VALU_DEP_2)
	v_and_b32_e32 v26, 0x80, v26
	v_or_b32_e32 v27, v27, v36
	s_delay_alu instid0(VALU_DEP_1) | instskip(SKIP_1) | instid1(VALU_DEP_1)
	v_cmp_ne_u32_e32 vcc_lo, 0, v27
	v_and_b32_e32 v38, 3, v36
	v_or3_b32 v26, v37, v26, v38
	s_delay_alu instid0(VALU_DEP_1)
	v_cndmask_b32_e32 v47, 0, v26, vcc_lo
.LBB6_7017:                             ;   in Loop: Header=BB6_6496 Depth=4
	s_or_b32 exec_lo, exec_lo, s35
.LBB6_7018:                             ;   in Loop: Header=BB6_6496 Depth=4
	s_delay_alu instid0(SALU_CYCLE_1) | instskip(SKIP_3) | instid1(VALU_DEP_1)
	s_or_b32 exec_lo, exec_lo, s34
	v_and_b32_e32 v27, 0xff, v56
	s_mov_b32 s13, 0
	s_mov_b32 s35, exec_lo
                                        ; implicit-def: $sgpr34
	v_cmpx_lt_i16_e32 0x7f, v27
	s_xor_b32 s35, exec_lo, s35
	s_cbranch_execnz .LBB6_7595
; %bb.7019:                             ;   in Loop: Header=BB6_6496 Depth=4
	s_or_saveexec_b32 s35, s35
	v_mov_b32_e32 v26, s34
	s_xor_b32 exec_lo, exec_lo, s35
	s_cbranch_execnz .LBB6_7598
.LBB6_7020:                             ;   in Loop: Header=BB6_6496 Depth=4
	s_or_b32 exec_lo, exec_lo, s35
	s_and_saveexec_b32 s34, s13
	s_cbranch_execz .LBB6_7022
.LBB6_7021:                             ;   in Loop: Header=BB6_6496 Depth=4
	v_lshrrev_b16 v37, 2, v56
	v_lshlrev_b32_e32 v38, 24, v56
	s_delay_alu instid0(VALU_DEP_2) | instskip(NEXT) | instid1(VALU_DEP_1)
	v_and_b32_e32 v37, 31, v37
	v_cmp_eq_u32_e32 vcc_lo, 0, v37
	v_and_b32_e32 v26, 3, v56
	s_delay_alu instid0(VALU_DEP_1) | instskip(NEXT) | instid1(VALU_DEP_1)
	v_clz_i32_u32_e32 v27, v26
	v_min_u32_e32 v27, 32, v27
	s_delay_alu instid0(VALU_DEP_1) | instskip(SKIP_1) | instid1(VALU_DEP_1)
	v_subrev_nc_u32_e32 v36, 29, v27
	v_sub_nc_u32_e32 v27, 30, v27
	v_dual_cndmask_b32 v27, v37, v27 :: v_dual_lshlrev_b32 v36, v36, v56
	s_delay_alu instid0(VALU_DEP_1) | instskip(NEXT) | instid1(VALU_DEP_2)
	v_and_b32_e32 v36, 3, v36
	v_lshl_add_u32 v27, v27, 23, 0x37800000
	s_delay_alu instid0(VALU_DEP_2) | instskip(SKIP_1) | instid1(VALU_DEP_2)
	v_cndmask_b32_e32 v26, v26, v36, vcc_lo
	v_and_b32_e32 v36, 0x80000000, v38
	v_lshlrev_b32_e32 v26, 21, v26
	s_delay_alu instid0(VALU_DEP_1)
	v_or3_b32 v26, v36, v27, v26
.LBB6_7022:                             ;   in Loop: Header=BB6_6496 Depth=4
	s_or_b32 exec_lo, exec_lo, s34
	s_waitcnt vmcnt(23) lgkmcnt(23)
	v_and_b32_e32 v36, 0xff, v73
	s_mov_b32 s13, 0
	s_mov_b32 s35, exec_lo
                                        ; implicit-def: $sgpr34
	s_delay_alu instid0(VALU_DEP_1)
	v_cmpx_lt_i16_e32 0x7f, v36
	s_xor_b32 s35, exec_lo, s35
	s_cbranch_execnz .LBB6_7599
; %bb.7023:                             ;   in Loop: Header=BB6_6496 Depth=4
	s_or_saveexec_b32 s35, s35
	v_mov_b32_e32 v27, s34
	s_xor_b32 exec_lo, exec_lo, s35
	s_cbranch_execnz .LBB6_7602
.LBB6_7024:                             ;   in Loop: Header=BB6_6496 Depth=4
	s_or_b32 exec_lo, exec_lo, s35
	s_and_saveexec_b32 s34, s13
	s_cbranch_execz .LBB6_7026
.LBB6_7025:                             ;   in Loop: Header=BB6_6496 Depth=4
	v_lshrrev_b16 v38, 2, v73
	v_lshlrev_b32_e32 v39, 24, v73
	s_delay_alu instid0(VALU_DEP_2) | instskip(NEXT) | instid1(VALU_DEP_1)
	v_and_b32_e32 v38, 31, v38
	v_cmp_eq_u32_e32 vcc_lo, 0, v38
	v_and_b32_e32 v27, 3, v73
	s_delay_alu instid0(VALU_DEP_1) | instskip(NEXT) | instid1(VALU_DEP_1)
	v_clz_i32_u32_e32 v36, v27
	v_min_u32_e32 v36, 32, v36
	s_delay_alu instid0(VALU_DEP_1) | instskip(SKIP_1) | instid1(VALU_DEP_1)
	v_subrev_nc_u32_e32 v37, 29, v36
	v_sub_nc_u32_e32 v36, 30, v36
	v_dual_cndmask_b32 v36, v38, v36 :: v_dual_lshlrev_b32 v37, v37, v73
	s_delay_alu instid0(VALU_DEP_1) | instskip(NEXT) | instid1(VALU_DEP_2)
	v_and_b32_e32 v37, 3, v37
	v_lshl_add_u32 v36, v36, 23, 0x37800000
	s_delay_alu instid0(VALU_DEP_2) | instskip(SKIP_1) | instid1(VALU_DEP_2)
	v_cndmask_b32_e32 v27, v27, v37, vcc_lo
	v_and_b32_e32 v37, 0x80000000, v39
	v_lshlrev_b32_e32 v27, 21, v27
	s_delay_alu instid0(VALU_DEP_1)
	v_or3_b32 v27, v37, v36, v27
.LBB6_7026:                             ;   in Loop: Header=BB6_6496 Depth=4
	s_or_b32 exec_lo, exec_lo, s34
	s_delay_alu instid0(VALU_DEP_1) | instskip(SKIP_2) | instid1(VALU_DEP_2)
	v_add_f32_e32 v26, v26, v27
	v_mov_b32_e32 v56, 0x80
	s_mov_b32 s34, exec_lo
	v_and_b32_e32 v27, 0x7f800000, v26
	s_delay_alu instid0(VALU_DEP_1)
	v_cmpx_ne_u32_e32 0x7f800000, v27
	s_cbranch_execz .LBB6_7034
; %bb.7027:                             ;   in Loop: Header=BB6_6496 Depth=4
	v_mov_b32_e32 v56, 0
	s_mov_b32 s35, exec_lo
	v_cmpx_ne_u32_e32 0, v26
	s_cbranch_execz .LBB6_7033
; %bb.7028:                             ;   in Loop: Header=BB6_6496 Depth=4
	v_bfe_u32 v27, v26, 23, 8
	s_delay_alu instid0(VALU_DEP_1) | instskip(SKIP_1) | instid1(VALU_DEP_2)
	v_sub_nc_u32_e32 v37, 0x70, v27
	v_cmp_gt_u32_e32 vcc_lo, 0x71, v27
	v_dual_cndmask_b32 v37, 0, v37 :: v_dual_and_b32 v36, 0x7fffff, v26
	s_delay_alu instid0(VALU_DEP_1) | instskip(SKIP_2) | instid1(VALU_DEP_4)
	v_or_b32_e32 v38, 0x800000, v36
	v_cmp_eq_u32_e32 vcc_lo, 0, v27
	v_add_nc_u32_e32 v27, 0xffffff91, v27
	v_cndmask_b32_e64 v37, v37, 0x6f, vcc_lo
	s_delay_alu instid0(VALU_DEP_4) | instskip(NEXT) | instid1(VALU_DEP_3)
	v_cndmask_b32_e32 v36, v38, v36, vcc_lo
	v_cndmask_b32_e64 v27, v27, 0xffffff92, vcc_lo
	s_delay_alu instid0(VALU_DEP_3) | instskip(NEXT) | instid1(VALU_DEP_3)
	v_lshl_add_u32 v38, 0x200000, v37, -1
	v_lshrrev_b32_e32 v39, v37, v36
	v_lshlrev_b32_e64 v49, v37, 0x100000
	s_delay_alu instid0(VALU_DEP_4) | instskip(NEXT) | instid1(VALU_DEP_4)
	v_add_nc_u32_e32 v37, v37, v27
	v_and_b32_e32 v36, v38, v36
	s_delay_alu instid0(VALU_DEP_4) | instskip(NEXT) | instid1(VALU_DEP_2)
	v_bfe_u32 v48, v39, 21, 1
	v_cmp_eq_u32_e64 s13, v36, v49
	s_delay_alu instid0(VALU_DEP_2) | instskip(NEXT) | instid1(VALU_DEP_1)
	v_add_nc_u32_e32 v38, -1, v48
	v_cndmask_b32_e64 v36, 0, v38, s13
	v_lshrrev_b32_e32 v38, 23, v39
	s_mov_b32 s13, exec_lo
	s_delay_alu instid0(VALU_DEP_2) | instskip(NEXT) | instid1(VALU_DEP_2)
	v_add_nc_u32_e32 v36, v36, v39
	v_xor_b32_e32 v38, 1, v38
	s_delay_alu instid0(VALU_DEP_2) | instskip(NEXT) | instid1(VALU_DEP_1)
	v_and_b32_e32 v27, 0x1fffff, v36
	v_add_nc_u32_e32 v36, v27, v39
                                        ; implicit-def: $vgpr27
	s_delay_alu instid0(VALU_DEP_3)
	v_cmpx_ne_u32_e64 v37, v38
	s_xor_b32 s13, exec_lo, s13
; %bb.7029:                             ;   in Loop: Header=BB6_6496 Depth=4
	s_delay_alu instid0(VALU_DEP_2) | instskip(SKIP_2) | instid1(VALU_DEP_2)
	v_cmp_lt_u32_e32 vcc_lo, 0xffffff, v36
	v_sub_nc_u32_e32 v27, v37, v38
	v_cndmask_b32_e64 v37, 0, 1, vcc_lo
	v_add_co_ci_u32_e32 v27, vcc_lo, 0, v27, vcc_lo
	s_delay_alu instid0(VALU_DEP_2)
	v_lshrrev_b32_e32 v36, v37, v36
; %bb.7030:                             ;   in Loop: Header=BB6_6496 Depth=4
	s_and_not1_saveexec_b32 s13, s13
; %bb.7031:                             ;   in Loop: Header=BB6_6496 Depth=4
	s_delay_alu instid0(VALU_DEP_1)
	v_bfe_u32 v27, v36, 23, 1
; %bb.7032:                             ;   in Loop: Header=BB6_6496 Depth=4
	s_or_b32 exec_lo, exec_lo, s13
	v_lshrrev_b32_e32 v36, 21, v36
	s_delay_alu instid0(VALU_DEP_2) | instskip(SKIP_2) | instid1(VALU_DEP_4)
	v_cmp_gt_i32_e32 vcc_lo, 32, v27
	v_lshrrev_b32_e32 v26, 24, v26
	v_min_i32_e32 v37, 31, v27
	v_cndmask_b32_e32 v36, 3, v36, vcc_lo
	s_delay_alu instid0(VALU_DEP_3) | instskip(NEXT) | instid1(VALU_DEP_3)
	v_and_b32_e32 v26, 0x80, v26
	v_lshlrev_b32_e32 v37, 2, v37
	s_delay_alu instid0(VALU_DEP_3) | instskip(SKIP_1) | instid1(VALU_DEP_2)
	v_and_b32_e32 v38, 3, v36
	v_or_b32_e32 v27, v27, v36
	v_or3_b32 v26, v37, v26, v38
	s_delay_alu instid0(VALU_DEP_2) | instskip(NEXT) | instid1(VALU_DEP_2)
	v_cmp_ne_u32_e32 vcc_lo, 0, v27
	v_cndmask_b32_e32 v56, 0, v26, vcc_lo
.LBB6_7033:                             ;   in Loop: Header=BB6_6496 Depth=4
	s_or_b32 exec_lo, exec_lo, s35
.LBB6_7034:                             ;   in Loop: Header=BB6_6496 Depth=4
	s_delay_alu instid0(SALU_CYCLE_1) | instskip(SKIP_3) | instid1(VALU_DEP_1)
	s_or_b32 exec_lo, exec_lo, s34
	v_and_b32_e32 v27, 0xff, v46
	s_mov_b32 s13, 0
	s_mov_b32 s35, exec_lo
                                        ; implicit-def: $sgpr34
	v_cmpx_lt_i16_e32 0x7f, v27
	s_xor_b32 s35, exec_lo, s35
	s_cbranch_execnz .LBB6_7603
; %bb.7035:                             ;   in Loop: Header=BB6_6496 Depth=4
	s_or_saveexec_b32 s35, s35
	v_mov_b32_e32 v26, s34
	s_xor_b32 exec_lo, exec_lo, s35
	s_cbranch_execnz .LBB6_7606
.LBB6_7036:                             ;   in Loop: Header=BB6_6496 Depth=4
	s_or_b32 exec_lo, exec_lo, s35
	s_and_saveexec_b32 s34, s13
	s_cbranch_execz .LBB6_7038
.LBB6_7037:                             ;   in Loop: Header=BB6_6496 Depth=4
	v_lshrrev_b16 v37, 2, v46
	v_lshlrev_b32_e32 v38, 24, v46
	s_delay_alu instid0(VALU_DEP_2) | instskip(NEXT) | instid1(VALU_DEP_1)
	v_and_b32_e32 v37, 31, v37
	v_cmp_eq_u32_e32 vcc_lo, 0, v37
	v_and_b32_e32 v26, 3, v46
	s_delay_alu instid0(VALU_DEP_1) | instskip(NEXT) | instid1(VALU_DEP_1)
	v_clz_i32_u32_e32 v27, v26
	v_min_u32_e32 v27, 32, v27
	s_delay_alu instid0(VALU_DEP_1) | instskip(SKIP_1) | instid1(VALU_DEP_1)
	v_subrev_nc_u32_e32 v36, 29, v27
	v_sub_nc_u32_e32 v27, 30, v27
	v_dual_cndmask_b32 v27, v37, v27 :: v_dual_lshlrev_b32 v36, v36, v46
	s_delay_alu instid0(VALU_DEP_1) | instskip(NEXT) | instid1(VALU_DEP_2)
	v_and_b32_e32 v36, 3, v36
	v_lshl_add_u32 v27, v27, 23, 0x37800000
	s_delay_alu instid0(VALU_DEP_2) | instskip(SKIP_1) | instid1(VALU_DEP_2)
	v_cndmask_b32_e32 v26, v26, v36, vcc_lo
	v_and_b32_e32 v36, 0x80000000, v38
	v_lshlrev_b32_e32 v26, 21, v26
	s_delay_alu instid0(VALU_DEP_1)
	v_or3_b32 v26, v36, v27, v26
.LBB6_7038:                             ;   in Loop: Header=BB6_6496 Depth=4
	s_or_b32 exec_lo, exec_lo, s34
	s_waitcnt vmcnt(22) lgkmcnt(22)
	v_and_b32_e32 v36, 0xff, v115
	s_mov_b32 s13, 0
	s_mov_b32 s35, exec_lo
                                        ; implicit-def: $sgpr34
	s_delay_alu instid0(VALU_DEP_1)
	v_cmpx_lt_i16_e32 0x7f, v36
	s_xor_b32 s35, exec_lo, s35
	s_cbranch_execnz .LBB6_7607
; %bb.7039:                             ;   in Loop: Header=BB6_6496 Depth=4
	s_or_saveexec_b32 s35, s35
	v_mov_b32_e32 v27, s34
	s_xor_b32 exec_lo, exec_lo, s35
	s_cbranch_execnz .LBB6_7610
.LBB6_7040:                             ;   in Loop: Header=BB6_6496 Depth=4
	s_or_b32 exec_lo, exec_lo, s35
	s_and_saveexec_b32 s34, s13
	s_cbranch_execz .LBB6_7042
.LBB6_7041:                             ;   in Loop: Header=BB6_6496 Depth=4
	v_lshrrev_b16 v38, 2, v115
	v_lshlrev_b32_e32 v39, 24, v115
	s_delay_alu instid0(VALU_DEP_2) | instskip(NEXT) | instid1(VALU_DEP_1)
	v_and_b32_e32 v38, 31, v38
	v_cmp_eq_u32_e32 vcc_lo, 0, v38
	v_and_b32_e32 v27, 3, v115
	s_delay_alu instid0(VALU_DEP_1) | instskip(NEXT) | instid1(VALU_DEP_1)
	v_clz_i32_u32_e32 v36, v27
	v_min_u32_e32 v36, 32, v36
	s_delay_alu instid0(VALU_DEP_1) | instskip(SKIP_1) | instid1(VALU_DEP_1)
	v_subrev_nc_u32_e32 v37, 29, v36
	v_sub_nc_u32_e32 v36, 30, v36
	v_dual_cndmask_b32 v36, v38, v36 :: v_dual_lshlrev_b32 v37, v37, v115
	s_delay_alu instid0(VALU_DEP_1) | instskip(NEXT) | instid1(VALU_DEP_2)
	v_and_b32_e32 v37, 3, v37
	v_lshl_add_u32 v36, v36, 23, 0x37800000
	s_delay_alu instid0(VALU_DEP_2) | instskip(SKIP_1) | instid1(VALU_DEP_2)
	v_cndmask_b32_e32 v27, v27, v37, vcc_lo
	v_and_b32_e32 v37, 0x80000000, v39
	v_lshlrev_b32_e32 v27, 21, v27
	s_delay_alu instid0(VALU_DEP_1)
	v_or3_b32 v27, v37, v36, v27
.LBB6_7042:                             ;   in Loop: Header=BB6_6496 Depth=4
	s_or_b32 exec_lo, exec_lo, s34
	s_delay_alu instid0(VALU_DEP_1) | instskip(SKIP_2) | instid1(VALU_DEP_2)
	v_add_f32_e32 v26, v26, v27
	v_mov_b32_e32 v46, 0x80
	s_mov_b32 s34, exec_lo
	v_and_b32_e32 v27, 0x7f800000, v26
	s_delay_alu instid0(VALU_DEP_1)
	v_cmpx_ne_u32_e32 0x7f800000, v27
	s_cbranch_execz .LBB6_7050
; %bb.7043:                             ;   in Loop: Header=BB6_6496 Depth=4
	v_mov_b32_e32 v46, 0
	s_mov_b32 s35, exec_lo
	v_cmpx_ne_u32_e32 0, v26
	s_cbranch_execz .LBB6_7049
; %bb.7044:                             ;   in Loop: Header=BB6_6496 Depth=4
	v_bfe_u32 v27, v26, 23, 8
	s_delay_alu instid0(VALU_DEP_1) | instskip(SKIP_1) | instid1(VALU_DEP_2)
	v_sub_nc_u32_e32 v37, 0x70, v27
	v_cmp_gt_u32_e32 vcc_lo, 0x71, v27
	v_dual_cndmask_b32 v37, 0, v37 :: v_dual_and_b32 v36, 0x7fffff, v26
	s_delay_alu instid0(VALU_DEP_1) | instskip(SKIP_2) | instid1(VALU_DEP_4)
	v_or_b32_e32 v38, 0x800000, v36
	v_cmp_eq_u32_e32 vcc_lo, 0, v27
	v_add_nc_u32_e32 v27, 0xffffff91, v27
	v_cndmask_b32_e64 v37, v37, 0x6f, vcc_lo
	s_delay_alu instid0(VALU_DEP_4) | instskip(NEXT) | instid1(VALU_DEP_3)
	v_cndmask_b32_e32 v36, v38, v36, vcc_lo
	v_cndmask_b32_e64 v27, v27, 0xffffff92, vcc_lo
	s_delay_alu instid0(VALU_DEP_3) | instskip(NEXT) | instid1(VALU_DEP_3)
	v_lshl_add_u32 v38, 0x200000, v37, -1
	v_lshrrev_b32_e32 v39, v37, v36
	v_lshlrev_b32_e64 v49, v37, 0x100000
	s_delay_alu instid0(VALU_DEP_4) | instskip(NEXT) | instid1(VALU_DEP_4)
	v_add_nc_u32_e32 v37, v37, v27
	v_and_b32_e32 v36, v38, v36
	s_delay_alu instid0(VALU_DEP_4) | instskip(NEXT) | instid1(VALU_DEP_2)
	v_bfe_u32 v48, v39, 21, 1
	v_cmp_eq_u32_e64 s13, v36, v49
	s_delay_alu instid0(VALU_DEP_2) | instskip(NEXT) | instid1(VALU_DEP_1)
	v_add_nc_u32_e32 v38, -1, v48
	v_cndmask_b32_e64 v36, 0, v38, s13
	v_lshrrev_b32_e32 v38, 23, v39
	s_mov_b32 s13, exec_lo
	s_delay_alu instid0(VALU_DEP_2) | instskip(NEXT) | instid1(VALU_DEP_2)
	v_add_nc_u32_e32 v36, v36, v39
	v_xor_b32_e32 v38, 1, v38
	s_delay_alu instid0(VALU_DEP_2) | instskip(NEXT) | instid1(VALU_DEP_1)
	v_and_b32_e32 v27, 0x1fffff, v36
	v_add_nc_u32_e32 v36, v27, v39
                                        ; implicit-def: $vgpr27
	s_delay_alu instid0(VALU_DEP_3)
	v_cmpx_ne_u32_e64 v37, v38
	s_xor_b32 s13, exec_lo, s13
; %bb.7045:                             ;   in Loop: Header=BB6_6496 Depth=4
	s_delay_alu instid0(VALU_DEP_2) | instskip(SKIP_2) | instid1(VALU_DEP_2)
	v_cmp_lt_u32_e32 vcc_lo, 0xffffff, v36
	v_sub_nc_u32_e32 v27, v37, v38
	v_cndmask_b32_e64 v37, 0, 1, vcc_lo
	v_add_co_ci_u32_e32 v27, vcc_lo, 0, v27, vcc_lo
	s_delay_alu instid0(VALU_DEP_2)
	v_lshrrev_b32_e32 v36, v37, v36
; %bb.7046:                             ;   in Loop: Header=BB6_6496 Depth=4
	s_and_not1_saveexec_b32 s13, s13
; %bb.7047:                             ;   in Loop: Header=BB6_6496 Depth=4
	s_delay_alu instid0(VALU_DEP_1)
	v_bfe_u32 v27, v36, 23, 1
; %bb.7048:                             ;   in Loop: Header=BB6_6496 Depth=4
	s_or_b32 exec_lo, exec_lo, s13
	v_lshrrev_b32_e32 v36, 21, v36
	s_delay_alu instid0(VALU_DEP_2) | instskip(SKIP_2) | instid1(VALU_DEP_4)
	v_cmp_gt_i32_e32 vcc_lo, 32, v27
	v_lshrrev_b32_e32 v26, 24, v26
	v_min_i32_e32 v37, 31, v27
	v_cndmask_b32_e32 v36, 3, v36, vcc_lo
	s_delay_alu instid0(VALU_DEP_3) | instskip(NEXT) | instid1(VALU_DEP_3)
	v_and_b32_e32 v26, 0x80, v26
	v_lshlrev_b32_e32 v37, 2, v37
	s_delay_alu instid0(VALU_DEP_3) | instskip(SKIP_1) | instid1(VALU_DEP_2)
	v_and_b32_e32 v38, 3, v36
	v_or_b32_e32 v27, v27, v36
	v_or3_b32 v26, v37, v26, v38
	s_delay_alu instid0(VALU_DEP_2) | instskip(NEXT) | instid1(VALU_DEP_2)
	v_cmp_ne_u32_e32 vcc_lo, 0, v27
	v_cndmask_b32_e32 v46, 0, v26, vcc_lo
.LBB6_7049:                             ;   in Loop: Header=BB6_6496 Depth=4
	s_or_b32 exec_lo, exec_lo, s35
.LBB6_7050:                             ;   in Loop: Header=BB6_6496 Depth=4
	s_delay_alu instid0(SALU_CYCLE_1) | instskip(SKIP_3) | instid1(VALU_DEP_1)
	s_or_b32 exec_lo, exec_lo, s34
	v_and_b32_e32 v27, 0xff, v44
	s_mov_b32 s13, 0
	s_mov_b32 s35, exec_lo
                                        ; implicit-def: $sgpr34
	v_cmpx_lt_i16_e32 0x7f, v27
	s_xor_b32 s35, exec_lo, s35
	s_cbranch_execnz .LBB6_7611
; %bb.7051:                             ;   in Loop: Header=BB6_6496 Depth=4
	s_or_saveexec_b32 s35, s35
	v_mov_b32_e32 v26, s34
	s_xor_b32 exec_lo, exec_lo, s35
	s_cbranch_execnz .LBB6_7614
.LBB6_7052:                             ;   in Loop: Header=BB6_6496 Depth=4
	s_or_b32 exec_lo, exec_lo, s35
	s_and_saveexec_b32 s34, s13
	s_cbranch_execz .LBB6_7054
.LBB6_7053:                             ;   in Loop: Header=BB6_6496 Depth=4
	v_lshrrev_b16 v37, 2, v44
	v_lshlrev_b32_e32 v38, 24, v44
	s_delay_alu instid0(VALU_DEP_2) | instskip(NEXT) | instid1(VALU_DEP_1)
	v_and_b32_e32 v37, 31, v37
	v_cmp_eq_u32_e32 vcc_lo, 0, v37
	v_and_b32_e32 v26, 3, v44
	s_delay_alu instid0(VALU_DEP_1) | instskip(NEXT) | instid1(VALU_DEP_1)
	v_clz_i32_u32_e32 v27, v26
	v_min_u32_e32 v27, 32, v27
	s_delay_alu instid0(VALU_DEP_1) | instskip(SKIP_1) | instid1(VALU_DEP_1)
	v_subrev_nc_u32_e32 v36, 29, v27
	v_sub_nc_u32_e32 v27, 30, v27
	v_dual_cndmask_b32 v27, v37, v27 :: v_dual_lshlrev_b32 v36, v36, v44
	s_delay_alu instid0(VALU_DEP_1) | instskip(NEXT) | instid1(VALU_DEP_2)
	v_and_b32_e32 v36, 3, v36
	v_lshl_add_u32 v27, v27, 23, 0x37800000
	s_delay_alu instid0(VALU_DEP_2) | instskip(SKIP_1) | instid1(VALU_DEP_2)
	v_cndmask_b32_e32 v26, v26, v36, vcc_lo
	v_and_b32_e32 v36, 0x80000000, v38
	v_lshlrev_b32_e32 v26, 21, v26
	s_delay_alu instid0(VALU_DEP_1)
	v_or3_b32 v26, v36, v27, v26
.LBB6_7054:                             ;   in Loop: Header=BB6_6496 Depth=4
	s_or_b32 exec_lo, exec_lo, s34
	s_waitcnt vmcnt(21) lgkmcnt(21)
	v_and_b32_e32 v36, 0xff, v132
	s_mov_b32 s13, 0
	s_mov_b32 s35, exec_lo
                                        ; implicit-def: $sgpr34
	s_delay_alu instid0(VALU_DEP_1)
	v_cmpx_lt_i16_e32 0x7f, v36
	s_xor_b32 s35, exec_lo, s35
	s_cbranch_execnz .LBB6_7615
; %bb.7055:                             ;   in Loop: Header=BB6_6496 Depth=4
	s_or_saveexec_b32 s35, s35
	v_mov_b32_e32 v27, s34
	s_xor_b32 exec_lo, exec_lo, s35
	s_cbranch_execnz .LBB6_7618
.LBB6_7056:                             ;   in Loop: Header=BB6_6496 Depth=4
	s_or_b32 exec_lo, exec_lo, s35
	s_and_saveexec_b32 s34, s13
	s_cbranch_execz .LBB6_7058
.LBB6_7057:                             ;   in Loop: Header=BB6_6496 Depth=4
	v_and_b32_e32 v27, 3, v132
	v_lshrrev_b16 v38, 2, v132
	v_lshlrev_b32_e32 v39, 24, v132
	s_delay_alu instid0(VALU_DEP_3) | instskip(NEXT) | instid1(VALU_DEP_1)
	v_clz_i32_u32_e32 v36, v27
	v_min_u32_e32 v36, 32, v36
	s_delay_alu instid0(VALU_DEP_1) | instskip(SKIP_1) | instid1(VALU_DEP_2)
	v_subrev_nc_u32_e32 v37, 29, v36
	v_sub_nc_u32_e32 v36, 30, v36
	v_lshlrev_b32_e32 v37, v37, v132
	s_delay_alu instid0(VALU_DEP_1) | instskip(SKIP_1) | instid1(VALU_DEP_1)
	v_and_b32_e32 v37, 3, v37
	v_and_b32_e32 v38, 31, v38
	v_cmp_eq_u32_e32 vcc_lo, 0, v38
	s_delay_alu instid0(VALU_DEP_3) | instskip(SKIP_1) | instid1(VALU_DEP_2)
	v_dual_cndmask_b32 v27, v27, v37 :: v_dual_cndmask_b32 v36, v38, v36
	v_and_b32_e32 v37, 0x80000000, v39
	v_lshlrev_b32_e32 v27, 21, v27
	s_delay_alu instid0(VALU_DEP_3) | instskip(NEXT) | instid1(VALU_DEP_1)
	v_lshl_add_u32 v36, v36, 23, 0x37800000
	v_or3_b32 v27, v37, v36, v27
.LBB6_7058:                             ;   in Loop: Header=BB6_6496 Depth=4
	s_or_b32 exec_lo, exec_lo, s34
	s_delay_alu instid0(VALU_DEP_1) | instskip(SKIP_2) | instid1(VALU_DEP_2)
	v_add_f32_e32 v26, v26, v27
	v_mov_b32_e32 v44, 0x80
	s_mov_b32 s34, exec_lo
	v_and_b32_e32 v27, 0x7f800000, v26
	s_delay_alu instid0(VALU_DEP_1)
	v_cmpx_ne_u32_e32 0x7f800000, v27
	s_cbranch_execz .LBB6_7066
; %bb.7059:                             ;   in Loop: Header=BB6_6496 Depth=4
	v_mov_b32_e32 v44, 0
	s_mov_b32 s35, exec_lo
	v_cmpx_ne_u32_e32 0, v26
	s_cbranch_execz .LBB6_7065
; %bb.7060:                             ;   in Loop: Header=BB6_6496 Depth=4
	v_bfe_u32 v27, v26, 23, 8
	s_delay_alu instid0(VALU_DEP_1) | instskip(SKIP_1) | instid1(VALU_DEP_2)
	v_sub_nc_u32_e32 v37, 0x70, v27
	v_cmp_gt_u32_e32 vcc_lo, 0x71, v27
	v_dual_cndmask_b32 v37, 0, v37 :: v_dual_and_b32 v36, 0x7fffff, v26
	s_delay_alu instid0(VALU_DEP_1) | instskip(SKIP_2) | instid1(VALU_DEP_4)
	v_or_b32_e32 v38, 0x800000, v36
	v_cmp_eq_u32_e32 vcc_lo, 0, v27
	v_add_nc_u32_e32 v27, 0xffffff91, v27
	v_cndmask_b32_e64 v37, v37, 0x6f, vcc_lo
	s_delay_alu instid0(VALU_DEP_4) | instskip(NEXT) | instid1(VALU_DEP_3)
	v_cndmask_b32_e32 v36, v38, v36, vcc_lo
	v_cndmask_b32_e64 v27, v27, 0xffffff92, vcc_lo
	s_delay_alu instid0(VALU_DEP_3) | instskip(NEXT) | instid1(VALU_DEP_3)
	v_lshl_add_u32 v38, 0x200000, v37, -1
	v_lshrrev_b32_e32 v39, v37, v36
	v_lshlrev_b32_e64 v49, v37, 0x100000
	s_delay_alu instid0(VALU_DEP_4) | instskip(NEXT) | instid1(VALU_DEP_4)
	v_add_nc_u32_e32 v37, v37, v27
	v_and_b32_e32 v36, v38, v36
	s_delay_alu instid0(VALU_DEP_4) | instskip(NEXT) | instid1(VALU_DEP_2)
	v_bfe_u32 v48, v39, 21, 1
	v_cmp_eq_u32_e64 s13, v36, v49
	s_delay_alu instid0(VALU_DEP_2) | instskip(NEXT) | instid1(VALU_DEP_1)
	v_add_nc_u32_e32 v38, -1, v48
	v_cndmask_b32_e64 v36, 0, v38, s13
	v_lshrrev_b32_e32 v38, 23, v39
	s_mov_b32 s13, exec_lo
	s_delay_alu instid0(VALU_DEP_2) | instskip(NEXT) | instid1(VALU_DEP_2)
	v_add_nc_u32_e32 v36, v36, v39
	v_xor_b32_e32 v38, 1, v38
	s_delay_alu instid0(VALU_DEP_2) | instskip(NEXT) | instid1(VALU_DEP_1)
	v_and_b32_e32 v27, 0x1fffff, v36
	v_add_nc_u32_e32 v36, v27, v39
                                        ; implicit-def: $vgpr27
	s_delay_alu instid0(VALU_DEP_3)
	v_cmpx_ne_u32_e64 v37, v38
	s_xor_b32 s13, exec_lo, s13
; %bb.7061:                             ;   in Loop: Header=BB6_6496 Depth=4
	s_delay_alu instid0(VALU_DEP_2) | instskip(SKIP_2) | instid1(VALU_DEP_2)
	v_cmp_lt_u32_e32 vcc_lo, 0xffffff, v36
	v_sub_nc_u32_e32 v27, v37, v38
	v_cndmask_b32_e64 v37, 0, 1, vcc_lo
	v_add_co_ci_u32_e32 v27, vcc_lo, 0, v27, vcc_lo
	s_delay_alu instid0(VALU_DEP_2)
	v_lshrrev_b32_e32 v36, v37, v36
; %bb.7062:                             ;   in Loop: Header=BB6_6496 Depth=4
	s_and_not1_saveexec_b32 s13, s13
; %bb.7063:                             ;   in Loop: Header=BB6_6496 Depth=4
	s_delay_alu instid0(VALU_DEP_1)
	v_bfe_u32 v27, v36, 23, 1
; %bb.7064:                             ;   in Loop: Header=BB6_6496 Depth=4
	s_or_b32 exec_lo, exec_lo, s13
	v_lshrrev_b32_e32 v36, 21, v36
	s_delay_alu instid0(VALU_DEP_2) | instskip(SKIP_2) | instid1(VALU_DEP_4)
	v_cmp_gt_i32_e32 vcc_lo, 32, v27
	v_lshrrev_b32_e32 v26, 24, v26
	v_min_i32_e32 v37, 31, v27
	v_cndmask_b32_e32 v36, 3, v36, vcc_lo
	s_delay_alu instid0(VALU_DEP_3) | instskip(NEXT) | instid1(VALU_DEP_3)
	v_and_b32_e32 v26, 0x80, v26
	v_lshlrev_b32_e32 v37, 2, v37
	s_delay_alu instid0(VALU_DEP_3) | instskip(SKIP_1) | instid1(VALU_DEP_2)
	v_and_b32_e32 v38, 3, v36
	v_or_b32_e32 v27, v27, v36
	v_or3_b32 v26, v37, v26, v38
	s_delay_alu instid0(VALU_DEP_2) | instskip(NEXT) | instid1(VALU_DEP_2)
	v_cmp_ne_u32_e32 vcc_lo, 0, v27
	v_cndmask_b32_e32 v44, 0, v26, vcc_lo
.LBB6_7065:                             ;   in Loop: Header=BB6_6496 Depth=4
	s_or_b32 exec_lo, exec_lo, s35
.LBB6_7066:                             ;   in Loop: Header=BB6_6496 Depth=4
	s_delay_alu instid0(SALU_CYCLE_1) | instskip(SKIP_3) | instid1(VALU_DEP_1)
	s_or_b32 exec_lo, exec_lo, s34
	v_and_b32_e32 v27, 0xff, v43
	s_mov_b32 s13, 0
	s_mov_b32 s35, exec_lo
                                        ; implicit-def: $sgpr34
	v_cmpx_lt_i16_e32 0x7f, v27
	s_xor_b32 s35, exec_lo, s35
	s_cbranch_execnz .LBB6_7619
; %bb.7067:                             ;   in Loop: Header=BB6_6496 Depth=4
	s_or_saveexec_b32 s35, s35
	v_mov_b32_e32 v26, s34
	s_xor_b32 exec_lo, exec_lo, s35
	s_cbranch_execnz .LBB6_7622
.LBB6_7068:                             ;   in Loop: Header=BB6_6496 Depth=4
	s_or_b32 exec_lo, exec_lo, s35
	s_and_saveexec_b32 s34, s13
	s_cbranch_execz .LBB6_7070
.LBB6_7069:                             ;   in Loop: Header=BB6_6496 Depth=4
	v_and_b32_e32 v26, 3, v43
	v_lshrrev_b16 v37, 2, v43
	v_lshlrev_b32_e32 v38, 24, v43
	s_delay_alu instid0(VALU_DEP_3) | instskip(NEXT) | instid1(VALU_DEP_1)
	v_clz_i32_u32_e32 v27, v26
	v_min_u32_e32 v27, 32, v27
	s_delay_alu instid0(VALU_DEP_1) | instskip(SKIP_1) | instid1(VALU_DEP_2)
	v_subrev_nc_u32_e32 v36, 29, v27
	v_sub_nc_u32_e32 v27, 30, v27
	v_lshlrev_b32_e32 v36, v36, v43
	s_delay_alu instid0(VALU_DEP_1) | instskip(SKIP_1) | instid1(VALU_DEP_1)
	v_and_b32_e32 v36, 3, v36
	v_and_b32_e32 v37, 31, v37
	v_cmp_eq_u32_e32 vcc_lo, 0, v37
	s_delay_alu instid0(VALU_DEP_3) | instskip(SKIP_1) | instid1(VALU_DEP_2)
	v_dual_cndmask_b32 v26, v26, v36 :: v_dual_cndmask_b32 v27, v37, v27
	v_and_b32_e32 v36, 0x80000000, v38
	v_lshlrev_b32_e32 v26, 21, v26
	s_delay_alu instid0(VALU_DEP_3) | instskip(NEXT) | instid1(VALU_DEP_1)
	v_lshl_add_u32 v27, v27, 23, 0x37800000
	v_or3_b32 v26, v36, v27, v26
.LBB6_7070:                             ;   in Loop: Header=BB6_6496 Depth=4
	s_or_b32 exec_lo, exec_lo, s34
	s_waitcnt vmcnt(20) lgkmcnt(20)
	v_and_b32_e32 v36, 0xff, v129
	s_mov_b32 s13, 0
	s_mov_b32 s35, exec_lo
                                        ; implicit-def: $sgpr34
	s_delay_alu instid0(VALU_DEP_1)
	v_cmpx_lt_i16_e32 0x7f, v36
	s_xor_b32 s35, exec_lo, s35
	s_cbranch_execnz .LBB6_7623
; %bb.7071:                             ;   in Loop: Header=BB6_6496 Depth=4
	s_or_saveexec_b32 s35, s35
	v_mov_b32_e32 v27, s34
	s_xor_b32 exec_lo, exec_lo, s35
	s_cbranch_execnz .LBB6_7626
.LBB6_7072:                             ;   in Loop: Header=BB6_6496 Depth=4
	s_or_b32 exec_lo, exec_lo, s35
	s_and_saveexec_b32 s34, s13
	s_cbranch_execz .LBB6_7074
.LBB6_7073:                             ;   in Loop: Header=BB6_6496 Depth=4
	v_lshrrev_b16 v38, 2, v129
	v_lshlrev_b32_e32 v39, 24, v129
	s_delay_alu instid0(VALU_DEP_2) | instskip(NEXT) | instid1(VALU_DEP_1)
	v_and_b32_e32 v38, 31, v38
	v_cmp_eq_u32_e32 vcc_lo, 0, v38
	v_and_b32_e32 v27, 3, v129
	s_delay_alu instid0(VALU_DEP_1) | instskip(NEXT) | instid1(VALU_DEP_1)
	v_clz_i32_u32_e32 v36, v27
	v_min_u32_e32 v36, 32, v36
	s_delay_alu instid0(VALU_DEP_1) | instskip(SKIP_1) | instid1(VALU_DEP_1)
	v_subrev_nc_u32_e32 v37, 29, v36
	v_sub_nc_u32_e32 v36, 30, v36
	v_dual_cndmask_b32 v36, v38, v36 :: v_dual_lshlrev_b32 v37, v37, v129
	s_delay_alu instid0(VALU_DEP_1) | instskip(NEXT) | instid1(VALU_DEP_2)
	v_and_b32_e32 v37, 3, v37
	v_lshl_add_u32 v36, v36, 23, 0x37800000
	s_delay_alu instid0(VALU_DEP_2) | instskip(SKIP_1) | instid1(VALU_DEP_2)
	v_cndmask_b32_e32 v27, v27, v37, vcc_lo
	v_and_b32_e32 v37, 0x80000000, v39
	v_lshlrev_b32_e32 v27, 21, v27
	s_delay_alu instid0(VALU_DEP_1)
	v_or3_b32 v27, v37, v36, v27
.LBB6_7074:                             ;   in Loop: Header=BB6_6496 Depth=4
	s_or_b32 exec_lo, exec_lo, s34
	s_delay_alu instid0(VALU_DEP_1) | instskip(SKIP_1) | instid1(VALU_DEP_1)
	v_dual_add_f32 v26, v26, v27 :: v_dual_mov_b32 v43, 0x80
	s_mov_b32 s34, exec_lo
	v_and_b32_e32 v27, 0x7f800000, v26
	s_delay_alu instid0(VALU_DEP_1)
	v_cmpx_ne_u32_e32 0x7f800000, v27
	s_cbranch_execz .LBB6_7082
; %bb.7075:                             ;   in Loop: Header=BB6_6496 Depth=4
	v_mov_b32_e32 v43, 0
	s_mov_b32 s35, exec_lo
	v_cmpx_ne_u32_e32 0, v26
	s_cbranch_execz .LBB6_7081
; %bb.7076:                             ;   in Loop: Header=BB6_6496 Depth=4
	v_bfe_u32 v27, v26, 23, 8
	s_delay_alu instid0(VALU_DEP_1) | instskip(SKIP_1) | instid1(VALU_DEP_2)
	v_sub_nc_u32_e32 v37, 0x70, v27
	v_cmp_gt_u32_e32 vcc_lo, 0x71, v27
	v_dual_cndmask_b32 v37, 0, v37 :: v_dual_and_b32 v36, 0x7fffff, v26
	s_delay_alu instid0(VALU_DEP_1) | instskip(SKIP_2) | instid1(VALU_DEP_4)
	v_or_b32_e32 v38, 0x800000, v36
	v_cmp_eq_u32_e32 vcc_lo, 0, v27
	v_add_nc_u32_e32 v27, 0xffffff91, v27
	v_cndmask_b32_e64 v37, v37, 0x6f, vcc_lo
	s_delay_alu instid0(VALU_DEP_4) | instskip(NEXT) | instid1(VALU_DEP_3)
	v_cndmask_b32_e32 v36, v38, v36, vcc_lo
	v_cndmask_b32_e64 v27, v27, 0xffffff92, vcc_lo
	s_delay_alu instid0(VALU_DEP_3) | instskip(NEXT) | instid1(VALU_DEP_3)
	v_lshl_add_u32 v38, 0x200000, v37, -1
	v_lshrrev_b32_e32 v39, v37, v36
	v_lshlrev_b32_e64 v49, v37, 0x100000
	s_delay_alu instid0(VALU_DEP_4) | instskip(NEXT) | instid1(VALU_DEP_4)
	v_add_nc_u32_e32 v37, v37, v27
	v_and_b32_e32 v36, v38, v36
	s_delay_alu instid0(VALU_DEP_4) | instskip(NEXT) | instid1(VALU_DEP_2)
	v_bfe_u32 v48, v39, 21, 1
	v_cmp_eq_u32_e64 s13, v36, v49
	s_delay_alu instid0(VALU_DEP_2) | instskip(NEXT) | instid1(VALU_DEP_1)
	v_add_nc_u32_e32 v38, -1, v48
	v_cndmask_b32_e64 v36, 0, v38, s13
	v_lshrrev_b32_e32 v38, 23, v39
	s_mov_b32 s13, exec_lo
	s_delay_alu instid0(VALU_DEP_2) | instskip(NEXT) | instid1(VALU_DEP_2)
	v_add_nc_u32_e32 v36, v36, v39
	v_xor_b32_e32 v38, 1, v38
	s_delay_alu instid0(VALU_DEP_2) | instskip(NEXT) | instid1(VALU_DEP_1)
	v_and_b32_e32 v27, 0x1fffff, v36
	v_add_nc_u32_e32 v36, v27, v39
                                        ; implicit-def: $vgpr27
	s_delay_alu instid0(VALU_DEP_3)
	v_cmpx_ne_u32_e64 v37, v38
	s_xor_b32 s13, exec_lo, s13
; %bb.7077:                             ;   in Loop: Header=BB6_6496 Depth=4
	s_delay_alu instid0(VALU_DEP_2) | instskip(SKIP_2) | instid1(VALU_DEP_2)
	v_cmp_lt_u32_e32 vcc_lo, 0xffffff, v36
	v_sub_nc_u32_e32 v27, v37, v38
	v_cndmask_b32_e64 v37, 0, 1, vcc_lo
	v_add_co_ci_u32_e32 v27, vcc_lo, 0, v27, vcc_lo
	s_delay_alu instid0(VALU_DEP_2)
	v_lshrrev_b32_e32 v36, v37, v36
; %bb.7078:                             ;   in Loop: Header=BB6_6496 Depth=4
	s_and_not1_saveexec_b32 s13, s13
; %bb.7079:                             ;   in Loop: Header=BB6_6496 Depth=4
	s_delay_alu instid0(VALU_DEP_1)
	v_bfe_u32 v27, v36, 23, 1
; %bb.7080:                             ;   in Loop: Header=BB6_6496 Depth=4
	s_or_b32 exec_lo, exec_lo, s13
	v_lshrrev_b32_e32 v36, 21, v36
	s_delay_alu instid0(VALU_DEP_2) | instskip(SKIP_2) | instid1(VALU_DEP_2)
	v_cmp_gt_i32_e32 vcc_lo, 32, v27
	v_min_i32_e32 v37, 31, v27
	v_lshrrev_b32_e32 v26, 24, v26
	v_dual_cndmask_b32 v36, 3, v36 :: v_dual_lshlrev_b32 v37, 2, v37
	s_delay_alu instid0(VALU_DEP_2) | instskip(NEXT) | instid1(VALU_DEP_2)
	v_and_b32_e32 v26, 0x80, v26
	v_or_b32_e32 v27, v27, v36
	s_delay_alu instid0(VALU_DEP_1) | instskip(SKIP_1) | instid1(VALU_DEP_1)
	v_cmp_ne_u32_e32 vcc_lo, 0, v27
	v_and_b32_e32 v38, 3, v36
	v_or3_b32 v26, v37, v26, v38
	s_delay_alu instid0(VALU_DEP_1)
	v_cndmask_b32_e32 v43, 0, v26, vcc_lo
.LBB6_7081:                             ;   in Loop: Header=BB6_6496 Depth=4
	s_or_b32 exec_lo, exec_lo, s35
.LBB6_7082:                             ;   in Loop: Header=BB6_6496 Depth=4
	s_delay_alu instid0(SALU_CYCLE_1) | instskip(SKIP_3) | instid1(VALU_DEP_1)
	s_or_b32 exec_lo, exec_lo, s34
	v_and_b32_e32 v27, 0xff, v41
	s_mov_b32 s13, 0
	s_mov_b32 s35, exec_lo
                                        ; implicit-def: $sgpr34
	v_cmpx_lt_i16_e32 0x7f, v27
	s_xor_b32 s35, exec_lo, s35
	s_cbranch_execnz .LBB6_7627
; %bb.7083:                             ;   in Loop: Header=BB6_6496 Depth=4
	s_or_saveexec_b32 s35, s35
	v_mov_b32_e32 v26, s34
	s_xor_b32 exec_lo, exec_lo, s35
	s_cbranch_execnz .LBB6_7630
.LBB6_7084:                             ;   in Loop: Header=BB6_6496 Depth=4
	s_or_b32 exec_lo, exec_lo, s35
	s_and_saveexec_b32 s34, s13
	s_cbranch_execz .LBB6_7086
.LBB6_7085:                             ;   in Loop: Header=BB6_6496 Depth=4
	v_lshrrev_b16 v37, 2, v41
	v_lshlrev_b32_e32 v38, 24, v41
	s_delay_alu instid0(VALU_DEP_2) | instskip(NEXT) | instid1(VALU_DEP_1)
	v_and_b32_e32 v37, 31, v37
	v_cmp_eq_u32_e32 vcc_lo, 0, v37
	v_and_b32_e32 v26, 3, v41
	s_delay_alu instid0(VALU_DEP_1) | instskip(NEXT) | instid1(VALU_DEP_1)
	v_clz_i32_u32_e32 v27, v26
	v_min_u32_e32 v27, 32, v27
	s_delay_alu instid0(VALU_DEP_1) | instskip(SKIP_1) | instid1(VALU_DEP_1)
	v_subrev_nc_u32_e32 v36, 29, v27
	v_sub_nc_u32_e32 v27, 30, v27
	v_dual_cndmask_b32 v27, v37, v27 :: v_dual_lshlrev_b32 v36, v36, v41
	s_delay_alu instid0(VALU_DEP_1) | instskip(NEXT) | instid1(VALU_DEP_2)
	v_and_b32_e32 v36, 3, v36
	v_lshl_add_u32 v27, v27, 23, 0x37800000
	s_delay_alu instid0(VALU_DEP_2) | instskip(SKIP_1) | instid1(VALU_DEP_2)
	v_cndmask_b32_e32 v26, v26, v36, vcc_lo
	v_and_b32_e32 v36, 0x80000000, v38
	v_lshlrev_b32_e32 v26, 21, v26
	s_delay_alu instid0(VALU_DEP_1)
	v_or3_b32 v26, v36, v27, v26
.LBB6_7086:                             ;   in Loop: Header=BB6_6496 Depth=4
	s_or_b32 exec_lo, exec_lo, s34
	s_waitcnt vmcnt(19) lgkmcnt(19)
	v_and_b32_e32 v36, 0xff, v72
	s_mov_b32 s13, 0
	s_mov_b32 s35, exec_lo
                                        ; implicit-def: $sgpr34
	s_delay_alu instid0(VALU_DEP_1)
	v_cmpx_lt_i16_e32 0x7f, v36
	s_xor_b32 s35, exec_lo, s35
	s_cbranch_execnz .LBB6_7631
; %bb.7087:                             ;   in Loop: Header=BB6_6496 Depth=4
	s_or_saveexec_b32 s35, s35
	v_mov_b32_e32 v27, s34
	s_xor_b32 exec_lo, exec_lo, s35
	s_cbranch_execnz .LBB6_7634
.LBB6_7088:                             ;   in Loop: Header=BB6_6496 Depth=4
	s_or_b32 exec_lo, exec_lo, s35
	s_and_saveexec_b32 s34, s13
	s_cbranch_execz .LBB6_7090
.LBB6_7089:                             ;   in Loop: Header=BB6_6496 Depth=4
	v_and_b32_e32 v27, 3, v72
	v_lshrrev_b16 v38, 2, v72
	v_lshlrev_b32_e32 v39, 24, v72
	s_delay_alu instid0(VALU_DEP_3) | instskip(NEXT) | instid1(VALU_DEP_1)
	v_clz_i32_u32_e32 v36, v27
	v_min_u32_e32 v36, 32, v36
	s_delay_alu instid0(VALU_DEP_1) | instskip(SKIP_1) | instid1(VALU_DEP_2)
	v_subrev_nc_u32_e32 v37, 29, v36
	v_sub_nc_u32_e32 v36, 30, v36
	v_lshlrev_b32_e32 v37, v37, v72
	s_delay_alu instid0(VALU_DEP_1) | instskip(SKIP_1) | instid1(VALU_DEP_1)
	v_and_b32_e32 v37, 3, v37
	v_and_b32_e32 v38, 31, v38
	v_cmp_eq_u32_e32 vcc_lo, 0, v38
	s_delay_alu instid0(VALU_DEP_3) | instskip(SKIP_1) | instid1(VALU_DEP_2)
	v_dual_cndmask_b32 v27, v27, v37 :: v_dual_cndmask_b32 v36, v38, v36
	v_and_b32_e32 v37, 0x80000000, v39
	v_lshlrev_b32_e32 v27, 21, v27
	s_delay_alu instid0(VALU_DEP_3) | instskip(NEXT) | instid1(VALU_DEP_1)
	v_lshl_add_u32 v36, v36, 23, 0x37800000
	v_or3_b32 v27, v37, v36, v27
.LBB6_7090:                             ;   in Loop: Header=BB6_6496 Depth=4
	s_or_b32 exec_lo, exec_lo, s34
	s_delay_alu instid0(VALU_DEP_1) | instskip(SKIP_1) | instid1(VALU_DEP_1)
	v_dual_add_f32 v26, v26, v27 :: v_dual_mov_b32 v41, 0x80
	s_mov_b32 s34, exec_lo
	v_and_b32_e32 v27, 0x7f800000, v26
	s_delay_alu instid0(VALU_DEP_1)
	v_cmpx_ne_u32_e32 0x7f800000, v27
	s_cbranch_execz .LBB6_7098
; %bb.7091:                             ;   in Loop: Header=BB6_6496 Depth=4
	v_mov_b32_e32 v41, 0
	s_mov_b32 s35, exec_lo
	v_cmpx_ne_u32_e32 0, v26
	s_cbranch_execz .LBB6_7097
; %bb.7092:                             ;   in Loop: Header=BB6_6496 Depth=4
	v_bfe_u32 v27, v26, 23, 8
	s_delay_alu instid0(VALU_DEP_1) | instskip(SKIP_1) | instid1(VALU_DEP_2)
	v_sub_nc_u32_e32 v37, 0x70, v27
	v_cmp_gt_u32_e32 vcc_lo, 0x71, v27
	v_dual_cndmask_b32 v37, 0, v37 :: v_dual_and_b32 v36, 0x7fffff, v26
	s_delay_alu instid0(VALU_DEP_1) | instskip(SKIP_2) | instid1(VALU_DEP_4)
	v_or_b32_e32 v38, 0x800000, v36
	v_cmp_eq_u32_e32 vcc_lo, 0, v27
	v_add_nc_u32_e32 v27, 0xffffff91, v27
	v_cndmask_b32_e64 v37, v37, 0x6f, vcc_lo
	s_delay_alu instid0(VALU_DEP_4) | instskip(NEXT) | instid1(VALU_DEP_3)
	v_cndmask_b32_e32 v36, v38, v36, vcc_lo
	v_cndmask_b32_e64 v27, v27, 0xffffff92, vcc_lo
	s_delay_alu instid0(VALU_DEP_3) | instskip(NEXT) | instid1(VALU_DEP_3)
	v_lshl_add_u32 v38, 0x200000, v37, -1
	v_lshrrev_b32_e32 v39, v37, v36
	v_lshlrev_b32_e64 v49, v37, 0x100000
	s_delay_alu instid0(VALU_DEP_4) | instskip(NEXT) | instid1(VALU_DEP_4)
	v_add_nc_u32_e32 v37, v37, v27
	v_and_b32_e32 v36, v38, v36
	s_delay_alu instid0(VALU_DEP_4) | instskip(NEXT) | instid1(VALU_DEP_2)
	v_bfe_u32 v48, v39, 21, 1
	v_cmp_eq_u32_e64 s13, v36, v49
	s_delay_alu instid0(VALU_DEP_2) | instskip(NEXT) | instid1(VALU_DEP_1)
	v_add_nc_u32_e32 v38, -1, v48
	v_cndmask_b32_e64 v36, 0, v38, s13
	v_lshrrev_b32_e32 v38, 23, v39
	s_mov_b32 s13, exec_lo
	s_delay_alu instid0(VALU_DEP_2) | instskip(NEXT) | instid1(VALU_DEP_2)
	v_add_nc_u32_e32 v36, v36, v39
	v_xor_b32_e32 v38, 1, v38
	s_delay_alu instid0(VALU_DEP_2) | instskip(NEXT) | instid1(VALU_DEP_1)
	v_and_b32_e32 v27, 0x1fffff, v36
	v_add_nc_u32_e32 v36, v27, v39
                                        ; implicit-def: $vgpr27
	s_delay_alu instid0(VALU_DEP_3)
	v_cmpx_ne_u32_e64 v37, v38
	s_xor_b32 s13, exec_lo, s13
; %bb.7093:                             ;   in Loop: Header=BB6_6496 Depth=4
	s_delay_alu instid0(VALU_DEP_2) | instskip(SKIP_2) | instid1(VALU_DEP_2)
	v_cmp_lt_u32_e32 vcc_lo, 0xffffff, v36
	v_sub_nc_u32_e32 v27, v37, v38
	v_cndmask_b32_e64 v37, 0, 1, vcc_lo
	v_add_co_ci_u32_e32 v27, vcc_lo, 0, v27, vcc_lo
	s_delay_alu instid0(VALU_DEP_2)
	v_lshrrev_b32_e32 v36, v37, v36
; %bb.7094:                             ;   in Loop: Header=BB6_6496 Depth=4
	s_and_not1_saveexec_b32 s13, s13
; %bb.7095:                             ;   in Loop: Header=BB6_6496 Depth=4
	s_delay_alu instid0(VALU_DEP_1)
	v_bfe_u32 v27, v36, 23, 1
; %bb.7096:                             ;   in Loop: Header=BB6_6496 Depth=4
	s_or_b32 exec_lo, exec_lo, s13
	v_lshrrev_b32_e32 v36, 21, v36
	s_delay_alu instid0(VALU_DEP_2) | instskip(SKIP_2) | instid1(VALU_DEP_2)
	v_cmp_gt_i32_e32 vcc_lo, 32, v27
	v_min_i32_e32 v37, 31, v27
	v_lshrrev_b32_e32 v26, 24, v26
	v_dual_cndmask_b32 v36, 3, v36 :: v_dual_lshlrev_b32 v37, 2, v37
	s_delay_alu instid0(VALU_DEP_2) | instskip(NEXT) | instid1(VALU_DEP_2)
	v_and_b32_e32 v26, 0x80, v26
	v_or_b32_e32 v27, v27, v36
	s_delay_alu instid0(VALU_DEP_1) | instskip(SKIP_1) | instid1(VALU_DEP_1)
	v_cmp_ne_u32_e32 vcc_lo, 0, v27
	v_and_b32_e32 v38, 3, v36
	v_or3_b32 v26, v37, v26, v38
	s_delay_alu instid0(VALU_DEP_1)
	v_cndmask_b32_e32 v41, 0, v26, vcc_lo
.LBB6_7097:                             ;   in Loop: Header=BB6_6496 Depth=4
	s_or_b32 exec_lo, exec_lo, s35
.LBB6_7098:                             ;   in Loop: Header=BB6_6496 Depth=4
	s_delay_alu instid0(SALU_CYCLE_1) | instskip(SKIP_3) | instid1(VALU_DEP_1)
	s_or_b32 exec_lo, exec_lo, s34
	v_and_b32_e32 v27, 0xff, v183
	s_mov_b32 s13, 0
	s_mov_b32 s35, exec_lo
                                        ; implicit-def: $sgpr34
	v_cmpx_lt_i16_e32 0x7f, v27
	s_xor_b32 s35, exec_lo, s35
	s_cbranch_execnz .LBB6_7635
; %bb.7099:                             ;   in Loop: Header=BB6_6496 Depth=4
	s_or_saveexec_b32 s35, s35
	v_mov_b32_e32 v26, s34
	s_xor_b32 exec_lo, exec_lo, s35
	s_cbranch_execnz .LBB6_7638
.LBB6_7100:                             ;   in Loop: Header=BB6_6496 Depth=4
	s_or_b32 exec_lo, exec_lo, s35
	s_and_saveexec_b32 s34, s13
	s_cbranch_execz .LBB6_7102
.LBB6_7101:                             ;   in Loop: Header=BB6_6496 Depth=4
	v_and_b32_e32 v26, 3, v183
	v_lshrrev_b16 v37, 2, v183
	v_lshlrev_b32_e32 v38, 24, v183
	s_delay_alu instid0(VALU_DEP_3) | instskip(NEXT) | instid1(VALU_DEP_1)
	v_clz_i32_u32_e32 v27, v26
	v_min_u32_e32 v27, 32, v27
	s_delay_alu instid0(VALU_DEP_1) | instskip(SKIP_1) | instid1(VALU_DEP_2)
	v_subrev_nc_u32_e32 v36, 29, v27
	v_sub_nc_u32_e32 v27, 30, v27
	v_lshlrev_b32_e32 v36, v36, v183
	s_delay_alu instid0(VALU_DEP_1) | instskip(SKIP_1) | instid1(VALU_DEP_1)
	v_and_b32_e32 v36, 3, v36
	v_and_b32_e32 v37, 31, v37
	v_cmp_eq_u32_e32 vcc_lo, 0, v37
	s_delay_alu instid0(VALU_DEP_3) | instskip(SKIP_1) | instid1(VALU_DEP_2)
	v_dual_cndmask_b32 v26, v26, v36 :: v_dual_cndmask_b32 v27, v37, v27
	v_and_b32_e32 v36, 0x80000000, v38
	v_lshlrev_b32_e32 v26, 21, v26
	s_delay_alu instid0(VALU_DEP_3) | instskip(NEXT) | instid1(VALU_DEP_1)
	v_lshl_add_u32 v27, v27, 23, 0x37800000
	v_or3_b32 v26, v36, v27, v26
.LBB6_7102:                             ;   in Loop: Header=BB6_6496 Depth=4
	s_or_b32 exec_lo, exec_lo, s34
	s_waitcnt vmcnt(18) lgkmcnt(18)
	v_and_b32_e32 v36, 0xff, v63
	s_mov_b32 s13, 0
	s_mov_b32 s35, exec_lo
                                        ; implicit-def: $sgpr34
	s_delay_alu instid0(VALU_DEP_1)
	v_cmpx_lt_i16_e32 0x7f, v36
	s_xor_b32 s35, exec_lo, s35
	s_cbranch_execnz .LBB6_7639
; %bb.7103:                             ;   in Loop: Header=BB6_6496 Depth=4
	s_or_saveexec_b32 s35, s35
	v_mov_b32_e32 v27, s34
	s_xor_b32 exec_lo, exec_lo, s35
	s_cbranch_execnz .LBB6_7642
.LBB6_7104:                             ;   in Loop: Header=BB6_6496 Depth=4
	s_or_b32 exec_lo, exec_lo, s35
	s_and_saveexec_b32 s34, s13
	s_cbranch_execz .LBB6_7106
.LBB6_7105:                             ;   in Loop: Header=BB6_6496 Depth=4
	v_lshrrev_b16 v38, 2, v63
	v_lshlrev_b32_e32 v39, 24, v63
	s_delay_alu instid0(VALU_DEP_2) | instskip(NEXT) | instid1(VALU_DEP_1)
	v_and_b32_e32 v38, 31, v38
	v_cmp_eq_u32_e32 vcc_lo, 0, v38
	v_and_b32_e32 v27, 3, v63
	s_delay_alu instid0(VALU_DEP_1) | instskip(NEXT) | instid1(VALU_DEP_1)
	v_clz_i32_u32_e32 v36, v27
	v_min_u32_e32 v36, 32, v36
	s_delay_alu instid0(VALU_DEP_1) | instskip(SKIP_1) | instid1(VALU_DEP_1)
	v_subrev_nc_u32_e32 v37, 29, v36
	v_sub_nc_u32_e32 v36, 30, v36
	v_dual_cndmask_b32 v36, v38, v36 :: v_dual_lshlrev_b32 v37, v37, v63
	s_delay_alu instid0(VALU_DEP_1) | instskip(NEXT) | instid1(VALU_DEP_2)
	v_and_b32_e32 v37, 3, v37
	v_lshl_add_u32 v36, v36, 23, 0x37800000
	s_delay_alu instid0(VALU_DEP_2) | instskip(SKIP_1) | instid1(VALU_DEP_2)
	v_cndmask_b32_e32 v27, v27, v37, vcc_lo
	v_and_b32_e32 v37, 0x80000000, v39
	v_lshlrev_b32_e32 v27, 21, v27
	s_delay_alu instid0(VALU_DEP_1)
	v_or3_b32 v27, v37, v36, v27
.LBB6_7106:                             ;   in Loop: Header=BB6_6496 Depth=4
	s_or_b32 exec_lo, exec_lo, s34
	s_delay_alu instid0(VALU_DEP_1) | instskip(SKIP_1) | instid1(VALU_DEP_1)
	v_dual_add_f32 v26, v26, v27 :: v_dual_mov_b32 v183, 0x80
	s_mov_b32 s34, exec_lo
	v_and_b32_e32 v27, 0x7f800000, v26
	s_delay_alu instid0(VALU_DEP_1)
	v_cmpx_ne_u32_e32 0x7f800000, v27
	s_cbranch_execz .LBB6_7114
; %bb.7107:                             ;   in Loop: Header=BB6_6496 Depth=4
	v_mov_b32_e32 v183, 0
	s_mov_b32 s35, exec_lo
	v_cmpx_ne_u32_e32 0, v26
	s_cbranch_execz .LBB6_7113
; %bb.7108:                             ;   in Loop: Header=BB6_6496 Depth=4
	v_bfe_u32 v27, v26, 23, 8
	s_delay_alu instid0(VALU_DEP_1) | instskip(SKIP_1) | instid1(VALU_DEP_2)
	v_sub_nc_u32_e32 v37, 0x70, v27
	v_cmp_gt_u32_e32 vcc_lo, 0x71, v27
	v_dual_cndmask_b32 v37, 0, v37 :: v_dual_and_b32 v36, 0x7fffff, v26
	s_delay_alu instid0(VALU_DEP_1) | instskip(SKIP_2) | instid1(VALU_DEP_4)
	v_or_b32_e32 v38, 0x800000, v36
	v_cmp_eq_u32_e32 vcc_lo, 0, v27
	v_add_nc_u32_e32 v27, 0xffffff91, v27
	v_cndmask_b32_e64 v37, v37, 0x6f, vcc_lo
	s_delay_alu instid0(VALU_DEP_4) | instskip(NEXT) | instid1(VALU_DEP_3)
	v_cndmask_b32_e32 v36, v38, v36, vcc_lo
	v_cndmask_b32_e64 v27, v27, 0xffffff92, vcc_lo
	s_delay_alu instid0(VALU_DEP_3) | instskip(NEXT) | instid1(VALU_DEP_3)
	v_lshl_add_u32 v38, 0x200000, v37, -1
	v_lshrrev_b32_e32 v39, v37, v36
	v_lshlrev_b32_e64 v49, v37, 0x100000
	s_delay_alu instid0(VALU_DEP_4) | instskip(NEXT) | instid1(VALU_DEP_4)
	v_add_nc_u32_e32 v37, v37, v27
	v_and_b32_e32 v36, v38, v36
	s_delay_alu instid0(VALU_DEP_4) | instskip(NEXT) | instid1(VALU_DEP_2)
	v_bfe_u32 v48, v39, 21, 1
	v_cmp_eq_u32_e64 s13, v36, v49
	s_delay_alu instid0(VALU_DEP_2) | instskip(NEXT) | instid1(VALU_DEP_1)
	v_add_nc_u32_e32 v38, -1, v48
	v_cndmask_b32_e64 v36, 0, v38, s13
	v_lshrrev_b32_e32 v38, 23, v39
	s_mov_b32 s13, exec_lo
	s_delay_alu instid0(VALU_DEP_2) | instskip(NEXT) | instid1(VALU_DEP_2)
	v_add_nc_u32_e32 v36, v36, v39
	v_xor_b32_e32 v38, 1, v38
	s_delay_alu instid0(VALU_DEP_2) | instskip(NEXT) | instid1(VALU_DEP_1)
	v_and_b32_e32 v27, 0x1fffff, v36
	v_add_nc_u32_e32 v36, v27, v39
                                        ; implicit-def: $vgpr27
	s_delay_alu instid0(VALU_DEP_3)
	v_cmpx_ne_u32_e64 v37, v38
	s_xor_b32 s13, exec_lo, s13
; %bb.7109:                             ;   in Loop: Header=BB6_6496 Depth=4
	s_delay_alu instid0(VALU_DEP_2) | instskip(SKIP_2) | instid1(VALU_DEP_2)
	v_cmp_lt_u32_e32 vcc_lo, 0xffffff, v36
	v_sub_nc_u32_e32 v27, v37, v38
	v_cndmask_b32_e64 v37, 0, 1, vcc_lo
	v_add_co_ci_u32_e32 v27, vcc_lo, 0, v27, vcc_lo
	s_delay_alu instid0(VALU_DEP_2)
	v_lshrrev_b32_e32 v36, v37, v36
; %bb.7110:                             ;   in Loop: Header=BB6_6496 Depth=4
	s_and_not1_saveexec_b32 s13, s13
; %bb.7111:                             ;   in Loop: Header=BB6_6496 Depth=4
	s_delay_alu instid0(VALU_DEP_1)
	v_bfe_u32 v27, v36, 23, 1
; %bb.7112:                             ;   in Loop: Header=BB6_6496 Depth=4
	s_or_b32 exec_lo, exec_lo, s13
	v_lshrrev_b32_e32 v36, 21, v36
	s_delay_alu instid0(VALU_DEP_2) | instskip(SKIP_2) | instid1(VALU_DEP_2)
	v_cmp_gt_i32_e32 vcc_lo, 32, v27
	v_min_i32_e32 v37, 31, v27
	v_lshrrev_b32_e32 v26, 24, v26
	v_dual_cndmask_b32 v36, 3, v36 :: v_dual_lshlrev_b32 v37, 2, v37
	s_delay_alu instid0(VALU_DEP_2) | instskip(NEXT) | instid1(VALU_DEP_2)
	v_and_b32_e32 v26, 0x80, v26
	v_or_b32_e32 v27, v27, v36
	s_delay_alu instid0(VALU_DEP_1) | instskip(SKIP_1) | instid1(VALU_DEP_1)
	v_cmp_ne_u32_e32 vcc_lo, 0, v27
	v_and_b32_e32 v38, 3, v36
	v_or3_b32 v26, v37, v26, v38
	s_delay_alu instid0(VALU_DEP_1)
	v_cndmask_b32_e32 v183, 0, v26, vcc_lo
.LBB6_7113:                             ;   in Loop: Header=BB6_6496 Depth=4
	s_or_b32 exec_lo, exec_lo, s35
.LBB6_7114:                             ;   in Loop: Header=BB6_6496 Depth=4
	s_delay_alu instid0(SALU_CYCLE_1) | instskip(SKIP_3) | instid1(VALU_DEP_1)
	s_or_b32 exec_lo, exec_lo, s34
	v_and_b32_e32 v27, 0xff, v182
	s_mov_b32 s13, 0
	s_mov_b32 s35, exec_lo
                                        ; implicit-def: $sgpr34
	v_cmpx_lt_i16_e32 0x7f, v27
	s_xor_b32 s35, exec_lo, s35
	s_cbranch_execnz .LBB6_7643
; %bb.7115:                             ;   in Loop: Header=BB6_6496 Depth=4
	s_or_saveexec_b32 s35, s35
	v_mov_b32_e32 v26, s34
	s_xor_b32 exec_lo, exec_lo, s35
	s_cbranch_execnz .LBB6_7646
.LBB6_7116:                             ;   in Loop: Header=BB6_6496 Depth=4
	s_or_b32 exec_lo, exec_lo, s35
	s_and_saveexec_b32 s34, s13
	s_cbranch_execz .LBB6_7118
.LBB6_7117:                             ;   in Loop: Header=BB6_6496 Depth=4
	v_lshrrev_b16 v37, 2, v182
	v_lshlrev_b32_e32 v38, 24, v182
	s_delay_alu instid0(VALU_DEP_2) | instskip(NEXT) | instid1(VALU_DEP_1)
	v_and_b32_e32 v37, 31, v37
	v_cmp_eq_u32_e32 vcc_lo, 0, v37
	v_and_b32_e32 v26, 3, v182
	s_delay_alu instid0(VALU_DEP_1) | instskip(NEXT) | instid1(VALU_DEP_1)
	v_clz_i32_u32_e32 v27, v26
	v_min_u32_e32 v27, 32, v27
	s_delay_alu instid0(VALU_DEP_1) | instskip(SKIP_1) | instid1(VALU_DEP_1)
	v_subrev_nc_u32_e32 v36, 29, v27
	v_sub_nc_u32_e32 v27, 30, v27
	v_dual_cndmask_b32 v27, v37, v27 :: v_dual_lshlrev_b32 v36, v36, v182
	s_delay_alu instid0(VALU_DEP_1) | instskip(NEXT) | instid1(VALU_DEP_2)
	v_and_b32_e32 v36, 3, v36
	v_lshl_add_u32 v27, v27, 23, 0x37800000
	s_delay_alu instid0(VALU_DEP_2) | instskip(SKIP_1) | instid1(VALU_DEP_2)
	v_cndmask_b32_e32 v26, v26, v36, vcc_lo
	v_and_b32_e32 v36, 0x80000000, v38
	v_lshlrev_b32_e32 v26, 21, v26
	s_delay_alu instid0(VALU_DEP_1)
	v_or3_b32 v26, v36, v27, v26
.LBB6_7118:                             ;   in Loop: Header=BB6_6496 Depth=4
	s_or_b32 exec_lo, exec_lo, s34
	s_waitcnt vmcnt(17) lgkmcnt(17)
	v_and_b32_e32 v36, 0xff, v62
	s_mov_b32 s13, 0
	s_mov_b32 s35, exec_lo
                                        ; implicit-def: $sgpr34
	s_delay_alu instid0(VALU_DEP_1)
	v_cmpx_lt_i16_e32 0x7f, v36
	s_xor_b32 s35, exec_lo, s35
	s_cbranch_execnz .LBB6_7647
; %bb.7119:                             ;   in Loop: Header=BB6_6496 Depth=4
	s_or_saveexec_b32 s35, s35
	v_mov_b32_e32 v27, s34
	s_xor_b32 exec_lo, exec_lo, s35
	s_cbranch_execnz .LBB6_7650
.LBB6_7120:                             ;   in Loop: Header=BB6_6496 Depth=4
	s_or_b32 exec_lo, exec_lo, s35
	s_and_saveexec_b32 s34, s13
	s_cbranch_execz .LBB6_7122
.LBB6_7121:                             ;   in Loop: Header=BB6_6496 Depth=4
	v_lshrrev_b16 v38, 2, v62
	v_lshlrev_b32_e32 v39, 24, v62
	s_delay_alu instid0(VALU_DEP_2) | instskip(NEXT) | instid1(VALU_DEP_1)
	v_and_b32_e32 v38, 31, v38
	v_cmp_eq_u32_e32 vcc_lo, 0, v38
	v_and_b32_e32 v27, 3, v62
	s_delay_alu instid0(VALU_DEP_1) | instskip(NEXT) | instid1(VALU_DEP_1)
	v_clz_i32_u32_e32 v36, v27
	v_min_u32_e32 v36, 32, v36
	s_delay_alu instid0(VALU_DEP_1) | instskip(SKIP_1) | instid1(VALU_DEP_1)
	v_subrev_nc_u32_e32 v37, 29, v36
	v_sub_nc_u32_e32 v36, 30, v36
	v_dual_cndmask_b32 v36, v38, v36 :: v_dual_lshlrev_b32 v37, v37, v62
	s_delay_alu instid0(VALU_DEP_1) | instskip(NEXT) | instid1(VALU_DEP_2)
	v_and_b32_e32 v37, 3, v37
	v_lshl_add_u32 v36, v36, 23, 0x37800000
	s_delay_alu instid0(VALU_DEP_2) | instskip(SKIP_1) | instid1(VALU_DEP_2)
	v_cndmask_b32_e32 v27, v27, v37, vcc_lo
	v_and_b32_e32 v37, 0x80000000, v39
	v_lshlrev_b32_e32 v27, 21, v27
	s_delay_alu instid0(VALU_DEP_1)
	v_or3_b32 v27, v37, v36, v27
.LBB6_7122:                             ;   in Loop: Header=BB6_6496 Depth=4
	s_or_b32 exec_lo, exec_lo, s34
	s_delay_alu instid0(VALU_DEP_1) | instskip(SKIP_2) | instid1(VALU_DEP_2)
	v_add_f32_e32 v26, v26, v27
	v_mov_b32_e32 v182, 0x80
	s_mov_b32 s34, exec_lo
	v_and_b32_e32 v27, 0x7f800000, v26
	s_delay_alu instid0(VALU_DEP_1)
	v_cmpx_ne_u32_e32 0x7f800000, v27
	s_cbranch_execz .LBB6_7130
; %bb.7123:                             ;   in Loop: Header=BB6_6496 Depth=4
	v_mov_b32_e32 v182, 0
	s_mov_b32 s35, exec_lo
	v_cmpx_ne_u32_e32 0, v26
	s_cbranch_execz .LBB6_7129
; %bb.7124:                             ;   in Loop: Header=BB6_6496 Depth=4
	v_bfe_u32 v27, v26, 23, 8
	s_delay_alu instid0(VALU_DEP_1) | instskip(SKIP_1) | instid1(VALU_DEP_2)
	v_sub_nc_u32_e32 v37, 0x70, v27
	v_cmp_gt_u32_e32 vcc_lo, 0x71, v27
	v_dual_cndmask_b32 v37, 0, v37 :: v_dual_and_b32 v36, 0x7fffff, v26
	s_delay_alu instid0(VALU_DEP_1) | instskip(SKIP_2) | instid1(VALU_DEP_4)
	v_or_b32_e32 v38, 0x800000, v36
	v_cmp_eq_u32_e32 vcc_lo, 0, v27
	v_add_nc_u32_e32 v27, 0xffffff91, v27
	v_cndmask_b32_e64 v37, v37, 0x6f, vcc_lo
	s_delay_alu instid0(VALU_DEP_4) | instskip(NEXT) | instid1(VALU_DEP_3)
	v_cndmask_b32_e32 v36, v38, v36, vcc_lo
	v_cndmask_b32_e64 v27, v27, 0xffffff92, vcc_lo
	s_delay_alu instid0(VALU_DEP_3) | instskip(NEXT) | instid1(VALU_DEP_3)
	v_lshl_add_u32 v38, 0x200000, v37, -1
	v_lshrrev_b32_e32 v39, v37, v36
	v_lshlrev_b32_e64 v49, v37, 0x100000
	s_delay_alu instid0(VALU_DEP_4) | instskip(NEXT) | instid1(VALU_DEP_4)
	v_add_nc_u32_e32 v37, v37, v27
	v_and_b32_e32 v36, v38, v36
	s_delay_alu instid0(VALU_DEP_4) | instskip(NEXT) | instid1(VALU_DEP_2)
	v_bfe_u32 v48, v39, 21, 1
	v_cmp_eq_u32_e64 s13, v36, v49
	s_delay_alu instid0(VALU_DEP_2) | instskip(NEXT) | instid1(VALU_DEP_1)
	v_add_nc_u32_e32 v38, -1, v48
	v_cndmask_b32_e64 v36, 0, v38, s13
	v_lshrrev_b32_e32 v38, 23, v39
	s_mov_b32 s13, exec_lo
	s_delay_alu instid0(VALU_DEP_2) | instskip(NEXT) | instid1(VALU_DEP_2)
	v_add_nc_u32_e32 v36, v36, v39
	v_xor_b32_e32 v38, 1, v38
	s_delay_alu instid0(VALU_DEP_2) | instskip(NEXT) | instid1(VALU_DEP_1)
	v_and_b32_e32 v27, 0x1fffff, v36
	v_add_nc_u32_e32 v36, v27, v39
                                        ; implicit-def: $vgpr27
	s_delay_alu instid0(VALU_DEP_3)
	v_cmpx_ne_u32_e64 v37, v38
	s_xor_b32 s13, exec_lo, s13
; %bb.7125:                             ;   in Loop: Header=BB6_6496 Depth=4
	s_delay_alu instid0(VALU_DEP_2) | instskip(SKIP_2) | instid1(VALU_DEP_2)
	v_cmp_lt_u32_e32 vcc_lo, 0xffffff, v36
	v_sub_nc_u32_e32 v27, v37, v38
	v_cndmask_b32_e64 v37, 0, 1, vcc_lo
	v_add_co_ci_u32_e32 v27, vcc_lo, 0, v27, vcc_lo
	s_delay_alu instid0(VALU_DEP_2)
	v_lshrrev_b32_e32 v36, v37, v36
; %bb.7126:                             ;   in Loop: Header=BB6_6496 Depth=4
	s_and_not1_saveexec_b32 s13, s13
; %bb.7127:                             ;   in Loop: Header=BB6_6496 Depth=4
	s_delay_alu instid0(VALU_DEP_1)
	v_bfe_u32 v27, v36, 23, 1
; %bb.7128:                             ;   in Loop: Header=BB6_6496 Depth=4
	s_or_b32 exec_lo, exec_lo, s13
	v_lshrrev_b32_e32 v36, 21, v36
	s_delay_alu instid0(VALU_DEP_2) | instskip(SKIP_2) | instid1(VALU_DEP_4)
	v_cmp_gt_i32_e32 vcc_lo, 32, v27
	v_lshrrev_b32_e32 v26, 24, v26
	v_min_i32_e32 v37, 31, v27
	v_cndmask_b32_e32 v36, 3, v36, vcc_lo
	s_delay_alu instid0(VALU_DEP_3) | instskip(NEXT) | instid1(VALU_DEP_3)
	v_and_b32_e32 v26, 0x80, v26
	v_lshlrev_b32_e32 v37, 2, v37
	s_delay_alu instid0(VALU_DEP_3) | instskip(SKIP_1) | instid1(VALU_DEP_2)
	v_and_b32_e32 v38, 3, v36
	v_or_b32_e32 v27, v27, v36
	v_or3_b32 v26, v37, v26, v38
	s_delay_alu instid0(VALU_DEP_2) | instskip(NEXT) | instid1(VALU_DEP_2)
	v_cmp_ne_u32_e32 vcc_lo, 0, v27
	v_cndmask_b32_e32 v182, 0, v26, vcc_lo
.LBB6_7129:                             ;   in Loop: Header=BB6_6496 Depth=4
	s_or_b32 exec_lo, exec_lo, s35
.LBB6_7130:                             ;   in Loop: Header=BB6_6496 Depth=4
	s_delay_alu instid0(SALU_CYCLE_1) | instskip(SKIP_3) | instid1(VALU_DEP_1)
	s_or_b32 exec_lo, exec_lo, s34
	v_and_b32_e32 v27, 0xff, v180
	s_mov_b32 s13, 0
	s_mov_b32 s35, exec_lo
                                        ; implicit-def: $sgpr34
	v_cmpx_lt_i16_e32 0x7f, v27
	s_xor_b32 s35, exec_lo, s35
	s_cbranch_execnz .LBB6_7651
; %bb.7131:                             ;   in Loop: Header=BB6_6496 Depth=4
	s_or_saveexec_b32 s35, s35
	v_mov_b32_e32 v26, s34
	s_xor_b32 exec_lo, exec_lo, s35
	s_cbranch_execnz .LBB6_7654
.LBB6_7132:                             ;   in Loop: Header=BB6_6496 Depth=4
	s_or_b32 exec_lo, exec_lo, s35
	s_and_saveexec_b32 s34, s13
	s_cbranch_execz .LBB6_7134
.LBB6_7133:                             ;   in Loop: Header=BB6_6496 Depth=4
	v_lshrrev_b16 v37, 2, v180
	v_lshlrev_b32_e32 v38, 24, v180
	s_delay_alu instid0(VALU_DEP_2) | instskip(NEXT) | instid1(VALU_DEP_1)
	v_and_b32_e32 v37, 31, v37
	v_cmp_eq_u32_e32 vcc_lo, 0, v37
	v_and_b32_e32 v26, 3, v180
	s_delay_alu instid0(VALU_DEP_1) | instskip(NEXT) | instid1(VALU_DEP_1)
	v_clz_i32_u32_e32 v27, v26
	v_min_u32_e32 v27, 32, v27
	s_delay_alu instid0(VALU_DEP_1) | instskip(SKIP_1) | instid1(VALU_DEP_1)
	v_subrev_nc_u32_e32 v36, 29, v27
	v_sub_nc_u32_e32 v27, 30, v27
	v_dual_cndmask_b32 v27, v37, v27 :: v_dual_lshlrev_b32 v36, v36, v180
	s_delay_alu instid0(VALU_DEP_1) | instskip(NEXT) | instid1(VALU_DEP_2)
	v_and_b32_e32 v36, 3, v36
	v_lshl_add_u32 v27, v27, 23, 0x37800000
	s_delay_alu instid0(VALU_DEP_2) | instskip(SKIP_1) | instid1(VALU_DEP_2)
	v_cndmask_b32_e32 v26, v26, v36, vcc_lo
	v_and_b32_e32 v36, 0x80000000, v38
	v_lshlrev_b32_e32 v26, 21, v26
	s_delay_alu instid0(VALU_DEP_1)
	v_or3_b32 v26, v36, v27, v26
.LBB6_7134:                             ;   in Loop: Header=BB6_6496 Depth=4
	s_or_b32 exec_lo, exec_lo, s34
	s_waitcnt vmcnt(16) lgkmcnt(16)
	v_and_b32_e32 v36, 0xff, v61
	s_mov_b32 s13, 0
	s_mov_b32 s35, exec_lo
                                        ; implicit-def: $sgpr34
	s_delay_alu instid0(VALU_DEP_1)
	v_cmpx_lt_i16_e32 0x7f, v36
	s_xor_b32 s35, exec_lo, s35
	s_cbranch_execnz .LBB6_7655
; %bb.7135:                             ;   in Loop: Header=BB6_6496 Depth=4
	s_or_saveexec_b32 s35, s35
	v_mov_b32_e32 v27, s34
	s_xor_b32 exec_lo, exec_lo, s35
	s_cbranch_execnz .LBB6_7658
.LBB6_7136:                             ;   in Loop: Header=BB6_6496 Depth=4
	s_or_b32 exec_lo, exec_lo, s35
	s_and_saveexec_b32 s34, s13
	s_cbranch_execz .LBB6_7138
.LBB6_7137:                             ;   in Loop: Header=BB6_6496 Depth=4
	v_lshrrev_b16 v38, 2, v61
	v_lshlrev_b32_e32 v39, 24, v61
	s_delay_alu instid0(VALU_DEP_2) | instskip(NEXT) | instid1(VALU_DEP_1)
	v_and_b32_e32 v38, 31, v38
	v_cmp_eq_u32_e32 vcc_lo, 0, v38
	v_and_b32_e32 v27, 3, v61
	s_delay_alu instid0(VALU_DEP_1) | instskip(NEXT) | instid1(VALU_DEP_1)
	v_clz_i32_u32_e32 v36, v27
	v_min_u32_e32 v36, 32, v36
	s_delay_alu instid0(VALU_DEP_1) | instskip(SKIP_1) | instid1(VALU_DEP_1)
	v_subrev_nc_u32_e32 v37, 29, v36
	v_sub_nc_u32_e32 v36, 30, v36
	v_dual_cndmask_b32 v36, v38, v36 :: v_dual_lshlrev_b32 v37, v37, v61
	s_delay_alu instid0(VALU_DEP_1) | instskip(NEXT) | instid1(VALU_DEP_2)
	v_and_b32_e32 v37, 3, v37
	v_lshl_add_u32 v36, v36, 23, 0x37800000
	s_delay_alu instid0(VALU_DEP_2) | instskip(SKIP_1) | instid1(VALU_DEP_2)
	v_cndmask_b32_e32 v27, v27, v37, vcc_lo
	v_and_b32_e32 v37, 0x80000000, v39
	v_lshlrev_b32_e32 v27, 21, v27
	s_delay_alu instid0(VALU_DEP_1)
	v_or3_b32 v27, v37, v36, v27
.LBB6_7138:                             ;   in Loop: Header=BB6_6496 Depth=4
	s_or_b32 exec_lo, exec_lo, s34
	s_delay_alu instid0(VALU_DEP_1) | instskip(SKIP_2) | instid1(VALU_DEP_2)
	v_add_f32_e32 v26, v26, v27
	v_mov_b32_e32 v180, 0x80
	s_mov_b32 s34, exec_lo
	v_and_b32_e32 v27, 0x7f800000, v26
	s_delay_alu instid0(VALU_DEP_1)
	v_cmpx_ne_u32_e32 0x7f800000, v27
	s_cbranch_execz .LBB6_7146
; %bb.7139:                             ;   in Loop: Header=BB6_6496 Depth=4
	v_mov_b32_e32 v180, 0
	s_mov_b32 s35, exec_lo
	v_cmpx_ne_u32_e32 0, v26
	s_cbranch_execz .LBB6_7145
; %bb.7140:                             ;   in Loop: Header=BB6_6496 Depth=4
	v_bfe_u32 v27, v26, 23, 8
	s_delay_alu instid0(VALU_DEP_1) | instskip(SKIP_1) | instid1(VALU_DEP_2)
	v_sub_nc_u32_e32 v37, 0x70, v27
	v_cmp_gt_u32_e32 vcc_lo, 0x71, v27
	v_dual_cndmask_b32 v37, 0, v37 :: v_dual_and_b32 v36, 0x7fffff, v26
	s_delay_alu instid0(VALU_DEP_1) | instskip(SKIP_2) | instid1(VALU_DEP_4)
	v_or_b32_e32 v38, 0x800000, v36
	v_cmp_eq_u32_e32 vcc_lo, 0, v27
	v_add_nc_u32_e32 v27, 0xffffff91, v27
	v_cndmask_b32_e64 v37, v37, 0x6f, vcc_lo
	s_delay_alu instid0(VALU_DEP_4) | instskip(NEXT) | instid1(VALU_DEP_3)
	v_cndmask_b32_e32 v36, v38, v36, vcc_lo
	v_cndmask_b32_e64 v27, v27, 0xffffff92, vcc_lo
	s_delay_alu instid0(VALU_DEP_3) | instskip(NEXT) | instid1(VALU_DEP_3)
	v_lshl_add_u32 v38, 0x200000, v37, -1
	v_lshrrev_b32_e32 v39, v37, v36
	v_lshlrev_b32_e64 v49, v37, 0x100000
	s_delay_alu instid0(VALU_DEP_4) | instskip(NEXT) | instid1(VALU_DEP_4)
	v_add_nc_u32_e32 v37, v37, v27
	v_and_b32_e32 v36, v38, v36
	s_delay_alu instid0(VALU_DEP_4) | instskip(NEXT) | instid1(VALU_DEP_2)
	v_bfe_u32 v48, v39, 21, 1
	v_cmp_eq_u32_e64 s13, v36, v49
	s_delay_alu instid0(VALU_DEP_2) | instskip(NEXT) | instid1(VALU_DEP_1)
	v_add_nc_u32_e32 v38, -1, v48
	v_cndmask_b32_e64 v36, 0, v38, s13
	v_lshrrev_b32_e32 v38, 23, v39
	s_mov_b32 s13, exec_lo
	s_delay_alu instid0(VALU_DEP_2) | instskip(NEXT) | instid1(VALU_DEP_2)
	v_add_nc_u32_e32 v36, v36, v39
	v_xor_b32_e32 v38, 1, v38
	s_delay_alu instid0(VALU_DEP_2) | instskip(NEXT) | instid1(VALU_DEP_1)
	v_and_b32_e32 v27, 0x1fffff, v36
	v_add_nc_u32_e32 v36, v27, v39
                                        ; implicit-def: $vgpr27
	s_delay_alu instid0(VALU_DEP_3)
	v_cmpx_ne_u32_e64 v37, v38
	s_xor_b32 s13, exec_lo, s13
; %bb.7141:                             ;   in Loop: Header=BB6_6496 Depth=4
	s_delay_alu instid0(VALU_DEP_2) | instskip(SKIP_2) | instid1(VALU_DEP_2)
	v_cmp_lt_u32_e32 vcc_lo, 0xffffff, v36
	v_sub_nc_u32_e32 v27, v37, v38
	v_cndmask_b32_e64 v37, 0, 1, vcc_lo
	v_add_co_ci_u32_e32 v27, vcc_lo, 0, v27, vcc_lo
	s_delay_alu instid0(VALU_DEP_2)
	v_lshrrev_b32_e32 v36, v37, v36
; %bb.7142:                             ;   in Loop: Header=BB6_6496 Depth=4
	s_and_not1_saveexec_b32 s13, s13
; %bb.7143:                             ;   in Loop: Header=BB6_6496 Depth=4
	s_delay_alu instid0(VALU_DEP_1)
	v_bfe_u32 v27, v36, 23, 1
; %bb.7144:                             ;   in Loop: Header=BB6_6496 Depth=4
	s_or_b32 exec_lo, exec_lo, s13
	v_lshrrev_b32_e32 v36, 21, v36
	s_delay_alu instid0(VALU_DEP_2) | instskip(SKIP_2) | instid1(VALU_DEP_4)
	v_cmp_gt_i32_e32 vcc_lo, 32, v27
	v_lshrrev_b32_e32 v26, 24, v26
	v_min_i32_e32 v37, 31, v27
	v_cndmask_b32_e32 v36, 3, v36, vcc_lo
	s_delay_alu instid0(VALU_DEP_3) | instskip(NEXT) | instid1(VALU_DEP_3)
	v_and_b32_e32 v26, 0x80, v26
	v_lshlrev_b32_e32 v37, 2, v37
	s_delay_alu instid0(VALU_DEP_3) | instskip(SKIP_1) | instid1(VALU_DEP_2)
	v_and_b32_e32 v38, 3, v36
	v_or_b32_e32 v27, v27, v36
	v_or3_b32 v26, v37, v26, v38
	s_delay_alu instid0(VALU_DEP_2) | instskip(NEXT) | instid1(VALU_DEP_2)
	v_cmp_ne_u32_e32 vcc_lo, 0, v27
	v_cndmask_b32_e32 v180, 0, v26, vcc_lo
.LBB6_7145:                             ;   in Loop: Header=BB6_6496 Depth=4
	s_or_b32 exec_lo, exec_lo, s35
.LBB6_7146:                             ;   in Loop: Header=BB6_6496 Depth=4
	s_delay_alu instid0(SALU_CYCLE_1) | instskip(SKIP_3) | instid1(VALU_DEP_1)
	s_or_b32 exec_lo, exec_lo, s34
	v_and_b32_e32 v27, 0xff, v55
	s_mov_b32 s13, 0
	s_mov_b32 s35, exec_lo
                                        ; implicit-def: $sgpr34
	v_cmpx_lt_i16_e32 0x7f, v27
	s_xor_b32 s35, exec_lo, s35
	s_cbranch_execnz .LBB6_7659
; %bb.7147:                             ;   in Loop: Header=BB6_6496 Depth=4
	s_or_saveexec_b32 s35, s35
	v_mov_b32_e32 v26, s34
	s_xor_b32 exec_lo, exec_lo, s35
	s_cbranch_execnz .LBB6_7662
.LBB6_7148:                             ;   in Loop: Header=BB6_6496 Depth=4
	s_or_b32 exec_lo, exec_lo, s35
	s_and_saveexec_b32 s34, s13
	s_cbranch_execz .LBB6_7150
.LBB6_7149:                             ;   in Loop: Header=BB6_6496 Depth=4
	v_and_b32_e32 v26, 3, v55
	v_lshrrev_b16 v37, 2, v55
	v_lshlrev_b32_e32 v38, 24, v55
	s_delay_alu instid0(VALU_DEP_3) | instskip(NEXT) | instid1(VALU_DEP_1)
	v_clz_i32_u32_e32 v27, v26
	v_min_u32_e32 v27, 32, v27
	s_delay_alu instid0(VALU_DEP_1) | instskip(SKIP_1) | instid1(VALU_DEP_2)
	v_subrev_nc_u32_e32 v36, 29, v27
	v_sub_nc_u32_e32 v27, 30, v27
	v_lshlrev_b32_e32 v36, v36, v55
	s_delay_alu instid0(VALU_DEP_1) | instskip(SKIP_1) | instid1(VALU_DEP_1)
	v_and_b32_e32 v36, 3, v36
	v_and_b32_e32 v37, 31, v37
	v_cmp_eq_u32_e32 vcc_lo, 0, v37
	s_delay_alu instid0(VALU_DEP_3) | instskip(SKIP_1) | instid1(VALU_DEP_2)
	v_dual_cndmask_b32 v26, v26, v36 :: v_dual_cndmask_b32 v27, v37, v27
	v_and_b32_e32 v36, 0x80000000, v38
	v_lshlrev_b32_e32 v26, 21, v26
	s_delay_alu instid0(VALU_DEP_3) | instskip(NEXT) | instid1(VALU_DEP_1)
	v_lshl_add_u32 v27, v27, 23, 0x37800000
	v_or3_b32 v26, v36, v27, v26
.LBB6_7150:                             ;   in Loop: Header=BB6_6496 Depth=4
	s_or_b32 exec_lo, exec_lo, s34
	s_waitcnt vmcnt(15) lgkmcnt(15)
	v_and_b32_e32 v36, 0xff, v103
	s_mov_b32 s13, 0
	s_mov_b32 s35, exec_lo
                                        ; implicit-def: $sgpr34
	s_delay_alu instid0(VALU_DEP_1)
	v_cmpx_lt_i16_e32 0x7f, v36
	s_xor_b32 s35, exec_lo, s35
	s_cbranch_execnz .LBB6_7663
; %bb.7151:                             ;   in Loop: Header=BB6_6496 Depth=4
	s_or_saveexec_b32 s35, s35
	v_mov_b32_e32 v27, s34
	s_xor_b32 exec_lo, exec_lo, s35
	s_cbranch_execnz .LBB6_7666
.LBB6_7152:                             ;   in Loop: Header=BB6_6496 Depth=4
	s_or_b32 exec_lo, exec_lo, s35
	s_and_saveexec_b32 s34, s13
	s_cbranch_execz .LBB6_7154
.LBB6_7153:                             ;   in Loop: Header=BB6_6496 Depth=4
	v_lshrrev_b16 v38, 2, v103
	v_lshlrev_b32_e32 v39, 24, v103
	s_delay_alu instid0(VALU_DEP_2) | instskip(NEXT) | instid1(VALU_DEP_1)
	v_and_b32_e32 v38, 31, v38
	v_cmp_eq_u32_e32 vcc_lo, 0, v38
	v_and_b32_e32 v27, 3, v103
	s_delay_alu instid0(VALU_DEP_1) | instskip(NEXT) | instid1(VALU_DEP_1)
	v_clz_i32_u32_e32 v36, v27
	v_min_u32_e32 v36, 32, v36
	s_delay_alu instid0(VALU_DEP_1) | instskip(SKIP_1) | instid1(VALU_DEP_1)
	v_subrev_nc_u32_e32 v37, 29, v36
	v_sub_nc_u32_e32 v36, 30, v36
	v_dual_cndmask_b32 v36, v38, v36 :: v_dual_lshlrev_b32 v37, v37, v103
	s_delay_alu instid0(VALU_DEP_1) | instskip(NEXT) | instid1(VALU_DEP_2)
	v_and_b32_e32 v37, 3, v37
	v_lshl_add_u32 v36, v36, 23, 0x37800000
	s_delay_alu instid0(VALU_DEP_2) | instskip(SKIP_1) | instid1(VALU_DEP_2)
	v_cndmask_b32_e32 v27, v27, v37, vcc_lo
	v_and_b32_e32 v37, 0x80000000, v39
	v_lshlrev_b32_e32 v27, 21, v27
	s_delay_alu instid0(VALU_DEP_1)
	v_or3_b32 v27, v37, v36, v27
.LBB6_7154:                             ;   in Loop: Header=BB6_6496 Depth=4
	s_or_b32 exec_lo, exec_lo, s34
	s_delay_alu instid0(VALU_DEP_1) | instskip(SKIP_1) | instid1(VALU_DEP_1)
	v_dual_add_f32 v26, v26, v27 :: v_dual_mov_b32 v103, 0x80
	s_mov_b32 s34, exec_lo
	v_and_b32_e32 v27, 0x7f800000, v26
	s_delay_alu instid0(VALU_DEP_1)
	v_cmpx_ne_u32_e32 0x7f800000, v27
	s_cbranch_execz .LBB6_7162
; %bb.7155:                             ;   in Loop: Header=BB6_6496 Depth=4
	v_mov_b32_e32 v103, 0
	s_mov_b32 s35, exec_lo
	v_cmpx_ne_u32_e32 0, v26
	s_cbranch_execz .LBB6_7161
; %bb.7156:                             ;   in Loop: Header=BB6_6496 Depth=4
	v_bfe_u32 v27, v26, 23, 8
	s_delay_alu instid0(VALU_DEP_1) | instskip(SKIP_1) | instid1(VALU_DEP_2)
	v_sub_nc_u32_e32 v37, 0x70, v27
	v_cmp_gt_u32_e32 vcc_lo, 0x71, v27
	v_dual_cndmask_b32 v37, 0, v37 :: v_dual_and_b32 v36, 0x7fffff, v26
	s_delay_alu instid0(VALU_DEP_1) | instskip(SKIP_2) | instid1(VALU_DEP_4)
	v_or_b32_e32 v38, 0x800000, v36
	v_cmp_eq_u32_e32 vcc_lo, 0, v27
	v_add_nc_u32_e32 v27, 0xffffff91, v27
	v_cndmask_b32_e64 v37, v37, 0x6f, vcc_lo
	s_delay_alu instid0(VALU_DEP_4) | instskip(NEXT) | instid1(VALU_DEP_3)
	v_cndmask_b32_e32 v36, v38, v36, vcc_lo
	v_cndmask_b32_e64 v27, v27, 0xffffff92, vcc_lo
	s_delay_alu instid0(VALU_DEP_3) | instskip(NEXT) | instid1(VALU_DEP_3)
	v_lshl_add_u32 v38, 0x200000, v37, -1
	v_lshrrev_b32_e32 v39, v37, v36
	v_lshlrev_b32_e64 v49, v37, 0x100000
	s_delay_alu instid0(VALU_DEP_4) | instskip(NEXT) | instid1(VALU_DEP_4)
	v_add_nc_u32_e32 v37, v37, v27
	v_and_b32_e32 v36, v38, v36
	s_delay_alu instid0(VALU_DEP_4) | instskip(NEXT) | instid1(VALU_DEP_2)
	v_bfe_u32 v48, v39, 21, 1
	v_cmp_eq_u32_e64 s13, v36, v49
	s_delay_alu instid0(VALU_DEP_2) | instskip(NEXT) | instid1(VALU_DEP_1)
	v_add_nc_u32_e32 v38, -1, v48
	v_cndmask_b32_e64 v36, 0, v38, s13
	v_lshrrev_b32_e32 v38, 23, v39
	s_mov_b32 s13, exec_lo
	s_delay_alu instid0(VALU_DEP_2) | instskip(NEXT) | instid1(VALU_DEP_2)
	v_add_nc_u32_e32 v36, v36, v39
	v_xor_b32_e32 v38, 1, v38
	s_delay_alu instid0(VALU_DEP_2) | instskip(NEXT) | instid1(VALU_DEP_1)
	v_and_b32_e32 v27, 0x1fffff, v36
	v_add_nc_u32_e32 v36, v27, v39
                                        ; implicit-def: $vgpr27
	s_delay_alu instid0(VALU_DEP_3)
	v_cmpx_ne_u32_e64 v37, v38
	s_xor_b32 s13, exec_lo, s13
; %bb.7157:                             ;   in Loop: Header=BB6_6496 Depth=4
	s_delay_alu instid0(VALU_DEP_2) | instskip(SKIP_2) | instid1(VALU_DEP_2)
	v_cmp_lt_u32_e32 vcc_lo, 0xffffff, v36
	v_sub_nc_u32_e32 v27, v37, v38
	v_cndmask_b32_e64 v37, 0, 1, vcc_lo
	v_add_co_ci_u32_e32 v27, vcc_lo, 0, v27, vcc_lo
	s_delay_alu instid0(VALU_DEP_2)
	v_lshrrev_b32_e32 v36, v37, v36
; %bb.7158:                             ;   in Loop: Header=BB6_6496 Depth=4
	s_and_not1_saveexec_b32 s13, s13
; %bb.7159:                             ;   in Loop: Header=BB6_6496 Depth=4
	s_delay_alu instid0(VALU_DEP_1)
	v_bfe_u32 v27, v36, 23, 1
; %bb.7160:                             ;   in Loop: Header=BB6_6496 Depth=4
	s_or_b32 exec_lo, exec_lo, s13
	v_lshrrev_b32_e32 v36, 21, v36
	s_delay_alu instid0(VALU_DEP_2) | instskip(SKIP_2) | instid1(VALU_DEP_2)
	v_cmp_gt_i32_e32 vcc_lo, 32, v27
	v_min_i32_e32 v37, 31, v27
	v_lshrrev_b32_e32 v26, 24, v26
	v_dual_cndmask_b32 v36, 3, v36 :: v_dual_lshlrev_b32 v37, 2, v37
	s_delay_alu instid0(VALU_DEP_2) | instskip(NEXT) | instid1(VALU_DEP_2)
	v_and_b32_e32 v26, 0x80, v26
	v_or_b32_e32 v27, v27, v36
	s_delay_alu instid0(VALU_DEP_1) | instskip(SKIP_1) | instid1(VALU_DEP_1)
	v_cmp_ne_u32_e32 vcc_lo, 0, v27
	v_and_b32_e32 v38, 3, v36
	v_or3_b32 v26, v37, v26, v38
	s_delay_alu instid0(VALU_DEP_1)
	v_cndmask_b32_e32 v103, 0, v26, vcc_lo
.LBB6_7161:                             ;   in Loop: Header=BB6_6496 Depth=4
	s_or_b32 exec_lo, exec_lo, s35
.LBB6_7162:                             ;   in Loop: Header=BB6_6496 Depth=4
	s_delay_alu instid0(SALU_CYCLE_1) | instskip(SKIP_3) | instid1(VALU_DEP_1)
	s_or_b32 exec_lo, exec_lo, s34
	v_and_b32_e32 v27, 0xff, v177
	s_mov_b32 s13, 0
	s_mov_b32 s35, exec_lo
                                        ; implicit-def: $sgpr34
	v_cmpx_lt_i16_e32 0x7f, v27
	s_xor_b32 s35, exec_lo, s35
	s_cbranch_execnz .LBB6_7667
; %bb.7163:                             ;   in Loop: Header=BB6_6496 Depth=4
	s_or_saveexec_b32 s35, s35
	v_mov_b32_e32 v26, s34
	s_xor_b32 exec_lo, exec_lo, s35
	s_cbranch_execnz .LBB6_7670
.LBB6_7164:                             ;   in Loop: Header=BB6_6496 Depth=4
	s_or_b32 exec_lo, exec_lo, s35
	s_and_saveexec_b32 s34, s13
	s_cbranch_execz .LBB6_7166
.LBB6_7165:                             ;   in Loop: Header=BB6_6496 Depth=4
	v_lshrrev_b16 v37, 2, v177
	v_lshlrev_b32_e32 v38, 24, v177
	s_delay_alu instid0(VALU_DEP_2) | instskip(NEXT) | instid1(VALU_DEP_1)
	v_and_b32_e32 v37, 31, v37
	v_cmp_eq_u32_e32 vcc_lo, 0, v37
	v_and_b32_e32 v26, 3, v177
	s_delay_alu instid0(VALU_DEP_1) | instskip(NEXT) | instid1(VALU_DEP_1)
	v_clz_i32_u32_e32 v27, v26
	v_min_u32_e32 v27, 32, v27
	s_delay_alu instid0(VALU_DEP_1) | instskip(SKIP_1) | instid1(VALU_DEP_1)
	v_subrev_nc_u32_e32 v36, 29, v27
	v_sub_nc_u32_e32 v27, 30, v27
	v_dual_cndmask_b32 v27, v37, v27 :: v_dual_lshlrev_b32 v36, v36, v177
	s_delay_alu instid0(VALU_DEP_1) | instskip(NEXT) | instid1(VALU_DEP_2)
	v_and_b32_e32 v36, 3, v36
	v_lshl_add_u32 v27, v27, 23, 0x37800000
	s_delay_alu instid0(VALU_DEP_2) | instskip(SKIP_1) | instid1(VALU_DEP_2)
	v_cndmask_b32_e32 v26, v26, v36, vcc_lo
	v_and_b32_e32 v36, 0x80000000, v38
	v_lshlrev_b32_e32 v26, 21, v26
	s_delay_alu instid0(VALU_DEP_1)
	v_or3_b32 v26, v36, v27, v26
.LBB6_7166:                             ;   in Loop: Header=BB6_6496 Depth=4
	s_or_b32 exec_lo, exec_lo, s34
	s_waitcnt vmcnt(14) lgkmcnt(14)
	v_and_b32_e32 v36, 0xff, v144
	s_mov_b32 s13, 0
	s_mov_b32 s35, exec_lo
                                        ; implicit-def: $sgpr34
	s_delay_alu instid0(VALU_DEP_1)
	v_cmpx_lt_i16_e32 0x7f, v36
	s_xor_b32 s35, exec_lo, s35
	s_cbranch_execnz .LBB6_7671
; %bb.7167:                             ;   in Loop: Header=BB6_6496 Depth=4
	s_or_saveexec_b32 s35, s35
	v_mov_b32_e32 v27, s34
	s_xor_b32 exec_lo, exec_lo, s35
	s_cbranch_execnz .LBB6_7674
.LBB6_7168:                             ;   in Loop: Header=BB6_6496 Depth=4
	s_or_b32 exec_lo, exec_lo, s35
	s_and_saveexec_b32 s34, s13
	s_cbranch_execz .LBB6_7170
.LBB6_7169:                             ;   in Loop: Header=BB6_6496 Depth=4
	v_and_b32_e32 v27, 3, v144
	v_lshrrev_b16 v38, 2, v144
	v_lshlrev_b32_e32 v39, 24, v144
	s_delay_alu instid0(VALU_DEP_3) | instskip(NEXT) | instid1(VALU_DEP_1)
	v_clz_i32_u32_e32 v36, v27
	v_min_u32_e32 v36, 32, v36
	s_delay_alu instid0(VALU_DEP_1) | instskip(SKIP_1) | instid1(VALU_DEP_2)
	v_subrev_nc_u32_e32 v37, 29, v36
	v_sub_nc_u32_e32 v36, 30, v36
	v_lshlrev_b32_e32 v37, v37, v144
	s_delay_alu instid0(VALU_DEP_1) | instskip(SKIP_1) | instid1(VALU_DEP_1)
	v_and_b32_e32 v37, 3, v37
	v_and_b32_e32 v38, 31, v38
	v_cmp_eq_u32_e32 vcc_lo, 0, v38
	s_delay_alu instid0(VALU_DEP_3) | instskip(SKIP_1) | instid1(VALU_DEP_2)
	v_dual_cndmask_b32 v27, v27, v37 :: v_dual_cndmask_b32 v36, v38, v36
	v_and_b32_e32 v37, 0x80000000, v39
	v_lshlrev_b32_e32 v27, 21, v27
	s_delay_alu instid0(VALU_DEP_3) | instskip(NEXT) | instid1(VALU_DEP_1)
	v_lshl_add_u32 v36, v36, 23, 0x37800000
	v_or3_b32 v27, v37, v36, v27
.LBB6_7170:                             ;   in Loop: Header=BB6_6496 Depth=4
	s_or_b32 exec_lo, exec_lo, s34
	s_delay_alu instid0(VALU_DEP_1) | instskip(SKIP_2) | instid1(VALU_DEP_2)
	v_add_f32_e32 v26, v26, v27
	v_mov_b32_e32 v144, 0x80
	s_mov_b32 s34, exec_lo
	v_and_b32_e32 v27, 0x7f800000, v26
	s_delay_alu instid0(VALU_DEP_1)
	v_cmpx_ne_u32_e32 0x7f800000, v27
	s_cbranch_execz .LBB6_7178
; %bb.7171:                             ;   in Loop: Header=BB6_6496 Depth=4
	v_mov_b32_e32 v144, 0
	s_mov_b32 s35, exec_lo
	v_cmpx_ne_u32_e32 0, v26
	s_cbranch_execz .LBB6_7177
; %bb.7172:                             ;   in Loop: Header=BB6_6496 Depth=4
	v_bfe_u32 v27, v26, 23, 8
	s_delay_alu instid0(VALU_DEP_1) | instskip(SKIP_1) | instid1(VALU_DEP_2)
	v_sub_nc_u32_e32 v37, 0x70, v27
	v_cmp_gt_u32_e32 vcc_lo, 0x71, v27
	v_dual_cndmask_b32 v37, 0, v37 :: v_dual_and_b32 v36, 0x7fffff, v26
	s_delay_alu instid0(VALU_DEP_1) | instskip(SKIP_2) | instid1(VALU_DEP_4)
	v_or_b32_e32 v38, 0x800000, v36
	v_cmp_eq_u32_e32 vcc_lo, 0, v27
	v_add_nc_u32_e32 v27, 0xffffff91, v27
	v_cndmask_b32_e64 v37, v37, 0x6f, vcc_lo
	s_delay_alu instid0(VALU_DEP_4) | instskip(NEXT) | instid1(VALU_DEP_3)
	v_cndmask_b32_e32 v36, v38, v36, vcc_lo
	v_cndmask_b32_e64 v27, v27, 0xffffff92, vcc_lo
	s_delay_alu instid0(VALU_DEP_3) | instskip(NEXT) | instid1(VALU_DEP_3)
	v_lshl_add_u32 v38, 0x200000, v37, -1
	v_lshrrev_b32_e32 v39, v37, v36
	v_lshlrev_b32_e64 v49, v37, 0x100000
	s_delay_alu instid0(VALU_DEP_4) | instskip(NEXT) | instid1(VALU_DEP_4)
	v_add_nc_u32_e32 v37, v37, v27
	v_and_b32_e32 v36, v38, v36
	s_delay_alu instid0(VALU_DEP_4) | instskip(NEXT) | instid1(VALU_DEP_2)
	v_bfe_u32 v48, v39, 21, 1
	v_cmp_eq_u32_e64 s13, v36, v49
	s_delay_alu instid0(VALU_DEP_2) | instskip(NEXT) | instid1(VALU_DEP_1)
	v_add_nc_u32_e32 v38, -1, v48
	v_cndmask_b32_e64 v36, 0, v38, s13
	v_lshrrev_b32_e32 v38, 23, v39
	s_mov_b32 s13, exec_lo
	s_delay_alu instid0(VALU_DEP_2) | instskip(NEXT) | instid1(VALU_DEP_2)
	v_add_nc_u32_e32 v36, v36, v39
	v_xor_b32_e32 v38, 1, v38
	s_delay_alu instid0(VALU_DEP_2) | instskip(NEXT) | instid1(VALU_DEP_1)
	v_and_b32_e32 v27, 0x1fffff, v36
	v_add_nc_u32_e32 v36, v27, v39
                                        ; implicit-def: $vgpr27
	s_delay_alu instid0(VALU_DEP_3)
	v_cmpx_ne_u32_e64 v37, v38
	s_xor_b32 s13, exec_lo, s13
; %bb.7173:                             ;   in Loop: Header=BB6_6496 Depth=4
	s_delay_alu instid0(VALU_DEP_2) | instskip(SKIP_2) | instid1(VALU_DEP_2)
	v_cmp_lt_u32_e32 vcc_lo, 0xffffff, v36
	v_sub_nc_u32_e32 v27, v37, v38
	v_cndmask_b32_e64 v37, 0, 1, vcc_lo
	v_add_co_ci_u32_e32 v27, vcc_lo, 0, v27, vcc_lo
	s_delay_alu instid0(VALU_DEP_2)
	v_lshrrev_b32_e32 v36, v37, v36
; %bb.7174:                             ;   in Loop: Header=BB6_6496 Depth=4
	s_and_not1_saveexec_b32 s13, s13
; %bb.7175:                             ;   in Loop: Header=BB6_6496 Depth=4
	s_delay_alu instid0(VALU_DEP_1)
	v_bfe_u32 v27, v36, 23, 1
; %bb.7176:                             ;   in Loop: Header=BB6_6496 Depth=4
	s_or_b32 exec_lo, exec_lo, s13
	v_lshrrev_b32_e32 v36, 21, v36
	s_delay_alu instid0(VALU_DEP_2) | instskip(SKIP_2) | instid1(VALU_DEP_4)
	v_cmp_gt_i32_e32 vcc_lo, 32, v27
	v_lshrrev_b32_e32 v26, 24, v26
	v_min_i32_e32 v37, 31, v27
	v_cndmask_b32_e32 v36, 3, v36, vcc_lo
	s_delay_alu instid0(VALU_DEP_3) | instskip(NEXT) | instid1(VALU_DEP_3)
	v_and_b32_e32 v26, 0x80, v26
	v_lshlrev_b32_e32 v37, 2, v37
	s_delay_alu instid0(VALU_DEP_3) | instskip(SKIP_1) | instid1(VALU_DEP_2)
	v_and_b32_e32 v38, 3, v36
	v_or_b32_e32 v27, v27, v36
	v_or3_b32 v26, v37, v26, v38
	s_delay_alu instid0(VALU_DEP_2) | instskip(NEXT) | instid1(VALU_DEP_2)
	v_cmp_ne_u32_e32 vcc_lo, 0, v27
	v_cndmask_b32_e32 v144, 0, v26, vcc_lo
.LBB6_7177:                             ;   in Loop: Header=BB6_6496 Depth=4
	s_or_b32 exec_lo, exec_lo, s35
.LBB6_7178:                             ;   in Loop: Header=BB6_6496 Depth=4
	s_delay_alu instid0(SALU_CYCLE_1) | instskip(SKIP_3) | instid1(VALU_DEP_1)
	s_or_b32 exec_lo, exec_lo, s34
	v_and_b32_e32 v27, 0xff, v78
	s_mov_b32 s13, 0
	s_mov_b32 s35, exec_lo
                                        ; implicit-def: $sgpr34
	v_cmpx_lt_i16_e32 0x7f, v27
	s_xor_b32 s35, exec_lo, s35
	s_cbranch_execnz .LBB6_7675
; %bb.7179:                             ;   in Loop: Header=BB6_6496 Depth=4
	s_or_saveexec_b32 s35, s35
	v_mov_b32_e32 v26, s34
	s_xor_b32 exec_lo, exec_lo, s35
	s_cbranch_execnz .LBB6_7678
.LBB6_7180:                             ;   in Loop: Header=BB6_6496 Depth=4
	s_or_b32 exec_lo, exec_lo, s35
	s_and_saveexec_b32 s34, s13
	s_cbranch_execz .LBB6_7182
.LBB6_7181:                             ;   in Loop: Header=BB6_6496 Depth=4
	v_lshrrev_b16 v37, 2, v78
	v_lshlrev_b32_e32 v38, 24, v78
	s_delay_alu instid0(VALU_DEP_2) | instskip(NEXT) | instid1(VALU_DEP_1)
	v_and_b32_e32 v37, 31, v37
	v_cmp_eq_u32_e32 vcc_lo, 0, v37
	v_and_b32_e32 v26, 3, v78
	s_delay_alu instid0(VALU_DEP_1) | instskip(NEXT) | instid1(VALU_DEP_1)
	v_clz_i32_u32_e32 v27, v26
	v_min_u32_e32 v27, 32, v27
	s_delay_alu instid0(VALU_DEP_1) | instskip(SKIP_1) | instid1(VALU_DEP_1)
	v_subrev_nc_u32_e32 v36, 29, v27
	v_sub_nc_u32_e32 v27, 30, v27
	v_dual_cndmask_b32 v27, v37, v27 :: v_dual_lshlrev_b32 v36, v36, v78
	s_delay_alu instid0(VALU_DEP_1) | instskip(NEXT) | instid1(VALU_DEP_2)
	v_and_b32_e32 v36, 3, v36
	v_lshl_add_u32 v27, v27, 23, 0x37800000
	s_delay_alu instid0(VALU_DEP_2) | instskip(SKIP_1) | instid1(VALU_DEP_2)
	v_cndmask_b32_e32 v26, v26, v36, vcc_lo
	v_and_b32_e32 v36, 0x80000000, v38
	v_lshlrev_b32_e32 v26, 21, v26
	s_delay_alu instid0(VALU_DEP_1)
	v_or3_b32 v26, v36, v27, v26
.LBB6_7182:                             ;   in Loop: Header=BB6_6496 Depth=4
	s_or_b32 exec_lo, exec_lo, s34
	s_waitcnt vmcnt(13) lgkmcnt(13)
	v_and_b32_e32 v36, 0xff, v96
	s_mov_b32 s13, 0
	s_mov_b32 s35, exec_lo
                                        ; implicit-def: $sgpr34
	s_delay_alu instid0(VALU_DEP_1)
	v_cmpx_lt_i16_e32 0x7f, v36
	s_xor_b32 s35, exec_lo, s35
	s_cbranch_execnz .LBB6_7679
; %bb.7183:                             ;   in Loop: Header=BB6_6496 Depth=4
	s_or_saveexec_b32 s35, s35
	v_mov_b32_e32 v27, s34
	s_xor_b32 exec_lo, exec_lo, s35
	s_cbranch_execnz .LBB6_7682
.LBB6_7184:                             ;   in Loop: Header=BB6_6496 Depth=4
	s_or_b32 exec_lo, exec_lo, s35
	s_and_saveexec_b32 s34, s13
	s_cbranch_execz .LBB6_7186
.LBB6_7185:                             ;   in Loop: Header=BB6_6496 Depth=4
	v_and_b32_e32 v27, 3, v96
	v_lshrrev_b16 v38, 2, v96
	v_lshlrev_b32_e32 v39, 24, v96
	s_delay_alu instid0(VALU_DEP_3) | instskip(NEXT) | instid1(VALU_DEP_1)
	v_clz_i32_u32_e32 v36, v27
	v_min_u32_e32 v36, 32, v36
	s_delay_alu instid0(VALU_DEP_1) | instskip(SKIP_1) | instid1(VALU_DEP_2)
	v_subrev_nc_u32_e32 v37, 29, v36
	v_sub_nc_u32_e32 v36, 30, v36
	v_lshlrev_b32_e32 v37, v37, v96
	s_delay_alu instid0(VALU_DEP_1) | instskip(SKIP_1) | instid1(VALU_DEP_1)
	v_and_b32_e32 v37, 3, v37
	v_and_b32_e32 v38, 31, v38
	v_cmp_eq_u32_e32 vcc_lo, 0, v38
	s_delay_alu instid0(VALU_DEP_3) | instskip(SKIP_1) | instid1(VALU_DEP_2)
	v_dual_cndmask_b32 v27, v27, v37 :: v_dual_cndmask_b32 v36, v38, v36
	v_and_b32_e32 v37, 0x80000000, v39
	v_lshlrev_b32_e32 v27, 21, v27
	s_delay_alu instid0(VALU_DEP_3) | instskip(NEXT) | instid1(VALU_DEP_1)
	v_lshl_add_u32 v36, v36, 23, 0x37800000
	v_or3_b32 v27, v37, v36, v27
.LBB6_7186:                             ;   in Loop: Header=BB6_6496 Depth=4
	s_or_b32 exec_lo, exec_lo, s34
	s_delay_alu instid0(VALU_DEP_1) | instskip(SKIP_2) | instid1(VALU_DEP_2)
	v_add_f32_e32 v26, v26, v27
	v_mov_b32_e32 v96, 0x80
	s_mov_b32 s34, exec_lo
	v_and_b32_e32 v27, 0x7f800000, v26
	s_delay_alu instid0(VALU_DEP_1)
	v_cmpx_ne_u32_e32 0x7f800000, v27
	s_cbranch_execz .LBB6_7194
; %bb.7187:                             ;   in Loop: Header=BB6_6496 Depth=4
	v_mov_b32_e32 v96, 0
	s_mov_b32 s35, exec_lo
	v_cmpx_ne_u32_e32 0, v26
	s_cbranch_execz .LBB6_7193
; %bb.7188:                             ;   in Loop: Header=BB6_6496 Depth=4
	v_bfe_u32 v27, v26, 23, 8
	s_delay_alu instid0(VALU_DEP_1) | instskip(SKIP_1) | instid1(VALU_DEP_2)
	v_sub_nc_u32_e32 v37, 0x70, v27
	v_cmp_gt_u32_e32 vcc_lo, 0x71, v27
	v_dual_cndmask_b32 v37, 0, v37 :: v_dual_and_b32 v36, 0x7fffff, v26
	s_delay_alu instid0(VALU_DEP_1) | instskip(SKIP_2) | instid1(VALU_DEP_4)
	v_or_b32_e32 v38, 0x800000, v36
	v_cmp_eq_u32_e32 vcc_lo, 0, v27
	v_add_nc_u32_e32 v27, 0xffffff91, v27
	v_cndmask_b32_e64 v37, v37, 0x6f, vcc_lo
	s_delay_alu instid0(VALU_DEP_4) | instskip(NEXT) | instid1(VALU_DEP_3)
	v_cndmask_b32_e32 v36, v38, v36, vcc_lo
	v_cndmask_b32_e64 v27, v27, 0xffffff92, vcc_lo
	s_delay_alu instid0(VALU_DEP_3) | instskip(NEXT) | instid1(VALU_DEP_3)
	v_lshl_add_u32 v38, 0x200000, v37, -1
	v_lshrrev_b32_e32 v39, v37, v36
	v_lshlrev_b32_e64 v49, v37, 0x100000
	s_delay_alu instid0(VALU_DEP_4) | instskip(NEXT) | instid1(VALU_DEP_4)
	v_add_nc_u32_e32 v37, v37, v27
	v_and_b32_e32 v36, v38, v36
	s_delay_alu instid0(VALU_DEP_4) | instskip(NEXT) | instid1(VALU_DEP_2)
	v_bfe_u32 v48, v39, 21, 1
	v_cmp_eq_u32_e64 s13, v36, v49
	s_delay_alu instid0(VALU_DEP_2) | instskip(NEXT) | instid1(VALU_DEP_1)
	v_add_nc_u32_e32 v38, -1, v48
	v_cndmask_b32_e64 v36, 0, v38, s13
	v_lshrrev_b32_e32 v38, 23, v39
	s_mov_b32 s13, exec_lo
	s_delay_alu instid0(VALU_DEP_2) | instskip(NEXT) | instid1(VALU_DEP_2)
	v_add_nc_u32_e32 v36, v36, v39
	v_xor_b32_e32 v38, 1, v38
	s_delay_alu instid0(VALU_DEP_2) | instskip(NEXT) | instid1(VALU_DEP_1)
	v_and_b32_e32 v27, 0x1fffff, v36
	v_add_nc_u32_e32 v36, v27, v39
                                        ; implicit-def: $vgpr27
	s_delay_alu instid0(VALU_DEP_3)
	v_cmpx_ne_u32_e64 v37, v38
	s_xor_b32 s13, exec_lo, s13
; %bb.7189:                             ;   in Loop: Header=BB6_6496 Depth=4
	s_delay_alu instid0(VALU_DEP_2) | instskip(SKIP_2) | instid1(VALU_DEP_2)
	v_cmp_lt_u32_e32 vcc_lo, 0xffffff, v36
	v_sub_nc_u32_e32 v27, v37, v38
	v_cndmask_b32_e64 v37, 0, 1, vcc_lo
	v_add_co_ci_u32_e32 v27, vcc_lo, 0, v27, vcc_lo
	s_delay_alu instid0(VALU_DEP_2)
	v_lshrrev_b32_e32 v36, v37, v36
; %bb.7190:                             ;   in Loop: Header=BB6_6496 Depth=4
	s_and_not1_saveexec_b32 s13, s13
; %bb.7191:                             ;   in Loop: Header=BB6_6496 Depth=4
	s_delay_alu instid0(VALU_DEP_1)
	v_bfe_u32 v27, v36, 23, 1
; %bb.7192:                             ;   in Loop: Header=BB6_6496 Depth=4
	s_or_b32 exec_lo, exec_lo, s13
	v_lshrrev_b32_e32 v36, 21, v36
	s_delay_alu instid0(VALU_DEP_2) | instskip(SKIP_2) | instid1(VALU_DEP_4)
	v_cmp_gt_i32_e32 vcc_lo, 32, v27
	v_lshrrev_b32_e32 v26, 24, v26
	v_min_i32_e32 v37, 31, v27
	v_cndmask_b32_e32 v36, 3, v36, vcc_lo
	s_delay_alu instid0(VALU_DEP_3) | instskip(NEXT) | instid1(VALU_DEP_3)
	v_and_b32_e32 v26, 0x80, v26
	v_lshlrev_b32_e32 v37, 2, v37
	s_delay_alu instid0(VALU_DEP_3) | instskip(SKIP_1) | instid1(VALU_DEP_2)
	v_and_b32_e32 v38, 3, v36
	v_or_b32_e32 v27, v27, v36
	v_or3_b32 v26, v37, v26, v38
	s_delay_alu instid0(VALU_DEP_2) | instskip(NEXT) | instid1(VALU_DEP_2)
	v_cmp_ne_u32_e32 vcc_lo, 0, v27
	v_cndmask_b32_e32 v96, 0, v26, vcc_lo
.LBB6_7193:                             ;   in Loop: Header=BB6_6496 Depth=4
	s_or_b32 exec_lo, exec_lo, s35
.LBB6_7194:                             ;   in Loop: Header=BB6_6496 Depth=4
	s_delay_alu instid0(SALU_CYCLE_1) | instskip(SKIP_3) | instid1(VALU_DEP_1)
	s_or_b32 exec_lo, exec_lo, s34
	v_and_b32_e32 v27, 0xff, v165
	s_mov_b32 s13, 0
	s_mov_b32 s35, exec_lo
                                        ; implicit-def: $sgpr34
	v_cmpx_lt_i16_e32 0x7f, v27
	s_xor_b32 s35, exec_lo, s35
	s_cbranch_execnz .LBB6_7683
; %bb.7195:                             ;   in Loop: Header=BB6_6496 Depth=4
	s_or_saveexec_b32 s35, s35
	v_mov_b32_e32 v26, s34
	s_xor_b32 exec_lo, exec_lo, s35
	s_cbranch_execnz .LBB6_7686
.LBB6_7196:                             ;   in Loop: Header=BB6_6496 Depth=4
	s_or_b32 exec_lo, exec_lo, s35
	s_and_saveexec_b32 s34, s13
	s_cbranch_execz .LBB6_7198
.LBB6_7197:                             ;   in Loop: Header=BB6_6496 Depth=4
	v_lshrrev_b16 v37, 2, v165
	v_lshlrev_b32_e32 v38, 24, v165
	s_delay_alu instid0(VALU_DEP_2) | instskip(NEXT) | instid1(VALU_DEP_1)
	v_and_b32_e32 v37, 31, v37
	v_cmp_eq_u32_e32 vcc_lo, 0, v37
	v_and_b32_e32 v26, 3, v165
	s_delay_alu instid0(VALU_DEP_1) | instskip(NEXT) | instid1(VALU_DEP_1)
	v_clz_i32_u32_e32 v27, v26
	v_min_u32_e32 v27, 32, v27
	s_delay_alu instid0(VALU_DEP_1) | instskip(SKIP_1) | instid1(VALU_DEP_1)
	v_subrev_nc_u32_e32 v36, 29, v27
	v_sub_nc_u32_e32 v27, 30, v27
	v_dual_cndmask_b32 v27, v37, v27 :: v_dual_lshlrev_b32 v36, v36, v165
	s_delay_alu instid0(VALU_DEP_1) | instskip(NEXT) | instid1(VALU_DEP_2)
	v_and_b32_e32 v36, 3, v36
	v_lshl_add_u32 v27, v27, 23, 0x37800000
	s_delay_alu instid0(VALU_DEP_2) | instskip(SKIP_1) | instid1(VALU_DEP_2)
	v_cndmask_b32_e32 v26, v26, v36, vcc_lo
	v_and_b32_e32 v36, 0x80000000, v38
	v_lshlrev_b32_e32 v26, 21, v26
	s_delay_alu instid0(VALU_DEP_1)
	v_or3_b32 v26, v36, v27, v26
.LBB6_7198:                             ;   in Loop: Header=BB6_6496 Depth=4
	s_or_b32 exec_lo, exec_lo, s34
	s_waitcnt vmcnt(12) lgkmcnt(12)
	v_and_b32_e32 v36, 0xff, v133
	s_mov_b32 s13, 0
	s_mov_b32 s35, exec_lo
                                        ; implicit-def: $sgpr34
	s_delay_alu instid0(VALU_DEP_1)
	v_cmpx_lt_i16_e32 0x7f, v36
	s_xor_b32 s35, exec_lo, s35
	s_cbranch_execnz .LBB6_7687
; %bb.7199:                             ;   in Loop: Header=BB6_6496 Depth=4
	s_or_saveexec_b32 s35, s35
	v_mov_b32_e32 v27, s34
	s_xor_b32 exec_lo, exec_lo, s35
	s_cbranch_execnz .LBB6_7690
.LBB6_7200:                             ;   in Loop: Header=BB6_6496 Depth=4
	s_or_b32 exec_lo, exec_lo, s35
	s_and_saveexec_b32 s34, s13
	s_cbranch_execz .LBB6_7202
.LBB6_7201:                             ;   in Loop: Header=BB6_6496 Depth=4
	v_lshrrev_b16 v38, 2, v133
	v_lshlrev_b32_e32 v39, 24, v133
	s_delay_alu instid0(VALU_DEP_2) | instskip(NEXT) | instid1(VALU_DEP_1)
	v_and_b32_e32 v38, 31, v38
	v_cmp_eq_u32_e32 vcc_lo, 0, v38
	v_and_b32_e32 v27, 3, v133
	s_delay_alu instid0(VALU_DEP_1) | instskip(NEXT) | instid1(VALU_DEP_1)
	v_clz_i32_u32_e32 v36, v27
	v_min_u32_e32 v36, 32, v36
	s_delay_alu instid0(VALU_DEP_1) | instskip(SKIP_1) | instid1(VALU_DEP_1)
	v_subrev_nc_u32_e32 v37, 29, v36
	v_sub_nc_u32_e32 v36, 30, v36
	v_dual_cndmask_b32 v36, v38, v36 :: v_dual_lshlrev_b32 v37, v37, v133
	s_delay_alu instid0(VALU_DEP_1) | instskip(NEXT) | instid1(VALU_DEP_2)
	v_and_b32_e32 v37, 3, v37
	v_lshl_add_u32 v36, v36, 23, 0x37800000
	s_delay_alu instid0(VALU_DEP_2) | instskip(SKIP_1) | instid1(VALU_DEP_2)
	v_cndmask_b32_e32 v27, v27, v37, vcc_lo
	v_and_b32_e32 v37, 0x80000000, v39
	v_lshlrev_b32_e32 v27, 21, v27
	s_delay_alu instid0(VALU_DEP_1)
	v_or3_b32 v27, v37, v36, v27
.LBB6_7202:                             ;   in Loop: Header=BB6_6496 Depth=4
	s_or_b32 exec_lo, exec_lo, s34
	s_delay_alu instid0(VALU_DEP_1) | instskip(SKIP_1) | instid1(VALU_DEP_1)
	v_dual_add_f32 v26, v26, v27 :: v_dual_mov_b32 v133, 0x80
	s_mov_b32 s34, exec_lo
	v_and_b32_e32 v27, 0x7f800000, v26
	s_delay_alu instid0(VALU_DEP_1)
	v_cmpx_ne_u32_e32 0x7f800000, v27
	s_cbranch_execz .LBB6_7210
; %bb.7203:                             ;   in Loop: Header=BB6_6496 Depth=4
	v_mov_b32_e32 v133, 0
	s_mov_b32 s35, exec_lo
	v_cmpx_ne_u32_e32 0, v26
	s_cbranch_execz .LBB6_7209
; %bb.7204:                             ;   in Loop: Header=BB6_6496 Depth=4
	v_bfe_u32 v27, v26, 23, 8
	s_delay_alu instid0(VALU_DEP_1) | instskip(SKIP_1) | instid1(VALU_DEP_2)
	v_sub_nc_u32_e32 v37, 0x70, v27
	v_cmp_gt_u32_e32 vcc_lo, 0x71, v27
	v_dual_cndmask_b32 v37, 0, v37 :: v_dual_and_b32 v36, 0x7fffff, v26
	s_delay_alu instid0(VALU_DEP_1) | instskip(SKIP_2) | instid1(VALU_DEP_4)
	v_or_b32_e32 v38, 0x800000, v36
	v_cmp_eq_u32_e32 vcc_lo, 0, v27
	v_add_nc_u32_e32 v27, 0xffffff91, v27
	v_cndmask_b32_e64 v37, v37, 0x6f, vcc_lo
	s_delay_alu instid0(VALU_DEP_4) | instskip(NEXT) | instid1(VALU_DEP_3)
	v_cndmask_b32_e32 v36, v38, v36, vcc_lo
	v_cndmask_b32_e64 v27, v27, 0xffffff92, vcc_lo
	s_delay_alu instid0(VALU_DEP_3) | instskip(NEXT) | instid1(VALU_DEP_3)
	v_lshl_add_u32 v38, 0x200000, v37, -1
	v_lshrrev_b32_e32 v39, v37, v36
	v_lshlrev_b32_e64 v49, v37, 0x100000
	s_delay_alu instid0(VALU_DEP_4) | instskip(NEXT) | instid1(VALU_DEP_4)
	v_add_nc_u32_e32 v37, v37, v27
	v_and_b32_e32 v36, v38, v36
	s_delay_alu instid0(VALU_DEP_4) | instskip(NEXT) | instid1(VALU_DEP_2)
	v_bfe_u32 v48, v39, 21, 1
	v_cmp_eq_u32_e64 s13, v36, v49
	s_delay_alu instid0(VALU_DEP_2) | instskip(NEXT) | instid1(VALU_DEP_1)
	v_add_nc_u32_e32 v38, -1, v48
	v_cndmask_b32_e64 v36, 0, v38, s13
	v_lshrrev_b32_e32 v38, 23, v39
	s_mov_b32 s13, exec_lo
	s_delay_alu instid0(VALU_DEP_2) | instskip(NEXT) | instid1(VALU_DEP_2)
	v_add_nc_u32_e32 v36, v36, v39
	v_xor_b32_e32 v38, 1, v38
	s_delay_alu instid0(VALU_DEP_2) | instskip(NEXT) | instid1(VALU_DEP_1)
	v_and_b32_e32 v27, 0x1fffff, v36
	v_add_nc_u32_e32 v36, v27, v39
                                        ; implicit-def: $vgpr27
	s_delay_alu instid0(VALU_DEP_3)
	v_cmpx_ne_u32_e64 v37, v38
	s_xor_b32 s13, exec_lo, s13
; %bb.7205:                             ;   in Loop: Header=BB6_6496 Depth=4
	s_delay_alu instid0(VALU_DEP_2) | instskip(SKIP_2) | instid1(VALU_DEP_2)
	v_cmp_lt_u32_e32 vcc_lo, 0xffffff, v36
	v_sub_nc_u32_e32 v27, v37, v38
	v_cndmask_b32_e64 v37, 0, 1, vcc_lo
	v_add_co_ci_u32_e32 v27, vcc_lo, 0, v27, vcc_lo
	s_delay_alu instid0(VALU_DEP_2)
	v_lshrrev_b32_e32 v36, v37, v36
; %bb.7206:                             ;   in Loop: Header=BB6_6496 Depth=4
	s_and_not1_saveexec_b32 s13, s13
; %bb.7207:                             ;   in Loop: Header=BB6_6496 Depth=4
	s_delay_alu instid0(VALU_DEP_1)
	v_bfe_u32 v27, v36, 23, 1
; %bb.7208:                             ;   in Loop: Header=BB6_6496 Depth=4
	s_or_b32 exec_lo, exec_lo, s13
	v_lshrrev_b32_e32 v36, 21, v36
	s_delay_alu instid0(VALU_DEP_2) | instskip(SKIP_2) | instid1(VALU_DEP_2)
	v_cmp_gt_i32_e32 vcc_lo, 32, v27
	v_min_i32_e32 v37, 31, v27
	v_lshrrev_b32_e32 v26, 24, v26
	v_dual_cndmask_b32 v36, 3, v36 :: v_dual_lshlrev_b32 v37, 2, v37
	s_delay_alu instid0(VALU_DEP_2) | instskip(NEXT) | instid1(VALU_DEP_2)
	v_and_b32_e32 v26, 0x80, v26
	v_or_b32_e32 v27, v27, v36
	s_delay_alu instid0(VALU_DEP_1) | instskip(SKIP_1) | instid1(VALU_DEP_1)
	v_cmp_ne_u32_e32 vcc_lo, 0, v27
	v_and_b32_e32 v38, 3, v36
	v_or3_b32 v26, v37, v26, v38
	s_delay_alu instid0(VALU_DEP_1)
	v_cndmask_b32_e32 v133, 0, v26, vcc_lo
.LBB6_7209:                             ;   in Loop: Header=BB6_6496 Depth=4
	s_or_b32 exec_lo, exec_lo, s35
.LBB6_7210:                             ;   in Loop: Header=BB6_6496 Depth=4
	s_delay_alu instid0(SALU_CYCLE_1) | instskip(SKIP_3) | instid1(VALU_DEP_1)
	s_or_b32 exec_lo, exec_lo, s34
	v_and_b32_e32 v27, 0xff, v77
	s_mov_b32 s13, 0
	s_mov_b32 s35, exec_lo
                                        ; implicit-def: $sgpr34
	v_cmpx_lt_i16_e32 0x7f, v27
	s_xor_b32 s35, exec_lo, s35
	s_cbranch_execnz .LBB6_7691
; %bb.7211:                             ;   in Loop: Header=BB6_6496 Depth=4
	s_or_saveexec_b32 s35, s35
	v_mov_b32_e32 v26, s34
	s_xor_b32 exec_lo, exec_lo, s35
	s_cbranch_execnz .LBB6_7694
.LBB6_7212:                             ;   in Loop: Header=BB6_6496 Depth=4
	s_or_b32 exec_lo, exec_lo, s35
	s_and_saveexec_b32 s34, s13
	s_cbranch_execz .LBB6_7214
.LBB6_7213:                             ;   in Loop: Header=BB6_6496 Depth=4
	v_lshrrev_b16 v37, 2, v77
	v_lshlrev_b32_e32 v38, 24, v77
	s_delay_alu instid0(VALU_DEP_2) | instskip(NEXT) | instid1(VALU_DEP_1)
	v_and_b32_e32 v37, 31, v37
	v_cmp_eq_u32_e32 vcc_lo, 0, v37
	v_and_b32_e32 v26, 3, v77
	s_delay_alu instid0(VALU_DEP_1) | instskip(NEXT) | instid1(VALU_DEP_1)
	v_clz_i32_u32_e32 v27, v26
	v_min_u32_e32 v27, 32, v27
	s_delay_alu instid0(VALU_DEP_1) | instskip(SKIP_1) | instid1(VALU_DEP_1)
	v_subrev_nc_u32_e32 v36, 29, v27
	v_sub_nc_u32_e32 v27, 30, v27
	v_dual_cndmask_b32 v27, v37, v27 :: v_dual_lshlrev_b32 v36, v36, v77
	s_delay_alu instid0(VALU_DEP_1) | instskip(NEXT) | instid1(VALU_DEP_2)
	v_and_b32_e32 v36, 3, v36
	v_lshl_add_u32 v27, v27, 23, 0x37800000
	s_delay_alu instid0(VALU_DEP_2) | instskip(SKIP_1) | instid1(VALU_DEP_2)
	v_cndmask_b32_e32 v26, v26, v36, vcc_lo
	v_and_b32_e32 v36, 0x80000000, v38
	v_lshlrev_b32_e32 v26, 21, v26
	s_delay_alu instid0(VALU_DEP_1)
	v_or3_b32 v26, v36, v27, v26
.LBB6_7214:                             ;   in Loop: Header=BB6_6496 Depth=4
	s_or_b32 exec_lo, exec_lo, s34
	s_waitcnt vmcnt(11) lgkmcnt(11)
	v_and_b32_e32 v36, 0xff, v60
	s_mov_b32 s13, 0
	s_mov_b32 s35, exec_lo
                                        ; implicit-def: $sgpr34
	s_delay_alu instid0(VALU_DEP_1)
	v_cmpx_lt_i16_e32 0x7f, v36
	s_xor_b32 s35, exec_lo, s35
	s_cbranch_execnz .LBB6_7695
; %bb.7215:                             ;   in Loop: Header=BB6_6496 Depth=4
	s_or_saveexec_b32 s35, s35
	v_mov_b32_e32 v27, s34
	s_xor_b32 exec_lo, exec_lo, s35
	s_cbranch_execnz .LBB6_7698
.LBB6_7216:                             ;   in Loop: Header=BB6_6496 Depth=4
	s_or_b32 exec_lo, exec_lo, s35
	s_and_saveexec_b32 s34, s13
	s_cbranch_execz .LBB6_7218
.LBB6_7217:                             ;   in Loop: Header=BB6_6496 Depth=4
	v_and_b32_e32 v27, 3, v60
	v_lshrrev_b16 v38, 2, v60
	v_lshlrev_b32_e32 v39, 24, v60
	s_delay_alu instid0(VALU_DEP_3) | instskip(NEXT) | instid1(VALU_DEP_1)
	v_clz_i32_u32_e32 v36, v27
	v_min_u32_e32 v36, 32, v36
	s_delay_alu instid0(VALU_DEP_1) | instskip(SKIP_1) | instid1(VALU_DEP_2)
	v_subrev_nc_u32_e32 v37, 29, v36
	v_sub_nc_u32_e32 v36, 30, v36
	v_lshlrev_b32_e32 v37, v37, v60
	s_delay_alu instid0(VALU_DEP_1) | instskip(SKIP_1) | instid1(VALU_DEP_1)
	v_and_b32_e32 v37, 3, v37
	v_and_b32_e32 v38, 31, v38
	v_cmp_eq_u32_e32 vcc_lo, 0, v38
	s_delay_alu instid0(VALU_DEP_3) | instskip(SKIP_1) | instid1(VALU_DEP_2)
	v_dual_cndmask_b32 v27, v27, v37 :: v_dual_cndmask_b32 v36, v38, v36
	v_and_b32_e32 v37, 0x80000000, v39
	v_lshlrev_b32_e32 v27, 21, v27
	s_delay_alu instid0(VALU_DEP_3) | instskip(NEXT) | instid1(VALU_DEP_1)
	v_lshl_add_u32 v36, v36, 23, 0x37800000
	v_or3_b32 v27, v37, v36, v27
.LBB6_7218:                             ;   in Loop: Header=BB6_6496 Depth=4
	s_or_b32 exec_lo, exec_lo, s34
	s_delay_alu instid0(VALU_DEP_1) | instskip(SKIP_1) | instid1(VALU_DEP_1)
	v_dual_add_f32 v26, v26, v27 :: v_dual_mov_b32 v129, 0x80
	s_mov_b32 s34, exec_lo
	v_and_b32_e32 v27, 0x7f800000, v26
	s_delay_alu instid0(VALU_DEP_1)
	v_cmpx_ne_u32_e32 0x7f800000, v27
	s_cbranch_execz .LBB6_7226
; %bb.7219:                             ;   in Loop: Header=BB6_6496 Depth=4
	v_mov_b32_e32 v129, 0
	s_mov_b32 s35, exec_lo
	v_cmpx_ne_u32_e32 0, v26
	s_cbranch_execz .LBB6_7225
; %bb.7220:                             ;   in Loop: Header=BB6_6496 Depth=4
	v_bfe_u32 v27, v26, 23, 8
	s_delay_alu instid0(VALU_DEP_1) | instskip(SKIP_1) | instid1(VALU_DEP_2)
	v_sub_nc_u32_e32 v37, 0x70, v27
	v_cmp_gt_u32_e32 vcc_lo, 0x71, v27
	v_dual_cndmask_b32 v37, 0, v37 :: v_dual_and_b32 v36, 0x7fffff, v26
	s_delay_alu instid0(VALU_DEP_1) | instskip(SKIP_2) | instid1(VALU_DEP_4)
	v_or_b32_e32 v38, 0x800000, v36
	v_cmp_eq_u32_e32 vcc_lo, 0, v27
	v_add_nc_u32_e32 v27, 0xffffff91, v27
	v_cndmask_b32_e64 v37, v37, 0x6f, vcc_lo
	s_delay_alu instid0(VALU_DEP_4) | instskip(NEXT) | instid1(VALU_DEP_3)
	v_cndmask_b32_e32 v36, v38, v36, vcc_lo
	v_cndmask_b32_e64 v27, v27, 0xffffff92, vcc_lo
	s_delay_alu instid0(VALU_DEP_3) | instskip(NEXT) | instid1(VALU_DEP_3)
	v_lshl_add_u32 v38, 0x200000, v37, -1
	v_lshrrev_b32_e32 v39, v37, v36
	v_lshlrev_b32_e64 v49, v37, 0x100000
	s_delay_alu instid0(VALU_DEP_4) | instskip(NEXT) | instid1(VALU_DEP_4)
	v_add_nc_u32_e32 v37, v37, v27
	v_and_b32_e32 v36, v38, v36
	s_delay_alu instid0(VALU_DEP_4) | instskip(NEXT) | instid1(VALU_DEP_2)
	v_bfe_u32 v48, v39, 21, 1
	v_cmp_eq_u32_e64 s13, v36, v49
	s_delay_alu instid0(VALU_DEP_2) | instskip(NEXT) | instid1(VALU_DEP_1)
	v_add_nc_u32_e32 v38, -1, v48
	v_cndmask_b32_e64 v36, 0, v38, s13
	v_lshrrev_b32_e32 v38, 23, v39
	s_mov_b32 s13, exec_lo
	s_delay_alu instid0(VALU_DEP_2) | instskip(NEXT) | instid1(VALU_DEP_2)
	v_add_nc_u32_e32 v36, v36, v39
	v_xor_b32_e32 v38, 1, v38
	s_delay_alu instid0(VALU_DEP_2) | instskip(NEXT) | instid1(VALU_DEP_1)
	v_and_b32_e32 v27, 0x1fffff, v36
	v_add_nc_u32_e32 v36, v27, v39
                                        ; implicit-def: $vgpr27
	s_delay_alu instid0(VALU_DEP_3)
	v_cmpx_ne_u32_e64 v37, v38
	s_xor_b32 s13, exec_lo, s13
; %bb.7221:                             ;   in Loop: Header=BB6_6496 Depth=4
	s_delay_alu instid0(VALU_DEP_2) | instskip(SKIP_2) | instid1(VALU_DEP_2)
	v_cmp_lt_u32_e32 vcc_lo, 0xffffff, v36
	v_sub_nc_u32_e32 v27, v37, v38
	v_cndmask_b32_e64 v37, 0, 1, vcc_lo
	v_add_co_ci_u32_e32 v27, vcc_lo, 0, v27, vcc_lo
	s_delay_alu instid0(VALU_DEP_2)
	v_lshrrev_b32_e32 v36, v37, v36
; %bb.7222:                             ;   in Loop: Header=BB6_6496 Depth=4
	s_and_not1_saveexec_b32 s13, s13
; %bb.7223:                             ;   in Loop: Header=BB6_6496 Depth=4
	s_delay_alu instid0(VALU_DEP_1)
	v_bfe_u32 v27, v36, 23, 1
; %bb.7224:                             ;   in Loop: Header=BB6_6496 Depth=4
	s_or_b32 exec_lo, exec_lo, s13
	v_lshrrev_b32_e32 v36, 21, v36
	s_delay_alu instid0(VALU_DEP_2) | instskip(SKIP_2) | instid1(VALU_DEP_2)
	v_cmp_gt_i32_e32 vcc_lo, 32, v27
	v_min_i32_e32 v37, 31, v27
	v_lshrrev_b32_e32 v26, 24, v26
	v_dual_cndmask_b32 v36, 3, v36 :: v_dual_lshlrev_b32 v37, 2, v37
	s_delay_alu instid0(VALU_DEP_2) | instskip(NEXT) | instid1(VALU_DEP_2)
	v_and_b32_e32 v26, 0x80, v26
	v_or_b32_e32 v27, v27, v36
	s_delay_alu instid0(VALU_DEP_1) | instskip(SKIP_1) | instid1(VALU_DEP_1)
	v_cmp_ne_u32_e32 vcc_lo, 0, v27
	v_and_b32_e32 v38, 3, v36
	v_or3_b32 v26, v37, v26, v38
	s_delay_alu instid0(VALU_DEP_1)
	v_cndmask_b32_e32 v129, 0, v26, vcc_lo
.LBB6_7225:                             ;   in Loop: Header=BB6_6496 Depth=4
	s_or_b32 exec_lo, exec_lo, s35
.LBB6_7226:                             ;   in Loop: Header=BB6_6496 Depth=4
	s_delay_alu instid0(SALU_CYCLE_1) | instskip(SKIP_3) | instid1(VALU_DEP_1)
	s_or_b32 exec_lo, exec_lo, s34
	v_and_b32_e32 v27, 0xff, v76
	s_mov_b32 s13, 0
	s_mov_b32 s35, exec_lo
                                        ; implicit-def: $sgpr34
	v_cmpx_lt_i16_e32 0x7f, v27
	s_xor_b32 s35, exec_lo, s35
	s_cbranch_execnz .LBB6_7699
; %bb.7227:                             ;   in Loop: Header=BB6_6496 Depth=4
	s_or_saveexec_b32 s35, s35
	v_mov_b32_e32 v26, s34
	s_xor_b32 exec_lo, exec_lo, s35
	s_cbranch_execnz .LBB6_7702
.LBB6_7228:                             ;   in Loop: Header=BB6_6496 Depth=4
	s_or_b32 exec_lo, exec_lo, s35
	s_and_saveexec_b32 s34, s13
	s_cbranch_execz .LBB6_7230
.LBB6_7229:                             ;   in Loop: Header=BB6_6496 Depth=4
	v_lshrrev_b16 v37, 2, v76
	v_lshlrev_b32_e32 v38, 24, v76
	s_delay_alu instid0(VALU_DEP_2) | instskip(NEXT) | instid1(VALU_DEP_1)
	v_and_b32_e32 v37, 31, v37
	v_cmp_eq_u32_e32 vcc_lo, 0, v37
	v_and_b32_e32 v26, 3, v76
	s_delay_alu instid0(VALU_DEP_1) | instskip(NEXT) | instid1(VALU_DEP_1)
	v_clz_i32_u32_e32 v27, v26
	v_min_u32_e32 v27, 32, v27
	s_delay_alu instid0(VALU_DEP_1) | instskip(SKIP_1) | instid1(VALU_DEP_1)
	v_subrev_nc_u32_e32 v36, 29, v27
	v_sub_nc_u32_e32 v27, 30, v27
	v_dual_cndmask_b32 v27, v37, v27 :: v_dual_lshlrev_b32 v36, v36, v76
	s_delay_alu instid0(VALU_DEP_1) | instskip(NEXT) | instid1(VALU_DEP_2)
	v_and_b32_e32 v36, 3, v36
	v_lshl_add_u32 v27, v27, 23, 0x37800000
	s_delay_alu instid0(VALU_DEP_2) | instskip(SKIP_1) | instid1(VALU_DEP_2)
	v_cndmask_b32_e32 v26, v26, v36, vcc_lo
	v_and_b32_e32 v36, 0x80000000, v38
	v_lshlrev_b32_e32 v26, 21, v26
	s_delay_alu instid0(VALU_DEP_1)
	v_or3_b32 v26, v36, v27, v26
.LBB6_7230:                             ;   in Loop: Header=BB6_6496 Depth=4
	s_or_b32 exec_lo, exec_lo, s34
	s_waitcnt vmcnt(10) lgkmcnt(10)
	v_and_b32_e32 v36, 0xff, v59
	s_mov_b32 s13, 0
	s_mov_b32 s35, exec_lo
                                        ; implicit-def: $sgpr34
	s_delay_alu instid0(VALU_DEP_1)
	v_cmpx_lt_i16_e32 0x7f, v36
	s_xor_b32 s35, exec_lo, s35
	s_cbranch_execnz .LBB6_7703
; %bb.7231:                             ;   in Loop: Header=BB6_6496 Depth=4
	s_or_saveexec_b32 s35, s35
	v_mov_b32_e32 v27, s34
	s_xor_b32 exec_lo, exec_lo, s35
	s_cbranch_execnz .LBB6_7706
.LBB6_7232:                             ;   in Loop: Header=BB6_6496 Depth=4
	s_or_b32 exec_lo, exec_lo, s35
	s_and_saveexec_b32 s34, s13
	s_cbranch_execz .LBB6_7234
.LBB6_7233:                             ;   in Loop: Header=BB6_6496 Depth=4
	v_lshrrev_b16 v38, 2, v59
	v_lshlrev_b32_e32 v39, 24, v59
	s_delay_alu instid0(VALU_DEP_2) | instskip(NEXT) | instid1(VALU_DEP_1)
	v_and_b32_e32 v38, 31, v38
	v_cmp_eq_u32_e32 vcc_lo, 0, v38
	v_and_b32_e32 v27, 3, v59
	s_delay_alu instid0(VALU_DEP_1) | instskip(NEXT) | instid1(VALU_DEP_1)
	v_clz_i32_u32_e32 v36, v27
	v_min_u32_e32 v36, 32, v36
	s_delay_alu instid0(VALU_DEP_1) | instskip(SKIP_1) | instid1(VALU_DEP_1)
	v_subrev_nc_u32_e32 v37, 29, v36
	v_sub_nc_u32_e32 v36, 30, v36
	v_dual_cndmask_b32 v36, v38, v36 :: v_dual_lshlrev_b32 v37, v37, v59
	s_delay_alu instid0(VALU_DEP_1) | instskip(NEXT) | instid1(VALU_DEP_2)
	v_and_b32_e32 v37, 3, v37
	v_lshl_add_u32 v36, v36, 23, 0x37800000
	s_delay_alu instid0(VALU_DEP_2) | instskip(SKIP_1) | instid1(VALU_DEP_2)
	v_cndmask_b32_e32 v27, v27, v37, vcc_lo
	v_and_b32_e32 v37, 0x80000000, v39
	v_lshlrev_b32_e32 v27, 21, v27
	s_delay_alu instid0(VALU_DEP_1)
	v_or3_b32 v27, v37, v36, v27
.LBB6_7234:                             ;   in Loop: Header=BB6_6496 Depth=4
	s_or_b32 exec_lo, exec_lo, s34
	s_delay_alu instid0(VALU_DEP_1) | instskip(SKIP_2) | instid1(VALU_DEP_2)
	v_add_f32_e32 v26, v26, v27
	v_mov_b32_e32 v132, 0x80
	s_mov_b32 s34, exec_lo
	v_and_b32_e32 v27, 0x7f800000, v26
	s_delay_alu instid0(VALU_DEP_1)
	v_cmpx_ne_u32_e32 0x7f800000, v27
	s_cbranch_execz .LBB6_7242
; %bb.7235:                             ;   in Loop: Header=BB6_6496 Depth=4
	v_mov_b32_e32 v132, 0
	s_mov_b32 s35, exec_lo
	v_cmpx_ne_u32_e32 0, v26
	s_cbranch_execz .LBB6_7241
; %bb.7236:                             ;   in Loop: Header=BB6_6496 Depth=4
	v_bfe_u32 v27, v26, 23, 8
	s_delay_alu instid0(VALU_DEP_1) | instskip(SKIP_1) | instid1(VALU_DEP_2)
	v_sub_nc_u32_e32 v37, 0x70, v27
	v_cmp_gt_u32_e32 vcc_lo, 0x71, v27
	v_dual_cndmask_b32 v37, 0, v37 :: v_dual_and_b32 v36, 0x7fffff, v26
	s_delay_alu instid0(VALU_DEP_1) | instskip(SKIP_2) | instid1(VALU_DEP_4)
	v_or_b32_e32 v38, 0x800000, v36
	v_cmp_eq_u32_e32 vcc_lo, 0, v27
	v_add_nc_u32_e32 v27, 0xffffff91, v27
	v_cndmask_b32_e64 v37, v37, 0x6f, vcc_lo
	s_delay_alu instid0(VALU_DEP_4) | instskip(NEXT) | instid1(VALU_DEP_3)
	v_cndmask_b32_e32 v36, v38, v36, vcc_lo
	v_cndmask_b32_e64 v27, v27, 0xffffff92, vcc_lo
	s_delay_alu instid0(VALU_DEP_3) | instskip(NEXT) | instid1(VALU_DEP_3)
	v_lshl_add_u32 v38, 0x200000, v37, -1
	v_lshrrev_b32_e32 v39, v37, v36
	v_lshlrev_b32_e64 v49, v37, 0x100000
	s_delay_alu instid0(VALU_DEP_4) | instskip(NEXT) | instid1(VALU_DEP_4)
	v_add_nc_u32_e32 v37, v37, v27
	v_and_b32_e32 v36, v38, v36
	s_delay_alu instid0(VALU_DEP_4) | instskip(NEXT) | instid1(VALU_DEP_2)
	v_bfe_u32 v48, v39, 21, 1
	v_cmp_eq_u32_e64 s13, v36, v49
	s_delay_alu instid0(VALU_DEP_2) | instskip(NEXT) | instid1(VALU_DEP_1)
	v_add_nc_u32_e32 v38, -1, v48
	v_cndmask_b32_e64 v36, 0, v38, s13
	v_lshrrev_b32_e32 v38, 23, v39
	s_mov_b32 s13, exec_lo
	s_delay_alu instid0(VALU_DEP_2) | instskip(NEXT) | instid1(VALU_DEP_2)
	v_add_nc_u32_e32 v36, v36, v39
	v_xor_b32_e32 v38, 1, v38
	s_delay_alu instid0(VALU_DEP_2) | instskip(NEXT) | instid1(VALU_DEP_1)
	v_and_b32_e32 v27, 0x1fffff, v36
	v_add_nc_u32_e32 v36, v27, v39
                                        ; implicit-def: $vgpr27
	s_delay_alu instid0(VALU_DEP_3)
	v_cmpx_ne_u32_e64 v37, v38
	s_xor_b32 s13, exec_lo, s13
; %bb.7237:                             ;   in Loop: Header=BB6_6496 Depth=4
	s_delay_alu instid0(VALU_DEP_2) | instskip(SKIP_2) | instid1(VALU_DEP_2)
	v_cmp_lt_u32_e32 vcc_lo, 0xffffff, v36
	v_sub_nc_u32_e32 v27, v37, v38
	v_cndmask_b32_e64 v37, 0, 1, vcc_lo
	v_add_co_ci_u32_e32 v27, vcc_lo, 0, v27, vcc_lo
	s_delay_alu instid0(VALU_DEP_2)
	v_lshrrev_b32_e32 v36, v37, v36
; %bb.7238:                             ;   in Loop: Header=BB6_6496 Depth=4
	s_and_not1_saveexec_b32 s13, s13
; %bb.7239:                             ;   in Loop: Header=BB6_6496 Depth=4
	s_delay_alu instid0(VALU_DEP_1)
	v_bfe_u32 v27, v36, 23, 1
; %bb.7240:                             ;   in Loop: Header=BB6_6496 Depth=4
	s_or_b32 exec_lo, exec_lo, s13
	v_lshrrev_b32_e32 v36, 21, v36
	s_delay_alu instid0(VALU_DEP_2) | instskip(SKIP_2) | instid1(VALU_DEP_4)
	v_cmp_gt_i32_e32 vcc_lo, 32, v27
	v_lshrrev_b32_e32 v26, 24, v26
	v_min_i32_e32 v37, 31, v27
	v_cndmask_b32_e32 v36, 3, v36, vcc_lo
	s_delay_alu instid0(VALU_DEP_3) | instskip(NEXT) | instid1(VALU_DEP_3)
	v_and_b32_e32 v26, 0x80, v26
	v_lshlrev_b32_e32 v37, 2, v37
	s_delay_alu instid0(VALU_DEP_3) | instskip(SKIP_1) | instid1(VALU_DEP_2)
	v_and_b32_e32 v38, 3, v36
	v_or_b32_e32 v27, v27, v36
	v_or3_b32 v26, v37, v26, v38
	s_delay_alu instid0(VALU_DEP_2) | instskip(NEXT) | instid1(VALU_DEP_2)
	v_cmp_ne_u32_e32 vcc_lo, 0, v27
	v_cndmask_b32_e32 v132, 0, v26, vcc_lo
.LBB6_7241:                             ;   in Loop: Header=BB6_6496 Depth=4
	s_or_b32 exec_lo, exec_lo, s35
.LBB6_7242:                             ;   in Loop: Header=BB6_6496 Depth=4
	s_delay_alu instid0(SALU_CYCLE_1) | instskip(SKIP_3) | instid1(VALU_DEP_1)
	s_or_b32 exec_lo, exec_lo, s34
	v_and_b32_e32 v27, 0xff, v161
	s_mov_b32 s13, 0
	s_mov_b32 s35, exec_lo
                                        ; implicit-def: $sgpr34
	v_cmpx_lt_i16_e32 0x7f, v27
	s_xor_b32 s35, exec_lo, s35
	s_cbranch_execnz .LBB6_7707
; %bb.7243:                             ;   in Loop: Header=BB6_6496 Depth=4
	s_or_saveexec_b32 s35, s35
	v_mov_b32_e32 v26, s34
	s_xor_b32 exec_lo, exec_lo, s35
	s_cbranch_execnz .LBB6_7710
.LBB6_7244:                             ;   in Loop: Header=BB6_6496 Depth=4
	s_or_b32 exec_lo, exec_lo, s35
	s_and_saveexec_b32 s34, s13
	s_cbranch_execz .LBB6_7246
.LBB6_7245:                             ;   in Loop: Header=BB6_6496 Depth=4
	v_lshrrev_b16 v37, 2, v161
	v_lshlrev_b32_e32 v38, 24, v161
	s_delay_alu instid0(VALU_DEP_2) | instskip(NEXT) | instid1(VALU_DEP_1)
	v_and_b32_e32 v37, 31, v37
	v_cmp_eq_u32_e32 vcc_lo, 0, v37
	v_and_b32_e32 v26, 3, v161
	s_delay_alu instid0(VALU_DEP_1) | instskip(NEXT) | instid1(VALU_DEP_1)
	v_clz_i32_u32_e32 v27, v26
	v_min_u32_e32 v27, 32, v27
	s_delay_alu instid0(VALU_DEP_1) | instskip(SKIP_1) | instid1(VALU_DEP_1)
	v_subrev_nc_u32_e32 v36, 29, v27
	v_sub_nc_u32_e32 v27, 30, v27
	v_dual_cndmask_b32 v27, v37, v27 :: v_dual_lshlrev_b32 v36, v36, v161
	s_delay_alu instid0(VALU_DEP_1) | instskip(NEXT) | instid1(VALU_DEP_2)
	v_and_b32_e32 v36, 3, v36
	v_lshl_add_u32 v27, v27, 23, 0x37800000
	s_delay_alu instid0(VALU_DEP_2) | instskip(SKIP_1) | instid1(VALU_DEP_2)
	v_cndmask_b32_e32 v26, v26, v36, vcc_lo
	v_and_b32_e32 v36, 0x80000000, v38
	v_lshlrev_b32_e32 v26, 21, v26
	s_delay_alu instid0(VALU_DEP_1)
	v_or3_b32 v26, v36, v27, v26
.LBB6_7246:                             ;   in Loop: Header=BB6_6496 Depth=4
	s_or_b32 exec_lo, exec_lo, s34
	s_waitcnt vmcnt(9) lgkmcnt(9)
	v_and_b32_e32 v36, 0xff, v58
	s_mov_b32 s13, 0
	s_mov_b32 s35, exec_lo
                                        ; implicit-def: $sgpr34
	s_delay_alu instid0(VALU_DEP_1)
	v_cmpx_lt_i16_e32 0x7f, v36
	s_xor_b32 s35, exec_lo, s35
	s_cbranch_execnz .LBB6_7711
; %bb.7247:                             ;   in Loop: Header=BB6_6496 Depth=4
	s_or_saveexec_b32 s35, s35
	v_mov_b32_e32 v27, s34
	s_xor_b32 exec_lo, exec_lo, s35
	s_cbranch_execnz .LBB6_7714
.LBB6_7248:                             ;   in Loop: Header=BB6_6496 Depth=4
	s_or_b32 exec_lo, exec_lo, s35
	s_and_saveexec_b32 s34, s13
	s_cbranch_execz .LBB6_7250
.LBB6_7249:                             ;   in Loop: Header=BB6_6496 Depth=4
	v_lshrrev_b16 v38, 2, v58
	v_lshlrev_b32_e32 v39, 24, v58
	s_delay_alu instid0(VALU_DEP_2) | instskip(NEXT) | instid1(VALU_DEP_1)
	v_and_b32_e32 v38, 31, v38
	v_cmp_eq_u32_e32 vcc_lo, 0, v38
	v_and_b32_e32 v27, 3, v58
	s_delay_alu instid0(VALU_DEP_1) | instskip(NEXT) | instid1(VALU_DEP_1)
	v_clz_i32_u32_e32 v36, v27
	v_min_u32_e32 v36, 32, v36
	s_delay_alu instid0(VALU_DEP_1) | instskip(SKIP_1) | instid1(VALU_DEP_1)
	v_subrev_nc_u32_e32 v37, 29, v36
	v_sub_nc_u32_e32 v36, 30, v36
	v_dual_cndmask_b32 v36, v38, v36 :: v_dual_lshlrev_b32 v37, v37, v58
	s_delay_alu instid0(VALU_DEP_1) | instskip(NEXT) | instid1(VALU_DEP_2)
	v_and_b32_e32 v37, 3, v37
	v_lshl_add_u32 v36, v36, 23, 0x37800000
	s_delay_alu instid0(VALU_DEP_2) | instskip(SKIP_1) | instid1(VALU_DEP_2)
	v_cndmask_b32_e32 v27, v27, v37, vcc_lo
	v_and_b32_e32 v37, 0x80000000, v39
	v_lshlrev_b32_e32 v27, 21, v27
	s_delay_alu instid0(VALU_DEP_1)
	v_or3_b32 v27, v37, v36, v27
.LBB6_7250:                             ;   in Loop: Header=BB6_6496 Depth=4
	s_or_b32 exec_lo, exec_lo, s34
	s_delay_alu instid0(VALU_DEP_1) | instskip(SKIP_1) | instid1(VALU_DEP_1)
	v_dual_add_f32 v26, v26, v27 :: v_dual_mov_b32 v115, 0x80
	s_mov_b32 s34, exec_lo
	v_and_b32_e32 v27, 0x7f800000, v26
	s_delay_alu instid0(VALU_DEP_1)
	v_cmpx_ne_u32_e32 0x7f800000, v27
	s_cbranch_execz .LBB6_7258
; %bb.7251:                             ;   in Loop: Header=BB6_6496 Depth=4
	v_mov_b32_e32 v115, 0
	s_mov_b32 s35, exec_lo
	v_cmpx_ne_u32_e32 0, v26
	s_cbranch_execz .LBB6_7257
; %bb.7252:                             ;   in Loop: Header=BB6_6496 Depth=4
	v_bfe_u32 v27, v26, 23, 8
	s_delay_alu instid0(VALU_DEP_1) | instskip(SKIP_1) | instid1(VALU_DEP_2)
	v_sub_nc_u32_e32 v37, 0x70, v27
	v_cmp_gt_u32_e32 vcc_lo, 0x71, v27
	v_dual_cndmask_b32 v37, 0, v37 :: v_dual_and_b32 v36, 0x7fffff, v26
	s_delay_alu instid0(VALU_DEP_1) | instskip(SKIP_2) | instid1(VALU_DEP_4)
	v_or_b32_e32 v38, 0x800000, v36
	v_cmp_eq_u32_e32 vcc_lo, 0, v27
	v_add_nc_u32_e32 v27, 0xffffff91, v27
	v_cndmask_b32_e64 v37, v37, 0x6f, vcc_lo
	s_delay_alu instid0(VALU_DEP_4) | instskip(NEXT) | instid1(VALU_DEP_3)
	v_cndmask_b32_e32 v36, v38, v36, vcc_lo
	v_cndmask_b32_e64 v27, v27, 0xffffff92, vcc_lo
	s_delay_alu instid0(VALU_DEP_3) | instskip(NEXT) | instid1(VALU_DEP_3)
	v_lshl_add_u32 v38, 0x200000, v37, -1
	v_lshrrev_b32_e32 v39, v37, v36
	v_lshlrev_b32_e64 v49, v37, 0x100000
	s_delay_alu instid0(VALU_DEP_4) | instskip(NEXT) | instid1(VALU_DEP_4)
	v_add_nc_u32_e32 v37, v37, v27
	v_and_b32_e32 v36, v38, v36
	s_delay_alu instid0(VALU_DEP_4) | instskip(NEXT) | instid1(VALU_DEP_2)
	v_bfe_u32 v48, v39, 21, 1
	v_cmp_eq_u32_e64 s13, v36, v49
	s_delay_alu instid0(VALU_DEP_2) | instskip(NEXT) | instid1(VALU_DEP_1)
	v_add_nc_u32_e32 v38, -1, v48
	v_cndmask_b32_e64 v36, 0, v38, s13
	v_lshrrev_b32_e32 v38, 23, v39
	s_mov_b32 s13, exec_lo
	s_delay_alu instid0(VALU_DEP_2) | instskip(NEXT) | instid1(VALU_DEP_2)
	v_add_nc_u32_e32 v36, v36, v39
	v_xor_b32_e32 v38, 1, v38
	s_delay_alu instid0(VALU_DEP_2) | instskip(NEXT) | instid1(VALU_DEP_1)
	v_and_b32_e32 v27, 0x1fffff, v36
	v_add_nc_u32_e32 v36, v27, v39
                                        ; implicit-def: $vgpr27
	s_delay_alu instid0(VALU_DEP_3)
	v_cmpx_ne_u32_e64 v37, v38
	s_xor_b32 s13, exec_lo, s13
; %bb.7253:                             ;   in Loop: Header=BB6_6496 Depth=4
	s_delay_alu instid0(VALU_DEP_2) | instskip(SKIP_2) | instid1(VALU_DEP_2)
	v_cmp_lt_u32_e32 vcc_lo, 0xffffff, v36
	v_sub_nc_u32_e32 v27, v37, v38
	v_cndmask_b32_e64 v37, 0, 1, vcc_lo
	v_add_co_ci_u32_e32 v27, vcc_lo, 0, v27, vcc_lo
	s_delay_alu instid0(VALU_DEP_2)
	v_lshrrev_b32_e32 v36, v37, v36
; %bb.7254:                             ;   in Loop: Header=BB6_6496 Depth=4
	s_and_not1_saveexec_b32 s13, s13
; %bb.7255:                             ;   in Loop: Header=BB6_6496 Depth=4
	s_delay_alu instid0(VALU_DEP_1)
	v_bfe_u32 v27, v36, 23, 1
; %bb.7256:                             ;   in Loop: Header=BB6_6496 Depth=4
	s_or_b32 exec_lo, exec_lo, s13
	v_lshrrev_b32_e32 v36, 21, v36
	s_delay_alu instid0(VALU_DEP_2) | instskip(SKIP_2) | instid1(VALU_DEP_2)
	v_cmp_gt_i32_e32 vcc_lo, 32, v27
	v_min_i32_e32 v37, 31, v27
	v_lshrrev_b32_e32 v26, 24, v26
	v_dual_cndmask_b32 v36, 3, v36 :: v_dual_lshlrev_b32 v37, 2, v37
	s_delay_alu instid0(VALU_DEP_2) | instskip(NEXT) | instid1(VALU_DEP_2)
	v_and_b32_e32 v26, 0x80, v26
	v_or_b32_e32 v27, v27, v36
	s_delay_alu instid0(VALU_DEP_1) | instskip(SKIP_1) | instid1(VALU_DEP_1)
	v_cmp_ne_u32_e32 vcc_lo, 0, v27
	v_and_b32_e32 v38, 3, v36
	v_or3_b32 v26, v37, v26, v38
	s_delay_alu instid0(VALU_DEP_1)
	v_cndmask_b32_e32 v115, 0, v26, vcc_lo
.LBB6_7257:                             ;   in Loop: Header=BB6_6496 Depth=4
	s_or_b32 exec_lo, exec_lo, s35
.LBB6_7258:                             ;   in Loop: Header=BB6_6496 Depth=4
	s_delay_alu instid0(SALU_CYCLE_1) | instskip(SKIP_3) | instid1(VALU_DEP_1)
	s_or_b32 exec_lo, exec_lo, s34
	v_and_b32_e32 v27, 0xff, v151
	s_mov_b32 s13, 0
	s_mov_b32 s35, exec_lo
                                        ; implicit-def: $sgpr34
	v_cmpx_lt_i16_e32 0x7f, v27
	s_xor_b32 s35, exec_lo, s35
	s_cbranch_execnz .LBB6_7715
; %bb.7259:                             ;   in Loop: Header=BB6_6496 Depth=4
	s_or_saveexec_b32 s35, s35
	v_mov_b32_e32 v26, s34
	s_xor_b32 exec_lo, exec_lo, s35
	s_cbranch_execnz .LBB6_7718
.LBB6_7260:                             ;   in Loop: Header=BB6_6496 Depth=4
	s_or_b32 exec_lo, exec_lo, s35
	s_and_saveexec_b32 s34, s13
	s_cbranch_execz .LBB6_7262
.LBB6_7261:                             ;   in Loop: Header=BB6_6496 Depth=4
	v_and_b32_e32 v26, 3, v151
	v_lshrrev_b16 v37, 2, v151
	v_lshlrev_b32_e32 v38, 24, v151
	s_delay_alu instid0(VALU_DEP_3) | instskip(NEXT) | instid1(VALU_DEP_1)
	v_clz_i32_u32_e32 v27, v26
	v_min_u32_e32 v27, 32, v27
	s_delay_alu instid0(VALU_DEP_1) | instskip(SKIP_1) | instid1(VALU_DEP_2)
	v_subrev_nc_u32_e32 v36, 29, v27
	v_sub_nc_u32_e32 v27, 30, v27
	v_lshlrev_b32_e32 v36, v36, v151
	s_delay_alu instid0(VALU_DEP_1) | instskip(SKIP_1) | instid1(VALU_DEP_1)
	v_and_b32_e32 v36, 3, v36
	v_and_b32_e32 v37, 31, v37
	v_cmp_eq_u32_e32 vcc_lo, 0, v37
	s_delay_alu instid0(VALU_DEP_3) | instskip(SKIP_1) | instid1(VALU_DEP_2)
	v_dual_cndmask_b32 v26, v26, v36 :: v_dual_cndmask_b32 v27, v37, v27
	v_and_b32_e32 v36, 0x80000000, v38
	v_lshlrev_b32_e32 v26, 21, v26
	s_delay_alu instid0(VALU_DEP_3) | instskip(NEXT) | instid1(VALU_DEP_1)
	v_lshl_add_u32 v27, v27, 23, 0x37800000
	v_or3_b32 v26, v36, v27, v26
.LBB6_7262:                             ;   in Loop: Header=BB6_6496 Depth=4
	s_or_b32 exec_lo, exec_lo, s34
	s_waitcnt vmcnt(8) lgkmcnt(8)
	v_and_b32_e32 v36, 0xff, v57
	s_mov_b32 s13, 0
	s_mov_b32 s35, exec_lo
                                        ; implicit-def: $sgpr34
	s_delay_alu instid0(VALU_DEP_1)
	v_cmpx_lt_i16_e32 0x7f, v36
	s_xor_b32 s35, exec_lo, s35
	s_cbranch_execnz .LBB6_7719
; %bb.7263:                             ;   in Loop: Header=BB6_6496 Depth=4
	s_or_saveexec_b32 s35, s35
	v_mov_b32_e32 v27, s34
	s_xor_b32 exec_lo, exec_lo, s35
	s_cbranch_execnz .LBB6_7722
.LBB6_7264:                             ;   in Loop: Header=BB6_6496 Depth=4
	s_or_b32 exec_lo, exec_lo, s35
	s_and_saveexec_b32 s34, s13
	s_cbranch_execz .LBB6_7266
.LBB6_7265:                             ;   in Loop: Header=BB6_6496 Depth=4
	v_lshrrev_b16 v38, 2, v57
	v_lshlrev_b32_e32 v39, 24, v57
	s_delay_alu instid0(VALU_DEP_2) | instskip(NEXT) | instid1(VALU_DEP_1)
	v_and_b32_e32 v38, 31, v38
	v_cmp_eq_u32_e32 vcc_lo, 0, v38
	v_and_b32_e32 v27, 3, v57
	s_delay_alu instid0(VALU_DEP_1) | instskip(NEXT) | instid1(VALU_DEP_1)
	v_clz_i32_u32_e32 v36, v27
	v_min_u32_e32 v36, 32, v36
	s_delay_alu instid0(VALU_DEP_1) | instskip(SKIP_1) | instid1(VALU_DEP_1)
	v_subrev_nc_u32_e32 v37, 29, v36
	v_sub_nc_u32_e32 v36, 30, v36
	v_dual_cndmask_b32 v36, v38, v36 :: v_dual_lshlrev_b32 v37, v37, v57
	s_delay_alu instid0(VALU_DEP_1) | instskip(NEXT) | instid1(VALU_DEP_2)
	v_and_b32_e32 v37, 3, v37
	v_lshl_add_u32 v36, v36, 23, 0x37800000
	s_delay_alu instid0(VALU_DEP_2) | instskip(SKIP_1) | instid1(VALU_DEP_2)
	v_cndmask_b32_e32 v27, v27, v37, vcc_lo
	v_and_b32_e32 v37, 0x80000000, v39
	v_lshlrev_b32_e32 v27, 21, v27
	s_delay_alu instid0(VALU_DEP_1)
	v_or3_b32 v27, v37, v36, v27
.LBB6_7266:                             ;   in Loop: Header=BB6_6496 Depth=4
	s_or_b32 exec_lo, exec_lo, s34
	s_delay_alu instid0(VALU_DEP_1) | instskip(SKIP_1) | instid1(VALU_DEP_1)
	v_dual_add_f32 v26, v26, v27 :: v_dual_mov_b32 v151, 0x80
	s_mov_b32 s34, exec_lo
	v_and_b32_e32 v27, 0x7f800000, v26
	s_delay_alu instid0(VALU_DEP_1)
	v_cmpx_ne_u32_e32 0x7f800000, v27
	s_cbranch_execz .LBB6_7274
; %bb.7267:                             ;   in Loop: Header=BB6_6496 Depth=4
	v_mov_b32_e32 v151, 0
	s_mov_b32 s35, exec_lo
	v_cmpx_ne_u32_e32 0, v26
	s_cbranch_execz .LBB6_7273
; %bb.7268:                             ;   in Loop: Header=BB6_6496 Depth=4
	v_bfe_u32 v27, v26, 23, 8
	s_delay_alu instid0(VALU_DEP_1) | instskip(SKIP_1) | instid1(VALU_DEP_2)
	v_sub_nc_u32_e32 v37, 0x70, v27
	v_cmp_gt_u32_e32 vcc_lo, 0x71, v27
	v_dual_cndmask_b32 v37, 0, v37 :: v_dual_and_b32 v36, 0x7fffff, v26
	s_delay_alu instid0(VALU_DEP_1) | instskip(SKIP_2) | instid1(VALU_DEP_4)
	v_or_b32_e32 v38, 0x800000, v36
	v_cmp_eq_u32_e32 vcc_lo, 0, v27
	v_add_nc_u32_e32 v27, 0xffffff91, v27
	v_cndmask_b32_e64 v37, v37, 0x6f, vcc_lo
	s_delay_alu instid0(VALU_DEP_4) | instskip(NEXT) | instid1(VALU_DEP_3)
	v_cndmask_b32_e32 v36, v38, v36, vcc_lo
	v_cndmask_b32_e64 v27, v27, 0xffffff92, vcc_lo
	s_delay_alu instid0(VALU_DEP_3) | instskip(NEXT) | instid1(VALU_DEP_3)
	v_lshl_add_u32 v38, 0x200000, v37, -1
	v_lshrrev_b32_e32 v39, v37, v36
	v_lshlrev_b32_e64 v49, v37, 0x100000
	s_delay_alu instid0(VALU_DEP_4) | instskip(NEXT) | instid1(VALU_DEP_4)
	v_add_nc_u32_e32 v37, v37, v27
	v_and_b32_e32 v36, v38, v36
	s_delay_alu instid0(VALU_DEP_4) | instskip(NEXT) | instid1(VALU_DEP_2)
	v_bfe_u32 v48, v39, 21, 1
	v_cmp_eq_u32_e64 s13, v36, v49
	s_delay_alu instid0(VALU_DEP_2) | instskip(NEXT) | instid1(VALU_DEP_1)
	v_add_nc_u32_e32 v38, -1, v48
	v_cndmask_b32_e64 v36, 0, v38, s13
	v_lshrrev_b32_e32 v38, 23, v39
	s_mov_b32 s13, exec_lo
	s_delay_alu instid0(VALU_DEP_2) | instskip(NEXT) | instid1(VALU_DEP_2)
	v_add_nc_u32_e32 v36, v36, v39
	v_xor_b32_e32 v38, 1, v38
	s_delay_alu instid0(VALU_DEP_2) | instskip(NEXT) | instid1(VALU_DEP_1)
	v_and_b32_e32 v27, 0x1fffff, v36
	v_add_nc_u32_e32 v36, v27, v39
                                        ; implicit-def: $vgpr27
	s_delay_alu instid0(VALU_DEP_3)
	v_cmpx_ne_u32_e64 v37, v38
	s_xor_b32 s13, exec_lo, s13
; %bb.7269:                             ;   in Loop: Header=BB6_6496 Depth=4
	s_delay_alu instid0(VALU_DEP_2) | instskip(SKIP_2) | instid1(VALU_DEP_2)
	v_cmp_lt_u32_e32 vcc_lo, 0xffffff, v36
	v_sub_nc_u32_e32 v27, v37, v38
	v_cndmask_b32_e64 v37, 0, 1, vcc_lo
	v_add_co_ci_u32_e32 v27, vcc_lo, 0, v27, vcc_lo
	s_delay_alu instid0(VALU_DEP_2)
	v_lshrrev_b32_e32 v36, v37, v36
; %bb.7270:                             ;   in Loop: Header=BB6_6496 Depth=4
	s_and_not1_saveexec_b32 s13, s13
; %bb.7271:                             ;   in Loop: Header=BB6_6496 Depth=4
	s_delay_alu instid0(VALU_DEP_1)
	v_bfe_u32 v27, v36, 23, 1
; %bb.7272:                             ;   in Loop: Header=BB6_6496 Depth=4
	s_or_b32 exec_lo, exec_lo, s13
	v_lshrrev_b32_e32 v36, 21, v36
	s_delay_alu instid0(VALU_DEP_2) | instskip(SKIP_2) | instid1(VALU_DEP_2)
	v_cmp_gt_i32_e32 vcc_lo, 32, v27
	v_min_i32_e32 v37, 31, v27
	v_lshrrev_b32_e32 v26, 24, v26
	v_dual_cndmask_b32 v36, 3, v36 :: v_dual_lshlrev_b32 v37, 2, v37
	s_delay_alu instid0(VALU_DEP_2) | instskip(NEXT) | instid1(VALU_DEP_2)
	v_and_b32_e32 v26, 0x80, v26
	v_or_b32_e32 v27, v27, v36
	s_delay_alu instid0(VALU_DEP_1) | instskip(SKIP_1) | instid1(VALU_DEP_1)
	v_cmp_ne_u32_e32 vcc_lo, 0, v27
	v_and_b32_e32 v38, 3, v36
	v_or3_b32 v26, v37, v26, v38
	s_delay_alu instid0(VALU_DEP_1)
	v_cndmask_b32_e32 v151, 0, v26, vcc_lo
.LBB6_7273:                             ;   in Loop: Header=BB6_6496 Depth=4
	s_or_b32 exec_lo, exec_lo, s35
.LBB6_7274:                             ;   in Loop: Header=BB6_6496 Depth=4
	s_delay_alu instid0(SALU_CYCLE_1) | instskip(SKIP_3) | instid1(VALU_DEP_1)
	s_or_b32 exec_lo, exec_lo, s34
	v_and_b32_e32 v27, 0xff, v149
	s_mov_b32 s13, 0
	s_mov_b32 s35, exec_lo
                                        ; implicit-def: $sgpr34
	v_cmpx_lt_i16_e32 0x7f, v27
	s_xor_b32 s35, exec_lo, s35
	s_cbranch_execnz .LBB6_7723
; %bb.7275:                             ;   in Loop: Header=BB6_6496 Depth=4
	s_or_saveexec_b32 s35, s35
	v_mov_b32_e32 v26, s34
	s_xor_b32 exec_lo, exec_lo, s35
	s_cbranch_execnz .LBB6_7726
.LBB6_7276:                             ;   in Loop: Header=BB6_6496 Depth=4
	s_or_b32 exec_lo, exec_lo, s35
	s_and_saveexec_b32 s34, s13
	s_cbranch_execz .LBB6_7278
.LBB6_7277:                             ;   in Loop: Header=BB6_6496 Depth=4
	v_lshrrev_b16 v37, 2, v149
	v_lshlrev_b32_e32 v38, 24, v149
	s_delay_alu instid0(VALU_DEP_2) | instskip(NEXT) | instid1(VALU_DEP_1)
	v_and_b32_e32 v37, 31, v37
	v_cmp_eq_u32_e32 vcc_lo, 0, v37
	v_and_b32_e32 v26, 3, v149
	s_delay_alu instid0(VALU_DEP_1) | instskip(NEXT) | instid1(VALU_DEP_1)
	v_clz_i32_u32_e32 v27, v26
	v_min_u32_e32 v27, 32, v27
	s_delay_alu instid0(VALU_DEP_1) | instskip(SKIP_1) | instid1(VALU_DEP_1)
	v_subrev_nc_u32_e32 v36, 29, v27
	v_sub_nc_u32_e32 v27, 30, v27
	v_dual_cndmask_b32 v27, v37, v27 :: v_dual_lshlrev_b32 v36, v36, v149
	s_delay_alu instid0(VALU_DEP_1) | instskip(NEXT) | instid1(VALU_DEP_2)
	v_and_b32_e32 v36, 3, v36
	v_lshl_add_u32 v27, v27, 23, 0x37800000
	s_delay_alu instid0(VALU_DEP_2) | instskip(SKIP_1) | instid1(VALU_DEP_2)
	v_cndmask_b32_e32 v26, v26, v36, vcc_lo
	v_and_b32_e32 v36, 0x80000000, v38
	v_lshlrev_b32_e32 v26, 21, v26
	s_delay_alu instid0(VALU_DEP_1)
	v_or3_b32 v26, v36, v27, v26
.LBB6_7278:                             ;   in Loop: Header=BB6_6496 Depth=4
	s_or_b32 exec_lo, exec_lo, s34
	s_waitcnt vmcnt(7) lgkmcnt(7)
	v_and_b32_e32 v36, 0xff, v45
	s_mov_b32 s13, 0
	s_mov_b32 s35, exec_lo
                                        ; implicit-def: $sgpr34
	s_delay_alu instid0(VALU_DEP_1)
	v_cmpx_lt_i16_e32 0x7f, v36
	s_xor_b32 s35, exec_lo, s35
	s_cbranch_execnz .LBB6_7727
; %bb.7279:                             ;   in Loop: Header=BB6_6496 Depth=4
	s_or_saveexec_b32 s35, s35
	v_mov_b32_e32 v27, s34
	s_xor_b32 exec_lo, exec_lo, s35
	s_cbranch_execnz .LBB6_7730
.LBB6_7280:                             ;   in Loop: Header=BB6_6496 Depth=4
	s_or_b32 exec_lo, exec_lo, s35
	s_and_saveexec_b32 s34, s13
	s_cbranch_execz .LBB6_7282
.LBB6_7281:                             ;   in Loop: Header=BB6_6496 Depth=4
	v_lshrrev_b16 v38, 2, v45
	v_lshlrev_b32_e32 v39, 24, v45
	s_delay_alu instid0(VALU_DEP_2) | instskip(NEXT) | instid1(VALU_DEP_1)
	v_and_b32_e32 v38, 31, v38
	v_cmp_eq_u32_e32 vcc_lo, 0, v38
	v_and_b32_e32 v27, 3, v45
	s_delay_alu instid0(VALU_DEP_1) | instskip(NEXT) | instid1(VALU_DEP_1)
	v_clz_i32_u32_e32 v36, v27
	v_min_u32_e32 v36, 32, v36
	s_delay_alu instid0(VALU_DEP_1) | instskip(SKIP_1) | instid1(VALU_DEP_1)
	v_subrev_nc_u32_e32 v37, 29, v36
	v_sub_nc_u32_e32 v36, 30, v36
	v_dual_cndmask_b32 v36, v38, v36 :: v_dual_lshlrev_b32 v37, v37, v45
	s_delay_alu instid0(VALU_DEP_1) | instskip(NEXT) | instid1(VALU_DEP_2)
	v_and_b32_e32 v37, 3, v37
	v_lshl_add_u32 v36, v36, 23, 0x37800000
	s_delay_alu instid0(VALU_DEP_2) | instskip(SKIP_1) | instid1(VALU_DEP_2)
	v_cndmask_b32_e32 v27, v27, v37, vcc_lo
	v_and_b32_e32 v37, 0x80000000, v39
	v_lshlrev_b32_e32 v27, 21, v27
	s_delay_alu instid0(VALU_DEP_1)
	v_or3_b32 v27, v37, v36, v27
.LBB6_7282:                             ;   in Loop: Header=BB6_6496 Depth=4
	s_or_b32 exec_lo, exec_lo, s34
	s_delay_alu instid0(VALU_DEP_1) | instskip(SKIP_2) | instid1(VALU_DEP_2)
	v_add_f32_e32 v26, v26, v27
	v_mov_b32_e32 v52, 0x80
	s_mov_b32 s34, exec_lo
	v_and_b32_e32 v27, 0x7f800000, v26
	s_delay_alu instid0(VALU_DEP_1)
	v_cmpx_ne_u32_e32 0x7f800000, v27
	s_cbranch_execz .LBB6_7290
; %bb.7283:                             ;   in Loop: Header=BB6_6496 Depth=4
	v_mov_b32_e32 v52, 0
	s_mov_b32 s35, exec_lo
	v_cmpx_ne_u32_e32 0, v26
	s_cbranch_execz .LBB6_7289
; %bb.7284:                             ;   in Loop: Header=BB6_6496 Depth=4
	v_bfe_u32 v27, v26, 23, 8
	s_delay_alu instid0(VALU_DEP_1) | instskip(SKIP_1) | instid1(VALU_DEP_2)
	v_sub_nc_u32_e32 v37, 0x70, v27
	v_cmp_gt_u32_e32 vcc_lo, 0x71, v27
	v_dual_cndmask_b32 v37, 0, v37 :: v_dual_and_b32 v36, 0x7fffff, v26
	s_delay_alu instid0(VALU_DEP_1) | instskip(SKIP_2) | instid1(VALU_DEP_4)
	v_or_b32_e32 v38, 0x800000, v36
	v_cmp_eq_u32_e32 vcc_lo, 0, v27
	v_add_nc_u32_e32 v27, 0xffffff91, v27
	v_cndmask_b32_e64 v37, v37, 0x6f, vcc_lo
	s_delay_alu instid0(VALU_DEP_4) | instskip(NEXT) | instid1(VALU_DEP_3)
	v_cndmask_b32_e32 v36, v38, v36, vcc_lo
	v_cndmask_b32_e64 v27, v27, 0xffffff92, vcc_lo
	s_delay_alu instid0(VALU_DEP_3) | instskip(NEXT) | instid1(VALU_DEP_3)
	v_lshl_add_u32 v38, 0x200000, v37, -1
	v_lshrrev_b32_e32 v39, v37, v36
	v_lshlrev_b32_e64 v49, v37, 0x100000
	s_delay_alu instid0(VALU_DEP_4) | instskip(NEXT) | instid1(VALU_DEP_4)
	v_add_nc_u32_e32 v37, v37, v27
	v_and_b32_e32 v36, v38, v36
	s_delay_alu instid0(VALU_DEP_4) | instskip(NEXT) | instid1(VALU_DEP_2)
	v_bfe_u32 v48, v39, 21, 1
	v_cmp_eq_u32_e64 s13, v36, v49
	s_delay_alu instid0(VALU_DEP_2) | instskip(NEXT) | instid1(VALU_DEP_1)
	v_add_nc_u32_e32 v38, -1, v48
	v_cndmask_b32_e64 v36, 0, v38, s13
	v_lshrrev_b32_e32 v38, 23, v39
	s_mov_b32 s13, exec_lo
	s_delay_alu instid0(VALU_DEP_2) | instskip(NEXT) | instid1(VALU_DEP_2)
	v_add_nc_u32_e32 v36, v36, v39
	v_xor_b32_e32 v38, 1, v38
	s_delay_alu instid0(VALU_DEP_2) | instskip(NEXT) | instid1(VALU_DEP_1)
	v_and_b32_e32 v27, 0x1fffff, v36
	v_add_nc_u32_e32 v36, v27, v39
                                        ; implicit-def: $vgpr27
	s_delay_alu instid0(VALU_DEP_3)
	v_cmpx_ne_u32_e64 v37, v38
	s_xor_b32 s13, exec_lo, s13
; %bb.7285:                             ;   in Loop: Header=BB6_6496 Depth=4
	s_delay_alu instid0(VALU_DEP_2) | instskip(SKIP_2) | instid1(VALU_DEP_2)
	v_cmp_lt_u32_e32 vcc_lo, 0xffffff, v36
	v_sub_nc_u32_e32 v27, v37, v38
	v_cndmask_b32_e64 v37, 0, 1, vcc_lo
	v_add_co_ci_u32_e32 v27, vcc_lo, 0, v27, vcc_lo
	s_delay_alu instid0(VALU_DEP_2)
	v_lshrrev_b32_e32 v36, v37, v36
; %bb.7286:                             ;   in Loop: Header=BB6_6496 Depth=4
	s_and_not1_saveexec_b32 s13, s13
; %bb.7287:                             ;   in Loop: Header=BB6_6496 Depth=4
	s_delay_alu instid0(VALU_DEP_1)
	v_bfe_u32 v27, v36, 23, 1
; %bb.7288:                             ;   in Loop: Header=BB6_6496 Depth=4
	s_or_b32 exec_lo, exec_lo, s13
	v_lshrrev_b32_e32 v36, 21, v36
	s_delay_alu instid0(VALU_DEP_2) | instskip(SKIP_2) | instid1(VALU_DEP_4)
	v_cmp_gt_i32_e32 vcc_lo, 32, v27
	v_lshrrev_b32_e32 v26, 24, v26
	v_min_i32_e32 v37, 31, v27
	v_cndmask_b32_e32 v36, 3, v36, vcc_lo
	s_delay_alu instid0(VALU_DEP_3) | instskip(NEXT) | instid1(VALU_DEP_3)
	v_and_b32_e32 v26, 0x80, v26
	v_lshlrev_b32_e32 v37, 2, v37
	s_delay_alu instid0(VALU_DEP_3) | instskip(SKIP_1) | instid1(VALU_DEP_2)
	v_and_b32_e32 v38, 3, v36
	v_or_b32_e32 v27, v27, v36
	v_or3_b32 v26, v37, v26, v38
	s_delay_alu instid0(VALU_DEP_2) | instskip(NEXT) | instid1(VALU_DEP_2)
	v_cmp_ne_u32_e32 vcc_lo, 0, v27
	v_cndmask_b32_e32 v52, 0, v26, vcc_lo
.LBB6_7289:                             ;   in Loop: Header=BB6_6496 Depth=4
	s_or_b32 exec_lo, exec_lo, s35
.LBB6_7290:                             ;   in Loop: Header=BB6_6496 Depth=4
	s_delay_alu instid0(SALU_CYCLE_1) | instskip(SKIP_3) | instid1(VALU_DEP_1)
	s_or_b32 exec_lo, exec_lo, s34
	v_and_b32_e32 v27, 0xff, v85
	s_mov_b32 s13, 0
	s_mov_b32 s35, exec_lo
                                        ; implicit-def: $sgpr34
	v_cmpx_lt_i16_e32 0x7f, v27
	s_xor_b32 s35, exec_lo, s35
	s_cbranch_execnz .LBB6_7731
; %bb.7291:                             ;   in Loop: Header=BB6_6496 Depth=4
	s_or_saveexec_b32 s35, s35
	v_mov_b32_e32 v26, s34
	s_xor_b32 exec_lo, exec_lo, s35
	s_cbranch_execnz .LBB6_7734
.LBB6_7292:                             ;   in Loop: Header=BB6_6496 Depth=4
	s_or_b32 exec_lo, exec_lo, s35
	s_and_saveexec_b32 s34, s13
	s_cbranch_execz .LBB6_7294
.LBB6_7293:                             ;   in Loop: Header=BB6_6496 Depth=4
	v_lshrrev_b16 v37, 2, v85
	v_lshlrev_b32_e32 v38, 24, v85
	s_delay_alu instid0(VALU_DEP_2) | instskip(NEXT) | instid1(VALU_DEP_1)
	v_and_b32_e32 v37, 31, v37
	v_cmp_eq_u32_e32 vcc_lo, 0, v37
	v_and_b32_e32 v26, 3, v85
	s_delay_alu instid0(VALU_DEP_1) | instskip(NEXT) | instid1(VALU_DEP_1)
	v_clz_i32_u32_e32 v27, v26
	v_min_u32_e32 v27, 32, v27
	s_delay_alu instid0(VALU_DEP_1) | instskip(SKIP_1) | instid1(VALU_DEP_1)
	v_subrev_nc_u32_e32 v36, 29, v27
	v_sub_nc_u32_e32 v27, 30, v27
	v_dual_cndmask_b32 v27, v37, v27 :: v_dual_lshlrev_b32 v36, v36, v85
	s_delay_alu instid0(VALU_DEP_1) | instskip(NEXT) | instid1(VALU_DEP_2)
	v_and_b32_e32 v36, 3, v36
	v_lshl_add_u32 v27, v27, 23, 0x37800000
	s_delay_alu instid0(VALU_DEP_2) | instskip(SKIP_1) | instid1(VALU_DEP_2)
	v_cndmask_b32_e32 v26, v26, v36, vcc_lo
	v_and_b32_e32 v36, 0x80000000, v38
	v_lshlrev_b32_e32 v26, 21, v26
	s_delay_alu instid0(VALU_DEP_1)
	v_or3_b32 v26, v36, v27, v26
.LBB6_7294:                             ;   in Loop: Header=BB6_6496 Depth=4
	s_or_b32 exec_lo, exec_lo, s34
	s_waitcnt vmcnt(6) lgkmcnt(6)
	v_and_b32_e32 v36, 0xff, v40
	s_mov_b32 s13, 0
	s_mov_b32 s35, exec_lo
                                        ; implicit-def: $sgpr34
	s_delay_alu instid0(VALU_DEP_1)
	v_cmpx_lt_i16_e32 0x7f, v36
	s_xor_b32 s35, exec_lo, s35
	s_cbranch_execnz .LBB6_7735
; %bb.7295:                             ;   in Loop: Header=BB6_6496 Depth=4
	s_or_saveexec_b32 s35, s35
	v_mov_b32_e32 v27, s34
	s_xor_b32 exec_lo, exec_lo, s35
	s_cbranch_execnz .LBB6_7738
.LBB6_7296:                             ;   in Loop: Header=BB6_6496 Depth=4
	s_or_b32 exec_lo, exec_lo, s35
	s_and_saveexec_b32 s34, s13
	s_cbranch_execz .LBB6_7298
.LBB6_7297:                             ;   in Loop: Header=BB6_6496 Depth=4
	v_and_b32_e32 v27, 3, v40
	v_lshrrev_b16 v38, 2, v40
	v_lshlrev_b32_e32 v39, 24, v40
	s_delay_alu instid0(VALU_DEP_3) | instskip(NEXT) | instid1(VALU_DEP_1)
	v_clz_i32_u32_e32 v36, v27
	v_min_u32_e32 v36, 32, v36
	s_delay_alu instid0(VALU_DEP_1) | instskip(SKIP_1) | instid1(VALU_DEP_2)
	v_subrev_nc_u32_e32 v37, 29, v36
	v_sub_nc_u32_e32 v36, 30, v36
	v_lshlrev_b32_e32 v37, v37, v40
	s_delay_alu instid0(VALU_DEP_1) | instskip(SKIP_1) | instid1(VALU_DEP_1)
	v_and_b32_e32 v37, 3, v37
	v_and_b32_e32 v38, 31, v38
	v_cmp_eq_u32_e32 vcc_lo, 0, v38
	s_delay_alu instid0(VALU_DEP_3) | instskip(SKIP_1) | instid1(VALU_DEP_2)
	v_dual_cndmask_b32 v27, v27, v37 :: v_dual_cndmask_b32 v36, v38, v36
	v_and_b32_e32 v37, 0x80000000, v39
	v_lshlrev_b32_e32 v27, 21, v27
	s_delay_alu instid0(VALU_DEP_3) | instskip(NEXT) | instid1(VALU_DEP_1)
	v_lshl_add_u32 v36, v36, 23, 0x37800000
	v_or3_b32 v27, v37, v36, v27
.LBB6_7298:                             ;   in Loop: Header=BB6_6496 Depth=4
	s_or_b32 exec_lo, exec_lo, s34
	s_delay_alu instid0(VALU_DEP_1) | instskip(NEXT) | instid1(VALU_DEP_1)
	v_add_f32_e32 v27, v26, v27
	v_and_b32_e32 v26, 0x7f800000, v27
	s_delay_alu instid0(VALU_DEP_1)
	v_cmp_ne_u32_e32 vcc_lo, 0x7f800000, v26
	v_mov_b32_e32 v26, 0x80
	s_and_saveexec_b32 s34, vcc_lo
	s_cbranch_execz .LBB6_7306
; %bb.7299:                             ;   in Loop: Header=BB6_6496 Depth=4
	v_mov_b32_e32 v26, 0
	s_mov_b32 s35, exec_lo
	v_cmpx_ne_u32_e32 0, v27
	s_cbranch_execz .LBB6_7305
; %bb.7300:                             ;   in Loop: Header=BB6_6496 Depth=4
	v_bfe_u32 v26, v27, 23, 8
	s_delay_alu instid0(VALU_DEP_1) | instskip(SKIP_1) | instid1(VALU_DEP_2)
	v_sub_nc_u32_e32 v37, 0x70, v26
	v_cmp_gt_u32_e32 vcc_lo, 0x71, v26
	v_dual_cndmask_b32 v37, 0, v37 :: v_dual_and_b32 v36, 0x7fffff, v27
	s_delay_alu instid0(VALU_DEP_1) | instskip(SKIP_2) | instid1(VALU_DEP_4)
	v_or_b32_e32 v38, 0x800000, v36
	v_cmp_eq_u32_e32 vcc_lo, 0, v26
	v_add_nc_u32_e32 v26, 0xffffff91, v26
	v_cndmask_b32_e64 v37, v37, 0x6f, vcc_lo
	s_delay_alu instid0(VALU_DEP_2) | instskip(SKIP_1) | instid1(VALU_DEP_3)
	v_cndmask_b32_e64 v26, v26, 0xffffff92, vcc_lo
	v_cndmask_b32_e32 v36, v38, v36, vcc_lo
	v_lshl_add_u32 v38, 0x200000, v37, -1
	v_lshlrev_b32_e64 v49, v37, 0x100000
	s_delay_alu instid0(VALU_DEP_3) | instskip(SKIP_1) | instid1(VALU_DEP_4)
	v_lshrrev_b32_e32 v39, v37, v36
	v_add_nc_u32_e32 v37, v37, v26
	v_and_b32_e32 v36, v38, v36
	s_delay_alu instid0(VALU_DEP_3) | instskip(NEXT) | instid1(VALU_DEP_2)
	v_bfe_u32 v48, v39, 21, 1
	v_cmp_eq_u32_e64 s13, v36, v49
	s_delay_alu instid0(VALU_DEP_2) | instskip(NEXT) | instid1(VALU_DEP_1)
	v_add_nc_u32_e32 v38, -1, v48
	v_cndmask_b32_e64 v36, 0, v38, s13
	v_lshrrev_b32_e32 v38, 23, v39
	s_mov_b32 s13, exec_lo
	s_delay_alu instid0(VALU_DEP_2) | instskip(NEXT) | instid1(VALU_DEP_2)
	v_add_nc_u32_e32 v36, v36, v39
	v_xor_b32_e32 v38, 1, v38
	s_delay_alu instid0(VALU_DEP_2) | instskip(NEXT) | instid1(VALU_DEP_1)
	v_and_b32_e32 v26, 0x1fffff, v36
	v_add_nc_u32_e32 v36, v26, v39
                                        ; implicit-def: $vgpr26
	s_delay_alu instid0(VALU_DEP_3)
	v_cmpx_ne_u32_e64 v37, v38
	s_xor_b32 s13, exec_lo, s13
; %bb.7301:                             ;   in Loop: Header=BB6_6496 Depth=4
	s_delay_alu instid0(VALU_DEP_2) | instskip(SKIP_2) | instid1(VALU_DEP_2)
	v_cmp_lt_u32_e32 vcc_lo, 0xffffff, v36
	v_sub_nc_u32_e32 v26, v37, v38
	v_cndmask_b32_e64 v37, 0, 1, vcc_lo
	v_add_co_ci_u32_e32 v26, vcc_lo, 0, v26, vcc_lo
	s_delay_alu instid0(VALU_DEP_2)
	v_lshrrev_b32_e32 v36, v37, v36
; %bb.7302:                             ;   in Loop: Header=BB6_6496 Depth=4
	s_and_not1_saveexec_b32 s13, s13
; %bb.7303:                             ;   in Loop: Header=BB6_6496 Depth=4
	s_delay_alu instid0(VALU_DEP_1)
	v_bfe_u32 v26, v36, 23, 1
; %bb.7304:                             ;   in Loop: Header=BB6_6496 Depth=4
	s_or_b32 exec_lo, exec_lo, s13
	v_lshrrev_b32_e32 v36, 21, v36
	s_delay_alu instid0(VALU_DEP_2) | instskip(SKIP_2) | instid1(VALU_DEP_2)
	v_cmp_gt_i32_e32 vcc_lo, 32, v26
	v_lshrrev_b32_e32 v27, 24, v27
	v_min_i32_e32 v37, 31, v26
	v_dual_cndmask_b32 v36, 3, v36 :: v_dual_and_b32 v27, 0x80, v27
	s_delay_alu instid0(VALU_DEP_1) | instskip(SKIP_1) | instid1(VALU_DEP_2)
	v_or_b32_e32 v26, v26, v36
	v_and_b32_e32 v38, 3, v36
	v_cmp_ne_u32_e32 vcc_lo, 0, v26
	v_lshlrev_b32_e32 v37, 2, v37
	s_delay_alu instid0(VALU_DEP_1) | instskip(NEXT) | instid1(VALU_DEP_1)
	v_or3_b32 v27, v37, v27, v38
	v_cndmask_b32_e32 v26, 0, v27, vcc_lo
.LBB6_7305:                             ;   in Loop: Header=BB6_6496 Depth=4
	s_or_b32 exec_lo, exec_lo, s35
.LBB6_7306:                             ;   in Loop: Header=BB6_6496 Depth=4
	s_delay_alu instid0(SALU_CYCLE_1) | instskip(SKIP_3) | instid1(VALU_DEP_1)
	s_or_b32 exec_lo, exec_lo, s34
	v_and_b32_e32 v36, 0xff, v83
	s_mov_b32 s13, 0
	s_mov_b32 s35, exec_lo
                                        ; implicit-def: $sgpr34
	v_cmpx_lt_i16_e32 0x7f, v36
	s_xor_b32 s35, exec_lo, s35
	s_cbranch_execnz .LBB6_7739
; %bb.7307:                             ;   in Loop: Header=BB6_6496 Depth=4
	s_or_saveexec_b32 s35, s35
	v_mov_b32_e32 v27, s34
	s_xor_b32 exec_lo, exec_lo, s35
	s_cbranch_execnz .LBB6_7742
.LBB6_7308:                             ;   in Loop: Header=BB6_6496 Depth=4
	s_or_b32 exec_lo, exec_lo, s35
	s_and_saveexec_b32 s34, s13
	s_cbranch_execz .LBB6_7310
.LBB6_7309:                             ;   in Loop: Header=BB6_6496 Depth=4
	v_lshrrev_b16 v38, 2, v83
	v_lshlrev_b32_e32 v39, 24, v83
	s_delay_alu instid0(VALU_DEP_2) | instskip(NEXT) | instid1(VALU_DEP_1)
	v_and_b32_e32 v38, 31, v38
	v_cmp_eq_u32_e32 vcc_lo, 0, v38
	v_and_b32_e32 v27, 3, v83
	s_delay_alu instid0(VALU_DEP_1) | instskip(NEXT) | instid1(VALU_DEP_1)
	v_clz_i32_u32_e32 v36, v27
	v_min_u32_e32 v36, 32, v36
	s_delay_alu instid0(VALU_DEP_1) | instskip(SKIP_1) | instid1(VALU_DEP_1)
	v_subrev_nc_u32_e32 v37, 29, v36
	v_sub_nc_u32_e32 v36, 30, v36
	v_dual_cndmask_b32 v36, v38, v36 :: v_dual_lshlrev_b32 v37, v37, v83
	s_delay_alu instid0(VALU_DEP_1) | instskip(NEXT) | instid1(VALU_DEP_2)
	v_and_b32_e32 v37, 3, v37
	v_lshl_add_u32 v36, v36, 23, 0x37800000
	s_delay_alu instid0(VALU_DEP_2) | instskip(SKIP_1) | instid1(VALU_DEP_2)
	v_cndmask_b32_e32 v27, v27, v37, vcc_lo
	v_and_b32_e32 v37, 0x80000000, v39
	v_lshlrev_b32_e32 v27, 21, v27
	s_delay_alu instid0(VALU_DEP_1)
	v_or3_b32 v27, v37, v36, v27
.LBB6_7310:                             ;   in Loop: Header=BB6_6496 Depth=4
	s_or_b32 exec_lo, exec_lo, s34
	s_waitcnt vmcnt(5) lgkmcnt(5)
	v_and_b32_e32 v37, 0xff, v74
	s_mov_b32 s13, 0
	s_mov_b32 s35, exec_lo
                                        ; implicit-def: $sgpr34
	s_delay_alu instid0(VALU_DEP_1)
	v_cmpx_lt_i16_e32 0x7f, v37
	s_xor_b32 s35, exec_lo, s35
	s_cbranch_execnz .LBB6_7743
; %bb.7311:                             ;   in Loop: Header=BB6_6496 Depth=4
	s_or_saveexec_b32 s35, s35
	v_mov_b32_e32 v36, s34
	s_xor_b32 exec_lo, exec_lo, s35
	s_cbranch_execnz .LBB6_7746
.LBB6_7312:                             ;   in Loop: Header=BB6_6496 Depth=4
	s_or_b32 exec_lo, exec_lo, s35
	s_and_saveexec_b32 s34, s13
	s_cbranch_execz .LBB6_7314
.LBB6_7313:                             ;   in Loop: Header=BB6_6496 Depth=4
	v_lshrrev_b16 v39, 2, v74
	v_lshlrev_b32_e32 v48, 24, v74
	s_delay_alu instid0(VALU_DEP_2) | instskip(NEXT) | instid1(VALU_DEP_1)
	v_and_b32_e32 v39, 31, v39
	v_cmp_eq_u32_e32 vcc_lo, 0, v39
	v_and_b32_e32 v36, 3, v74
	s_delay_alu instid0(VALU_DEP_1) | instskip(NEXT) | instid1(VALU_DEP_1)
	v_clz_i32_u32_e32 v37, v36
	v_min_u32_e32 v37, 32, v37
	s_delay_alu instid0(VALU_DEP_1) | instskip(SKIP_1) | instid1(VALU_DEP_1)
	v_subrev_nc_u32_e32 v38, 29, v37
	v_sub_nc_u32_e32 v37, 30, v37
	v_dual_cndmask_b32 v37, v39, v37 :: v_dual_lshlrev_b32 v38, v38, v74
	s_delay_alu instid0(VALU_DEP_1) | instskip(NEXT) | instid1(VALU_DEP_2)
	v_and_b32_e32 v38, 3, v38
	v_lshl_add_u32 v37, v37, 23, 0x37800000
	s_delay_alu instid0(VALU_DEP_2) | instskip(SKIP_1) | instid1(VALU_DEP_2)
	v_cndmask_b32_e32 v36, v36, v38, vcc_lo
	v_and_b32_e32 v38, 0x80000000, v48
	v_lshlrev_b32_e32 v36, 21, v36
	s_delay_alu instid0(VALU_DEP_1)
	v_or3_b32 v36, v38, v37, v36
.LBB6_7314:                             ;   in Loop: Header=BB6_6496 Depth=4
	s_or_b32 exec_lo, exec_lo, s34
	s_delay_alu instid0(VALU_DEP_1) | instskip(NEXT) | instid1(VALU_DEP_1)
	v_add_f32_e32 v36, v27, v36
	v_and_b32_e32 v27, 0x7f800000, v36
	s_delay_alu instid0(VALU_DEP_1)
	v_cmp_ne_u32_e32 vcc_lo, 0x7f800000, v27
	v_mov_b32_e32 v27, 0x80
	s_and_saveexec_b32 s34, vcc_lo
	s_cbranch_execz .LBB6_7322
; %bb.7315:                             ;   in Loop: Header=BB6_6496 Depth=4
	v_mov_b32_e32 v27, 0
	s_mov_b32 s35, exec_lo
	v_cmpx_ne_u32_e32 0, v36
	s_cbranch_execz .LBB6_7321
; %bb.7316:                             ;   in Loop: Header=BB6_6496 Depth=4
	v_bfe_u32 v27, v36, 23, 8
	s_delay_alu instid0(VALU_DEP_1) | instskip(SKIP_1) | instid1(VALU_DEP_2)
	v_sub_nc_u32_e32 v38, 0x70, v27
	v_cmp_gt_u32_e32 vcc_lo, 0x71, v27
	v_dual_cndmask_b32 v38, 0, v38 :: v_dual_and_b32 v37, 0x7fffff, v36
	s_delay_alu instid0(VALU_DEP_1) | instskip(SKIP_2) | instid1(VALU_DEP_4)
	v_or_b32_e32 v39, 0x800000, v37
	v_cmp_eq_u32_e32 vcc_lo, 0, v27
	v_add_nc_u32_e32 v27, 0xffffff91, v27
	v_cndmask_b32_e64 v38, v38, 0x6f, vcc_lo
	s_delay_alu instid0(VALU_DEP_2) | instskip(SKIP_1) | instid1(VALU_DEP_3)
	v_cndmask_b32_e64 v27, v27, 0xffffff92, vcc_lo
	v_cndmask_b32_e32 v37, v39, v37, vcc_lo
	v_lshl_add_u32 v39, 0x200000, v38, -1
	v_lshlrev_b32_e64 v50, v38, 0x100000
	s_delay_alu instid0(VALU_DEP_3) | instskip(SKIP_1) | instid1(VALU_DEP_4)
	v_lshrrev_b32_e32 v48, v38, v37
	v_add_nc_u32_e32 v38, v38, v27
	v_and_b32_e32 v37, v39, v37
	s_delay_alu instid0(VALU_DEP_3) | instskip(NEXT) | instid1(VALU_DEP_2)
	v_bfe_u32 v49, v48, 21, 1
	v_cmp_eq_u32_e64 s13, v37, v50
	s_delay_alu instid0(VALU_DEP_2) | instskip(NEXT) | instid1(VALU_DEP_1)
	v_add_nc_u32_e32 v39, -1, v49
	v_cndmask_b32_e64 v37, 0, v39, s13
	v_lshrrev_b32_e32 v39, 23, v48
	s_mov_b32 s13, exec_lo
	s_delay_alu instid0(VALU_DEP_2) | instskip(NEXT) | instid1(VALU_DEP_2)
	v_add_nc_u32_e32 v37, v37, v48
	v_xor_b32_e32 v39, 1, v39
	s_delay_alu instid0(VALU_DEP_2) | instskip(NEXT) | instid1(VALU_DEP_1)
	v_and_b32_e32 v27, 0x1fffff, v37
	v_add_nc_u32_e32 v37, v27, v48
                                        ; implicit-def: $vgpr27
	s_delay_alu instid0(VALU_DEP_3)
	v_cmpx_ne_u32_e64 v38, v39
	s_xor_b32 s13, exec_lo, s13
; %bb.7317:                             ;   in Loop: Header=BB6_6496 Depth=4
	s_delay_alu instid0(VALU_DEP_2) | instskip(SKIP_2) | instid1(VALU_DEP_2)
	v_cmp_lt_u32_e32 vcc_lo, 0xffffff, v37
	v_sub_nc_u32_e32 v27, v38, v39
	v_cndmask_b32_e64 v38, 0, 1, vcc_lo
	v_add_co_ci_u32_e32 v27, vcc_lo, 0, v27, vcc_lo
	s_delay_alu instid0(VALU_DEP_2)
	v_lshrrev_b32_e32 v37, v38, v37
; %bb.7318:                             ;   in Loop: Header=BB6_6496 Depth=4
	s_and_not1_saveexec_b32 s13, s13
; %bb.7319:                             ;   in Loop: Header=BB6_6496 Depth=4
	s_delay_alu instid0(VALU_DEP_1)
	v_bfe_u32 v27, v37, 23, 1
; %bb.7320:                             ;   in Loop: Header=BB6_6496 Depth=4
	s_or_b32 exec_lo, exec_lo, s13
	v_lshrrev_b32_e32 v37, 21, v37
	s_delay_alu instid0(VALU_DEP_2) | instskip(SKIP_2) | instid1(VALU_DEP_2)
	v_cmp_gt_i32_e32 vcc_lo, 32, v27
	v_lshrrev_b32_e32 v36, 24, v36
	v_min_i32_e32 v38, 31, v27
	v_dual_cndmask_b32 v37, 3, v37 :: v_dual_and_b32 v36, 0x80, v36
	s_delay_alu instid0(VALU_DEP_1) | instskip(SKIP_1) | instid1(VALU_DEP_2)
	v_or_b32_e32 v27, v27, v37
	v_and_b32_e32 v39, 3, v37
	v_cmp_ne_u32_e32 vcc_lo, 0, v27
	v_lshlrev_b32_e32 v38, 2, v38
	s_delay_alu instid0(VALU_DEP_1) | instskip(NEXT) | instid1(VALU_DEP_1)
	v_or3_b32 v36, v38, v36, v39
	v_cndmask_b32_e32 v27, 0, v36, vcc_lo
.LBB6_7321:                             ;   in Loop: Header=BB6_6496 Depth=4
	s_or_b32 exec_lo, exec_lo, s35
.LBB6_7322:                             ;   in Loop: Header=BB6_6496 Depth=4
	s_delay_alu instid0(SALU_CYCLE_1) | instskip(SKIP_3) | instid1(VALU_DEP_1)
	s_or_b32 exec_lo, exec_lo, s34
	v_and_b32_e32 v37, 0xff, v81
	s_mov_b32 s13, 0
	s_mov_b32 s35, exec_lo
                                        ; implicit-def: $sgpr34
	v_cmpx_lt_i16_e32 0x7f, v37
	s_xor_b32 s35, exec_lo, s35
	s_cbranch_execnz .LBB6_7747
; %bb.7323:                             ;   in Loop: Header=BB6_6496 Depth=4
	s_or_saveexec_b32 s35, s35
	v_mov_b32_e32 v36, s34
	s_xor_b32 exec_lo, exec_lo, s35
	s_cbranch_execnz .LBB6_7750
.LBB6_7324:                             ;   in Loop: Header=BB6_6496 Depth=4
	s_or_b32 exec_lo, exec_lo, s35
	s_and_saveexec_b32 s34, s13
	s_cbranch_execz .LBB6_7326
.LBB6_7325:                             ;   in Loop: Header=BB6_6496 Depth=4
	v_and_b32_e32 v36, 3, v81
	v_lshrrev_b16 v39, 2, v81
	v_lshlrev_b32_e32 v48, 24, v81
	s_delay_alu instid0(VALU_DEP_3) | instskip(NEXT) | instid1(VALU_DEP_1)
	v_clz_i32_u32_e32 v37, v36
	v_min_u32_e32 v37, 32, v37
	s_delay_alu instid0(VALU_DEP_1) | instskip(SKIP_1) | instid1(VALU_DEP_2)
	v_subrev_nc_u32_e32 v38, 29, v37
	v_sub_nc_u32_e32 v37, 30, v37
	v_lshlrev_b32_e32 v38, v38, v81
	s_delay_alu instid0(VALU_DEP_1) | instskip(SKIP_1) | instid1(VALU_DEP_1)
	v_and_b32_e32 v38, 3, v38
	v_and_b32_e32 v39, 31, v39
	v_cmp_eq_u32_e32 vcc_lo, 0, v39
	s_delay_alu instid0(VALU_DEP_3) | instskip(SKIP_1) | instid1(VALU_DEP_2)
	v_dual_cndmask_b32 v36, v36, v38 :: v_dual_cndmask_b32 v37, v39, v37
	v_and_b32_e32 v38, 0x80000000, v48
	v_lshlrev_b32_e32 v36, 21, v36
	s_delay_alu instid0(VALU_DEP_3) | instskip(NEXT) | instid1(VALU_DEP_1)
	v_lshl_add_u32 v37, v37, 23, 0x37800000
	v_or3_b32 v36, v38, v37, v36
.LBB6_7326:                             ;   in Loop: Header=BB6_6496 Depth=4
	s_or_b32 exec_lo, exec_lo, s34
	s_waitcnt vmcnt(4) lgkmcnt(4)
	v_and_b32_e32 v38, 0xff, v166
	s_mov_b32 s13, 0
	s_mov_b32 s35, exec_lo
                                        ; implicit-def: $sgpr34
	s_delay_alu instid0(VALU_DEP_1)
	v_cmpx_lt_i16_e32 0x7f, v38
	s_xor_b32 s35, exec_lo, s35
	s_cbranch_execnz .LBB6_7751
; %bb.7327:                             ;   in Loop: Header=BB6_6496 Depth=4
	s_or_saveexec_b32 s35, s35
	v_mov_b32_e32 v37, s34
	s_xor_b32 exec_lo, exec_lo, s35
	s_cbranch_execnz .LBB6_7754
.LBB6_7328:                             ;   in Loop: Header=BB6_6496 Depth=4
	s_or_b32 exec_lo, exec_lo, s35
	s_and_saveexec_b32 s34, s13
	s_cbranch_execz .LBB6_7330
.LBB6_7329:                             ;   in Loop: Header=BB6_6496 Depth=4
	v_and_b32_e32 v37, 3, v166
	v_lshrrev_b16 v48, 2, v166
	v_lshlrev_b32_e32 v49, 24, v166
	s_delay_alu instid0(VALU_DEP_3) | instskip(NEXT) | instid1(VALU_DEP_1)
	v_clz_i32_u32_e32 v38, v37
	v_min_u32_e32 v38, 32, v38
	s_delay_alu instid0(VALU_DEP_1) | instskip(SKIP_1) | instid1(VALU_DEP_2)
	v_subrev_nc_u32_e32 v39, 29, v38
	v_sub_nc_u32_e32 v38, 30, v38
	v_lshlrev_b32_e32 v39, v39, v166
	s_delay_alu instid0(VALU_DEP_1) | instskip(SKIP_1) | instid1(VALU_DEP_1)
	v_and_b32_e32 v39, 3, v39
	v_and_b32_e32 v48, 31, v48
	v_cmp_eq_u32_e32 vcc_lo, 0, v48
	s_delay_alu instid0(VALU_DEP_3) | instskip(SKIP_1) | instid1(VALU_DEP_2)
	v_dual_cndmask_b32 v37, v37, v39 :: v_dual_cndmask_b32 v38, v48, v38
	v_and_b32_e32 v39, 0x80000000, v49
	v_lshlrev_b32_e32 v37, 21, v37
	s_delay_alu instid0(VALU_DEP_3) | instskip(NEXT) | instid1(VALU_DEP_1)
	v_lshl_add_u32 v38, v38, 23, 0x37800000
	v_or3_b32 v37, v39, v38, v37
.LBB6_7330:                             ;   in Loop: Header=BB6_6496 Depth=4
	s_or_b32 exec_lo, exec_lo, s34
	s_delay_alu instid0(VALU_DEP_1) | instskip(NEXT) | instid1(VALU_DEP_1)
	v_add_f32_e32 v37, v36, v37
	v_and_b32_e32 v36, 0x7f800000, v37
	s_delay_alu instid0(VALU_DEP_1)
	v_cmp_ne_u32_e32 vcc_lo, 0x7f800000, v36
	v_mov_b32_e32 v36, 0x80
	s_and_saveexec_b32 s34, vcc_lo
	s_cbranch_execz .LBB6_7338
; %bb.7331:                             ;   in Loop: Header=BB6_6496 Depth=4
	v_mov_b32_e32 v36, 0
	s_mov_b32 s35, exec_lo
	v_cmpx_ne_u32_e32 0, v37
	s_cbranch_execz .LBB6_7337
; %bb.7332:                             ;   in Loop: Header=BB6_6496 Depth=4
	v_bfe_u32 v36, v37, 23, 8
	s_delay_alu instid0(VALU_DEP_1) | instskip(SKIP_1) | instid1(VALU_DEP_2)
	v_sub_nc_u32_e32 v39, 0x70, v36
	v_cmp_gt_u32_e32 vcc_lo, 0x71, v36
	v_dual_cndmask_b32 v39, 0, v39 :: v_dual_and_b32 v38, 0x7fffff, v37
	s_delay_alu instid0(VALU_DEP_1) | instskip(SKIP_2) | instid1(VALU_DEP_4)
	v_or_b32_e32 v48, 0x800000, v38
	v_cmp_eq_u32_e32 vcc_lo, 0, v36
	v_add_nc_u32_e32 v36, 0xffffff91, v36
	v_cndmask_b32_e64 v39, v39, 0x6f, vcc_lo
	s_delay_alu instid0(VALU_DEP_2) | instskip(SKIP_1) | instid1(VALU_DEP_3)
	v_cndmask_b32_e64 v36, v36, 0xffffff92, vcc_lo
	v_cndmask_b32_e32 v38, v48, v38, vcc_lo
	v_lshl_add_u32 v48, 0x200000, v39, -1
	v_lshlrev_b32_e64 v51, v39, 0x100000
	s_delay_alu instid0(VALU_DEP_3) | instskip(SKIP_1) | instid1(VALU_DEP_4)
	v_lshrrev_b32_e32 v49, v39, v38
	v_add_nc_u32_e32 v39, v39, v36
	v_and_b32_e32 v38, v48, v38
	s_delay_alu instid0(VALU_DEP_3) | instskip(NEXT) | instid1(VALU_DEP_2)
	v_bfe_u32 v50, v49, 21, 1
	v_cmp_eq_u32_e64 s13, v38, v51
	s_delay_alu instid0(VALU_DEP_2) | instskip(NEXT) | instid1(VALU_DEP_1)
	v_add_nc_u32_e32 v48, -1, v50
	v_cndmask_b32_e64 v38, 0, v48, s13
	v_lshrrev_b32_e32 v48, 23, v49
	s_mov_b32 s13, exec_lo
	s_delay_alu instid0(VALU_DEP_2) | instskip(NEXT) | instid1(VALU_DEP_2)
	v_add_nc_u32_e32 v38, v38, v49
	v_xor_b32_e32 v48, 1, v48
	s_delay_alu instid0(VALU_DEP_2) | instskip(NEXT) | instid1(VALU_DEP_1)
	v_and_b32_e32 v36, 0x1fffff, v38
	v_add_nc_u32_e32 v38, v36, v49
                                        ; implicit-def: $vgpr36
	s_delay_alu instid0(VALU_DEP_3)
	v_cmpx_ne_u32_e64 v39, v48
	s_xor_b32 s13, exec_lo, s13
; %bb.7333:                             ;   in Loop: Header=BB6_6496 Depth=4
	s_delay_alu instid0(VALU_DEP_2) | instskip(SKIP_2) | instid1(VALU_DEP_2)
	v_cmp_lt_u32_e32 vcc_lo, 0xffffff, v38
	v_sub_nc_u32_e32 v36, v39, v48
	v_cndmask_b32_e64 v39, 0, 1, vcc_lo
	v_add_co_ci_u32_e32 v36, vcc_lo, 0, v36, vcc_lo
	s_delay_alu instid0(VALU_DEP_2)
	v_lshrrev_b32_e32 v38, v39, v38
; %bb.7334:                             ;   in Loop: Header=BB6_6496 Depth=4
	s_and_not1_saveexec_b32 s13, s13
; %bb.7335:                             ;   in Loop: Header=BB6_6496 Depth=4
	s_delay_alu instid0(VALU_DEP_1)
	v_bfe_u32 v36, v38, 23, 1
; %bb.7336:                             ;   in Loop: Header=BB6_6496 Depth=4
	s_or_b32 exec_lo, exec_lo, s13
	v_lshrrev_b32_e32 v38, 21, v38
	s_delay_alu instid0(VALU_DEP_2) | instskip(SKIP_2) | instid1(VALU_DEP_2)
	v_cmp_gt_i32_e32 vcc_lo, 32, v36
	v_lshrrev_b32_e32 v37, 24, v37
	v_min_i32_e32 v39, 31, v36
	v_dual_cndmask_b32 v38, 3, v38 :: v_dual_and_b32 v37, 0x80, v37
	s_delay_alu instid0(VALU_DEP_1) | instskip(SKIP_1) | instid1(VALU_DEP_2)
	v_or_b32_e32 v36, v36, v38
	v_and_b32_e32 v48, 3, v38
	v_cmp_ne_u32_e32 vcc_lo, 0, v36
	v_lshlrev_b32_e32 v39, 2, v39
	s_delay_alu instid0(VALU_DEP_1) | instskip(NEXT) | instid1(VALU_DEP_1)
	v_or3_b32 v37, v39, v37, v48
	v_cndmask_b32_e32 v36, 0, v37, vcc_lo
.LBB6_7337:                             ;   in Loop: Header=BB6_6496 Depth=4
	s_or_b32 exec_lo, exec_lo, s35
.LBB6_7338:                             ;   in Loop: Header=BB6_6496 Depth=4
	s_delay_alu instid0(SALU_CYCLE_1) | instskip(SKIP_3) | instid1(VALU_DEP_1)
	s_or_b32 exec_lo, exec_lo, s34
	v_and_b32_e32 v38, 0xff, v80
	s_mov_b32 s13, 0
	s_mov_b32 s35, exec_lo
                                        ; implicit-def: $sgpr34
	v_cmpx_lt_i16_e32 0x7f, v38
	s_xor_b32 s35, exec_lo, s35
	s_cbranch_execnz .LBB6_7755
; %bb.7339:                             ;   in Loop: Header=BB6_6496 Depth=4
	s_or_saveexec_b32 s35, s35
	v_mov_b32_e32 v37, s34
	s_xor_b32 exec_lo, exec_lo, s35
	s_cbranch_execnz .LBB6_7758
.LBB6_7340:                             ;   in Loop: Header=BB6_6496 Depth=4
	s_or_b32 exec_lo, exec_lo, s35
	s_and_saveexec_b32 s34, s13
	s_cbranch_execz .LBB6_7342
.LBB6_7341:                             ;   in Loop: Header=BB6_6496 Depth=4
	v_lshrrev_b16 v48, 2, v80
	v_lshlrev_b32_e32 v49, 24, v80
	s_delay_alu instid0(VALU_DEP_2) | instskip(NEXT) | instid1(VALU_DEP_1)
	v_and_b32_e32 v48, 31, v48
	v_cmp_eq_u32_e32 vcc_lo, 0, v48
	v_and_b32_e32 v37, 3, v80
	s_delay_alu instid0(VALU_DEP_1) | instskip(NEXT) | instid1(VALU_DEP_1)
	v_clz_i32_u32_e32 v38, v37
	v_min_u32_e32 v38, 32, v38
	s_delay_alu instid0(VALU_DEP_1) | instskip(SKIP_1) | instid1(VALU_DEP_1)
	v_subrev_nc_u32_e32 v39, 29, v38
	v_sub_nc_u32_e32 v38, 30, v38
	v_dual_cndmask_b32 v38, v48, v38 :: v_dual_lshlrev_b32 v39, v39, v80
	s_delay_alu instid0(VALU_DEP_1) | instskip(NEXT) | instid1(VALU_DEP_2)
	v_and_b32_e32 v39, 3, v39
	v_lshl_add_u32 v38, v38, 23, 0x37800000
	s_delay_alu instid0(VALU_DEP_2) | instskip(SKIP_1) | instid1(VALU_DEP_2)
	v_cndmask_b32_e32 v37, v37, v39, vcc_lo
	v_and_b32_e32 v39, 0x80000000, v49
	v_lshlrev_b32_e32 v37, 21, v37
	s_delay_alu instid0(VALU_DEP_1)
	v_or3_b32 v37, v39, v38, v37
.LBB6_7342:                             ;   in Loop: Header=BB6_6496 Depth=4
	s_or_b32 exec_lo, exec_lo, s34
	s_waitcnt vmcnt(3) lgkmcnt(3)
	v_and_b32_e32 v39, 0xff, v160
	s_mov_b32 s13, 0
	s_mov_b32 s35, exec_lo
                                        ; implicit-def: $sgpr34
	s_delay_alu instid0(VALU_DEP_1)
	v_cmpx_lt_i16_e32 0x7f, v39
	s_xor_b32 s35, exec_lo, s35
	s_cbranch_execnz .LBB6_7759
; %bb.7343:                             ;   in Loop: Header=BB6_6496 Depth=4
	s_or_saveexec_b32 s35, s35
	v_mov_b32_e32 v38, s34
	s_xor_b32 exec_lo, exec_lo, s35
	s_cbranch_execnz .LBB6_7762
.LBB6_7344:                             ;   in Loop: Header=BB6_6496 Depth=4
	s_or_b32 exec_lo, exec_lo, s35
	s_and_saveexec_b32 s34, s13
	s_cbranch_execz .LBB6_7346
.LBB6_7345:                             ;   in Loop: Header=BB6_6496 Depth=4
	v_lshrrev_b16 v49, 2, v160
	v_lshlrev_b32_e32 v50, 24, v160
	s_delay_alu instid0(VALU_DEP_2) | instskip(NEXT) | instid1(VALU_DEP_1)
	v_and_b32_e32 v49, 31, v49
	v_cmp_eq_u32_e32 vcc_lo, 0, v49
	v_and_b32_e32 v38, 3, v160
	s_delay_alu instid0(VALU_DEP_1) | instskip(NEXT) | instid1(VALU_DEP_1)
	v_clz_i32_u32_e32 v39, v38
	v_min_u32_e32 v39, 32, v39
	s_delay_alu instid0(VALU_DEP_1) | instskip(SKIP_1) | instid1(VALU_DEP_1)
	v_subrev_nc_u32_e32 v48, 29, v39
	v_sub_nc_u32_e32 v39, 30, v39
	v_dual_cndmask_b32 v39, v49, v39 :: v_dual_lshlrev_b32 v48, v48, v160
	s_delay_alu instid0(VALU_DEP_1) | instskip(NEXT) | instid1(VALU_DEP_2)
	v_and_b32_e32 v48, 3, v48
	v_lshl_add_u32 v39, v39, 23, 0x37800000
	s_delay_alu instid0(VALU_DEP_2) | instskip(SKIP_1) | instid1(VALU_DEP_2)
	v_cndmask_b32_e32 v38, v38, v48, vcc_lo
	v_and_b32_e32 v48, 0x80000000, v50
	v_lshlrev_b32_e32 v38, 21, v38
	s_delay_alu instid0(VALU_DEP_1)
	v_or3_b32 v38, v48, v39, v38
.LBB6_7346:                             ;   in Loop: Header=BB6_6496 Depth=4
	s_or_b32 exec_lo, exec_lo, s34
	s_delay_alu instid0(VALU_DEP_1) | instskip(NEXT) | instid1(VALU_DEP_1)
	v_add_f32_e32 v38, v37, v38
	v_and_b32_e32 v37, 0x7f800000, v38
	s_delay_alu instid0(VALU_DEP_1)
	v_cmp_ne_u32_e32 vcc_lo, 0x7f800000, v37
	v_mov_b32_e32 v37, 0x80
	s_and_saveexec_b32 s34, vcc_lo
	s_cbranch_execz .LBB6_7354
; %bb.7347:                             ;   in Loop: Header=BB6_6496 Depth=4
	v_mov_b32_e32 v37, 0
	s_mov_b32 s35, exec_lo
	v_cmpx_ne_u32_e32 0, v38
	s_cbranch_execz .LBB6_7353
; %bb.7348:                             ;   in Loop: Header=BB6_6496 Depth=4
	v_bfe_u32 v37, v38, 23, 8
	s_delay_alu instid0(VALU_DEP_1) | instskip(SKIP_1) | instid1(VALU_DEP_2)
	v_sub_nc_u32_e32 v48, 0x70, v37
	v_cmp_gt_u32_e32 vcc_lo, 0x71, v37
	v_dual_cndmask_b32 v48, 0, v48 :: v_dual_and_b32 v39, 0x7fffff, v38
	s_delay_alu instid0(VALU_DEP_1) | instskip(SKIP_2) | instid1(VALU_DEP_4)
	v_or_b32_e32 v49, 0x800000, v39
	v_cmp_eq_u32_e32 vcc_lo, 0, v37
	v_add_nc_u32_e32 v37, 0xffffff91, v37
	v_cndmask_b32_e64 v48, v48, 0x6f, vcc_lo
	s_delay_alu instid0(VALU_DEP_2) | instskip(SKIP_1) | instid1(VALU_DEP_3)
	v_cndmask_b32_e64 v37, v37, 0xffffff92, vcc_lo
	v_cndmask_b32_e32 v39, v49, v39, vcc_lo
	v_lshl_add_u32 v49, 0x200000, v48, -1
	v_lshlrev_b32_e64 v53, v48, 0x100000
	s_delay_alu instid0(VALU_DEP_3) | instskip(SKIP_1) | instid1(VALU_DEP_4)
	v_lshrrev_b32_e32 v50, v48, v39
	v_add_nc_u32_e32 v48, v48, v37
	v_and_b32_e32 v39, v49, v39
	s_delay_alu instid0(VALU_DEP_3) | instskip(NEXT) | instid1(VALU_DEP_2)
	v_bfe_u32 v51, v50, 21, 1
	v_cmp_eq_u32_e64 s13, v39, v53
	s_delay_alu instid0(VALU_DEP_2) | instskip(NEXT) | instid1(VALU_DEP_1)
	v_add_nc_u32_e32 v49, -1, v51
	v_cndmask_b32_e64 v39, 0, v49, s13
	v_lshrrev_b32_e32 v49, 23, v50
	s_mov_b32 s13, exec_lo
	s_delay_alu instid0(VALU_DEP_2) | instskip(NEXT) | instid1(VALU_DEP_2)
	v_add_nc_u32_e32 v39, v39, v50
	v_xor_b32_e32 v49, 1, v49
	s_delay_alu instid0(VALU_DEP_2) | instskip(NEXT) | instid1(VALU_DEP_1)
	v_and_b32_e32 v37, 0x1fffff, v39
	v_add_nc_u32_e32 v39, v37, v50
                                        ; implicit-def: $vgpr37
	s_delay_alu instid0(VALU_DEP_3)
	v_cmpx_ne_u32_e64 v48, v49
	s_xor_b32 s13, exec_lo, s13
; %bb.7349:                             ;   in Loop: Header=BB6_6496 Depth=4
	s_delay_alu instid0(VALU_DEP_2) | instskip(SKIP_2) | instid1(VALU_DEP_2)
	v_cmp_lt_u32_e32 vcc_lo, 0xffffff, v39
	v_sub_nc_u32_e32 v37, v48, v49
	v_cndmask_b32_e64 v48, 0, 1, vcc_lo
	v_add_co_ci_u32_e32 v37, vcc_lo, 0, v37, vcc_lo
	s_delay_alu instid0(VALU_DEP_2)
	v_lshrrev_b32_e32 v39, v48, v39
; %bb.7350:                             ;   in Loop: Header=BB6_6496 Depth=4
	s_and_not1_saveexec_b32 s13, s13
; %bb.7351:                             ;   in Loop: Header=BB6_6496 Depth=4
	s_delay_alu instid0(VALU_DEP_1)
	v_bfe_u32 v37, v39, 23, 1
; %bb.7352:                             ;   in Loop: Header=BB6_6496 Depth=4
	s_or_b32 exec_lo, exec_lo, s13
	v_lshrrev_b32_e32 v39, 21, v39
	s_delay_alu instid0(VALU_DEP_2) | instskip(SKIP_2) | instid1(VALU_DEP_2)
	v_cmp_gt_i32_e32 vcc_lo, 32, v37
	v_lshrrev_b32_e32 v38, 24, v38
	v_min_i32_e32 v48, 31, v37
	v_dual_cndmask_b32 v39, 3, v39 :: v_dual_and_b32 v38, 0x80, v38
	s_delay_alu instid0(VALU_DEP_1) | instskip(SKIP_1) | instid1(VALU_DEP_2)
	v_or_b32_e32 v37, v37, v39
	v_and_b32_e32 v49, 3, v39
	v_cmp_ne_u32_e32 vcc_lo, 0, v37
	v_lshlrev_b32_e32 v48, 2, v48
	s_delay_alu instid0(VALU_DEP_1) | instskip(NEXT) | instid1(VALU_DEP_1)
	v_or3_b32 v38, v48, v38, v49
	v_cndmask_b32_e32 v37, 0, v38, vcc_lo
.LBB6_7353:                             ;   in Loop: Header=BB6_6496 Depth=4
	s_or_b32 exec_lo, exec_lo, s35
.LBB6_7354:                             ;   in Loop: Header=BB6_6496 Depth=4
	s_delay_alu instid0(SALU_CYCLE_1) | instskip(SKIP_3) | instid1(VALU_DEP_1)
	s_or_b32 exec_lo, exec_lo, s34
	v_and_b32_e32 v39, 0xff, v22
	s_mov_b32 s13, 0
	s_mov_b32 s35, exec_lo
                                        ; implicit-def: $sgpr34
	v_cmpx_lt_i16_e32 0x7f, v39
	s_xor_b32 s35, exec_lo, s35
	s_cbranch_execnz .LBB6_7763
; %bb.7355:                             ;   in Loop: Header=BB6_6496 Depth=4
	s_or_saveexec_b32 s35, s35
	v_mov_b32_e32 v38, s34
	s_xor_b32 exec_lo, exec_lo, s35
	s_cbranch_execnz .LBB6_7766
.LBB6_7356:                             ;   in Loop: Header=BB6_6496 Depth=4
	s_or_b32 exec_lo, exec_lo, s35
	s_and_saveexec_b32 s34, s13
	s_cbranch_execz .LBB6_7358
.LBB6_7357:                             ;   in Loop: Header=BB6_6496 Depth=4
	v_lshrrev_b16 v49, 2, v22
	s_delay_alu instid0(VALU_DEP_1) | instskip(NEXT) | instid1(VALU_DEP_1)
	v_and_b32_e32 v49, 31, v49
	v_cmp_eq_u32_e32 vcc_lo, 0, v49
	v_and_b32_e32 v38, 3, v22
	s_delay_alu instid0(VALU_DEP_1) | instskip(NEXT) | instid1(VALU_DEP_1)
	v_clz_i32_u32_e32 v39, v38
	v_min_u32_e32 v39, 32, v39
	s_delay_alu instid0(VALU_DEP_1) | instskip(SKIP_1) | instid1(VALU_DEP_1)
	v_subrev_nc_u32_e32 v48, 29, v39
	v_sub_nc_u32_e32 v39, 30, v39
	v_dual_cndmask_b32 v39, v49, v39 :: v_dual_lshlrev_b32 v48, v48, v22
	v_lshlrev_b32_e32 v22, 24, v22
	s_delay_alu instid0(VALU_DEP_2) | instskip(NEXT) | instid1(VALU_DEP_3)
	v_and_b32_e32 v48, 3, v48
	v_lshl_add_u32 v39, v39, 23, 0x37800000
	s_delay_alu instid0(VALU_DEP_3) | instskip(NEXT) | instid1(VALU_DEP_3)
	v_and_b32_e32 v22, 0x80000000, v22
	v_cndmask_b32_e32 v38, v38, v48, vcc_lo
	s_delay_alu instid0(VALU_DEP_1) | instskip(NEXT) | instid1(VALU_DEP_1)
	v_lshlrev_b32_e32 v38, 21, v38
	v_or3_b32 v38, v22, v39, v38
.LBB6_7358:                             ;   in Loop: Header=BB6_6496 Depth=4
	s_or_b32 exec_lo, exec_lo, s34
	s_waitcnt vmcnt(2) lgkmcnt(2)
	v_and_b32_e32 v39, 0xff, v84
	s_mov_b32 s13, 0
	s_mov_b32 s35, exec_lo
                                        ; implicit-def: $sgpr34
	s_delay_alu instid0(VALU_DEP_1)
	v_cmpx_lt_i16_e32 0x7f, v39
	s_xor_b32 s35, exec_lo, s35
	s_cbranch_execnz .LBB6_7767
; %bb.7359:                             ;   in Loop: Header=BB6_6496 Depth=4
	s_or_saveexec_b32 s35, s35
	v_mov_b32_e32 v22, s34
	s_xor_b32 exec_lo, exec_lo, s35
	s_cbranch_execnz .LBB6_7770
.LBB6_7360:                             ;   in Loop: Header=BB6_6496 Depth=4
	s_or_b32 exec_lo, exec_lo, s35
	s_and_saveexec_b32 s34, s13
	s_cbranch_execz .LBB6_7362
.LBB6_7361:                             ;   in Loop: Header=BB6_6496 Depth=4
	v_lshrrev_b16 v49, 2, v84
	v_lshlrev_b32_e32 v50, 24, v84
	s_delay_alu instid0(VALU_DEP_2) | instskip(NEXT) | instid1(VALU_DEP_1)
	v_and_b32_e32 v49, 31, v49
	v_cmp_eq_u32_e32 vcc_lo, 0, v49
	v_and_b32_e32 v22, 3, v84
	s_delay_alu instid0(VALU_DEP_1) | instskip(NEXT) | instid1(VALU_DEP_1)
	v_clz_i32_u32_e32 v39, v22
	v_min_u32_e32 v39, 32, v39
	s_delay_alu instid0(VALU_DEP_1) | instskip(SKIP_1) | instid1(VALU_DEP_1)
	v_subrev_nc_u32_e32 v48, 29, v39
	v_sub_nc_u32_e32 v39, 30, v39
	v_dual_cndmask_b32 v39, v49, v39 :: v_dual_lshlrev_b32 v48, v48, v84
	s_delay_alu instid0(VALU_DEP_1) | instskip(NEXT) | instid1(VALU_DEP_2)
	v_and_b32_e32 v48, 3, v48
	v_lshl_add_u32 v39, v39, 23, 0x37800000
	s_delay_alu instid0(VALU_DEP_2) | instskip(SKIP_1) | instid1(VALU_DEP_2)
	v_cndmask_b32_e32 v22, v22, v48, vcc_lo
	v_and_b32_e32 v48, 0x80000000, v50
	v_lshlrev_b32_e32 v22, 21, v22
	s_delay_alu instid0(VALU_DEP_1)
	v_or3_b32 v22, v48, v39, v22
.LBB6_7362:                             ;   in Loop: Header=BB6_6496 Depth=4
	s_or_b32 exec_lo, exec_lo, s34
	s_delay_alu instid0(VALU_DEP_1) | instskip(NEXT) | instid1(VALU_DEP_1)
	v_add_f32_e32 v38, v38, v22
	v_and_b32_e32 v22, 0x7f800000, v38
	s_delay_alu instid0(VALU_DEP_1)
	v_cmp_ne_u32_e32 vcc_lo, 0x7f800000, v22
	v_mov_b32_e32 v22, 0x80
	s_and_saveexec_b32 s34, vcc_lo
	s_cbranch_execz .LBB6_7370
; %bb.7363:                             ;   in Loop: Header=BB6_6496 Depth=4
	v_mov_b32_e32 v22, 0
	s_mov_b32 s35, exec_lo
	v_cmpx_ne_u32_e32 0, v38
	s_cbranch_execz .LBB6_7369
; %bb.7364:                             ;   in Loop: Header=BB6_6496 Depth=4
	v_bfe_u32 v22, v38, 23, 8
	s_delay_alu instid0(VALU_DEP_1) | instskip(SKIP_1) | instid1(VALU_DEP_2)
	v_sub_nc_u32_e32 v48, 0x70, v22
	v_cmp_gt_u32_e32 vcc_lo, 0x71, v22
	v_dual_cndmask_b32 v48, 0, v48 :: v_dual_and_b32 v39, 0x7fffff, v38
	s_delay_alu instid0(VALU_DEP_1) | instskip(SKIP_2) | instid1(VALU_DEP_4)
	v_or_b32_e32 v49, 0x800000, v39
	v_cmp_eq_u32_e32 vcc_lo, 0, v22
	v_add_nc_u32_e32 v22, 0xffffff91, v22
	v_cndmask_b32_e64 v48, v48, 0x6f, vcc_lo
	s_delay_alu instid0(VALU_DEP_4) | instskip(NEXT) | instid1(VALU_DEP_3)
	v_cndmask_b32_e32 v39, v49, v39, vcc_lo
	v_cndmask_b32_e64 v22, v22, 0xffffff92, vcc_lo
	s_delay_alu instid0(VALU_DEP_3) | instskip(NEXT) | instid1(VALU_DEP_3)
	v_lshl_add_u32 v49, 0x200000, v48, -1
	v_lshrrev_b32_e32 v50, v48, v39
	v_lshlrev_b32_e64 v53, v48, 0x100000
	s_delay_alu instid0(VALU_DEP_4) | instskip(NEXT) | instid1(VALU_DEP_4)
	v_add_nc_u32_e32 v48, v48, v22
	v_and_b32_e32 v39, v49, v39
	s_delay_alu instid0(VALU_DEP_4) | instskip(NEXT) | instid1(VALU_DEP_2)
	v_bfe_u32 v51, v50, 21, 1
	v_cmp_eq_u32_e64 s13, v39, v53
	s_delay_alu instid0(VALU_DEP_2) | instskip(NEXT) | instid1(VALU_DEP_1)
	v_add_nc_u32_e32 v49, -1, v51
	v_cndmask_b32_e64 v39, 0, v49, s13
	v_lshrrev_b32_e32 v49, 23, v50
	s_mov_b32 s13, exec_lo
	s_delay_alu instid0(VALU_DEP_2) | instskip(NEXT) | instid1(VALU_DEP_2)
	v_add_nc_u32_e32 v39, v39, v50
	v_xor_b32_e32 v49, 1, v49
	s_delay_alu instid0(VALU_DEP_2) | instskip(NEXT) | instid1(VALU_DEP_1)
	v_and_b32_e32 v22, 0x1fffff, v39
	v_add_nc_u32_e32 v39, v22, v50
                                        ; implicit-def: $vgpr22
	s_delay_alu instid0(VALU_DEP_3)
	v_cmpx_ne_u32_e64 v48, v49
	s_xor_b32 s13, exec_lo, s13
; %bb.7365:                             ;   in Loop: Header=BB6_6496 Depth=4
	s_delay_alu instid0(VALU_DEP_2) | instskip(SKIP_2) | instid1(VALU_DEP_2)
	v_cmp_lt_u32_e32 vcc_lo, 0xffffff, v39
	v_sub_nc_u32_e32 v22, v48, v49
	v_cndmask_b32_e64 v48, 0, 1, vcc_lo
	v_add_co_ci_u32_e32 v22, vcc_lo, 0, v22, vcc_lo
	s_delay_alu instid0(VALU_DEP_2)
	v_lshrrev_b32_e32 v39, v48, v39
; %bb.7366:                             ;   in Loop: Header=BB6_6496 Depth=4
	s_and_not1_saveexec_b32 s13, s13
; %bb.7367:                             ;   in Loop: Header=BB6_6496 Depth=4
	s_delay_alu instid0(VALU_DEP_1)
	v_bfe_u32 v22, v39, 23, 1
; %bb.7368:                             ;   in Loop: Header=BB6_6496 Depth=4
	s_or_b32 exec_lo, exec_lo, s13
	v_lshrrev_b32_e32 v39, 21, v39
	s_delay_alu instid0(VALU_DEP_2) | instskip(SKIP_2) | instid1(VALU_DEP_2)
	v_cmp_gt_i32_e32 vcc_lo, 32, v22
	v_lshrrev_b32_e32 v38, 24, v38
	v_min_i32_e32 v48, 31, v22
	v_dual_cndmask_b32 v39, 3, v39 :: v_dual_and_b32 v38, 0x80, v38
	s_delay_alu instid0(VALU_DEP_2) | instskip(NEXT) | instid1(VALU_DEP_2)
	v_lshlrev_b32_e32 v48, 2, v48
	v_or_b32_e32 v22, v22, v39
	s_delay_alu instid0(VALU_DEP_1) | instskip(SKIP_1) | instid1(VALU_DEP_1)
	v_cmp_ne_u32_e32 vcc_lo, 0, v22
	v_and_b32_e32 v49, 3, v39
	v_or3_b32 v38, v48, v38, v49
	s_delay_alu instid0(VALU_DEP_1)
	v_cndmask_b32_e32 v22, 0, v38, vcc_lo
.LBB6_7369:                             ;   in Loop: Header=BB6_6496 Depth=4
	s_or_b32 exec_lo, exec_lo, s35
.LBB6_7370:                             ;   in Loop: Header=BB6_6496 Depth=4
	s_delay_alu instid0(SALU_CYCLE_1) | instskip(SKIP_3) | instid1(VALU_DEP_1)
	s_or_b32 exec_lo, exec_lo, s34
	v_and_b32_e32 v39, 0xff, v20
	s_mov_b32 s13, 0
	s_mov_b32 s35, exec_lo
                                        ; implicit-def: $sgpr34
	v_cmpx_lt_i16_e32 0x7f, v39
	s_xor_b32 s35, exec_lo, s35
	s_cbranch_execnz .LBB6_7771
; %bb.7371:                             ;   in Loop: Header=BB6_6496 Depth=4
	s_or_saveexec_b32 s35, s35
	v_mov_b32_e32 v38, s34
	s_xor_b32 exec_lo, exec_lo, s35
	s_cbranch_execnz .LBB6_7774
.LBB6_7372:                             ;   in Loop: Header=BB6_6496 Depth=4
	s_or_b32 exec_lo, exec_lo, s35
	s_and_saveexec_b32 s34, s13
	s_cbranch_execz .LBB6_7374
.LBB6_7373:                             ;   in Loop: Header=BB6_6496 Depth=4
	v_lshrrev_b16 v49, 2, v20
	s_delay_alu instid0(VALU_DEP_1) | instskip(NEXT) | instid1(VALU_DEP_1)
	v_and_b32_e32 v49, 31, v49
	v_cmp_eq_u32_e32 vcc_lo, 0, v49
	v_and_b32_e32 v38, 3, v20
	s_delay_alu instid0(VALU_DEP_1) | instskip(NEXT) | instid1(VALU_DEP_1)
	v_clz_i32_u32_e32 v39, v38
	v_min_u32_e32 v39, 32, v39
	s_delay_alu instid0(VALU_DEP_1) | instskip(SKIP_1) | instid1(VALU_DEP_1)
	v_subrev_nc_u32_e32 v48, 29, v39
	v_sub_nc_u32_e32 v39, 30, v39
	v_dual_cndmask_b32 v39, v49, v39 :: v_dual_lshlrev_b32 v48, v48, v20
	v_lshlrev_b32_e32 v20, 24, v20
	s_delay_alu instid0(VALU_DEP_2) | instskip(NEXT) | instid1(VALU_DEP_3)
	v_and_b32_e32 v48, 3, v48
	v_lshl_add_u32 v39, v39, 23, 0x37800000
	s_delay_alu instid0(VALU_DEP_3) | instskip(NEXT) | instid1(VALU_DEP_3)
	v_and_b32_e32 v20, 0x80000000, v20
	v_cndmask_b32_e32 v38, v38, v48, vcc_lo
	s_delay_alu instid0(VALU_DEP_1) | instskip(NEXT) | instid1(VALU_DEP_1)
	v_lshlrev_b32_e32 v38, 21, v38
	v_or3_b32 v38, v20, v39, v38
.LBB6_7374:                             ;   in Loop: Header=BB6_6496 Depth=4
	s_or_b32 exec_lo, exec_lo, s34
	s_waitcnt vmcnt(1) lgkmcnt(1)
	v_and_b32_e32 v39, 0xff, v23
	s_mov_b32 s13, 0
	s_mov_b32 s35, exec_lo
                                        ; implicit-def: $sgpr34
	s_delay_alu instid0(VALU_DEP_1)
	v_cmpx_lt_i16_e32 0x7f, v39
	s_xor_b32 s35, exec_lo, s35
	s_cbranch_execnz .LBB6_7775
; %bb.7375:                             ;   in Loop: Header=BB6_6496 Depth=4
	s_or_saveexec_b32 s35, s35
	v_mov_b32_e32 v20, s34
	s_xor_b32 exec_lo, exec_lo, s35
	s_cbranch_execnz .LBB6_7778
.LBB6_7376:                             ;   in Loop: Header=BB6_6496 Depth=4
	s_or_b32 exec_lo, exec_lo, s35
	s_and_saveexec_b32 s34, s13
	s_cbranch_execz .LBB6_7378
.LBB6_7377:                             ;   in Loop: Header=BB6_6496 Depth=4
	v_and_b32_e32 v20, 3, v23
	v_lshrrev_b16 v49, 2, v23
	s_delay_alu instid0(VALU_DEP_2) | instskip(NEXT) | instid1(VALU_DEP_1)
	v_clz_i32_u32_e32 v39, v20
	v_min_u32_e32 v39, 32, v39
	s_delay_alu instid0(VALU_DEP_1) | instskip(SKIP_1) | instid1(VALU_DEP_2)
	v_subrev_nc_u32_e32 v48, 29, v39
	v_sub_nc_u32_e32 v39, 30, v39
	v_lshlrev_b32_e32 v48, v48, v23
	v_lshlrev_b32_e32 v23, 24, v23
	s_delay_alu instid0(VALU_DEP_2) | instskip(SKIP_1) | instid1(VALU_DEP_3)
	v_and_b32_e32 v48, 3, v48
	v_and_b32_e32 v49, 31, v49
	;; [unrolled: 1-line block ×3, first 2 shown]
	s_delay_alu instid0(VALU_DEP_2) | instskip(NEXT) | instid1(VALU_DEP_4)
	v_cmp_eq_u32_e32 vcc_lo, 0, v49
	v_dual_cndmask_b32 v20, v20, v48 :: v_dual_cndmask_b32 v39, v49, v39
	s_delay_alu instid0(VALU_DEP_1) | instskip(NEXT) | instid1(VALU_DEP_2)
	v_lshlrev_b32_e32 v20, 21, v20
	v_lshl_add_u32 v39, v39, 23, 0x37800000
	s_delay_alu instid0(VALU_DEP_1)
	v_or3_b32 v20, v23, v39, v20
.LBB6_7378:                             ;   in Loop: Header=BB6_6496 Depth=4
	s_or_b32 exec_lo, exec_lo, s34
	s_delay_alu instid0(VALU_DEP_1) | instskip(NEXT) | instid1(VALU_DEP_1)
	v_add_f32_e32 v23, v38, v20
	v_and_b32_e32 v20, 0x7f800000, v23
	s_delay_alu instid0(VALU_DEP_1)
	v_cmp_ne_u32_e32 vcc_lo, 0x7f800000, v20
	v_mov_b32_e32 v20, 0x80
	s_and_saveexec_b32 s34, vcc_lo
	s_cbranch_execz .LBB6_7386
; %bb.7379:                             ;   in Loop: Header=BB6_6496 Depth=4
	v_mov_b32_e32 v20, 0
	s_mov_b32 s35, exec_lo
	v_cmpx_ne_u32_e32 0, v23
	s_cbranch_execz .LBB6_7385
; %bb.7380:                             ;   in Loop: Header=BB6_6496 Depth=4
	v_bfe_u32 v20, v23, 23, 8
	v_and_b32_e32 v38, 0x7fffff, v23
	s_delay_alu instid0(VALU_DEP_2) | instskip(SKIP_1) | instid1(VALU_DEP_3)
	v_sub_nc_u32_e32 v39, 0x70, v20
	v_cmp_gt_u32_e32 vcc_lo, 0x71, v20
	v_or_b32_e32 v48, 0x800000, v38
	s_delay_alu instid0(VALU_DEP_3) | instskip(SKIP_2) | instid1(VALU_DEP_4)
	v_cndmask_b32_e32 v39, 0, v39, vcc_lo
	v_cmp_eq_u32_e32 vcc_lo, 0, v20
	v_add_nc_u32_e32 v20, 0xffffff91, v20
	v_cndmask_b32_e32 v38, v48, v38, vcc_lo
	s_delay_alu instid0(VALU_DEP_4) | instskip(NEXT) | instid1(VALU_DEP_3)
	v_cndmask_b32_e64 v39, v39, 0x6f, vcc_lo
	v_cndmask_b32_e64 v20, v20, 0xffffff92, vcc_lo
	s_delay_alu instid0(VALU_DEP_2) | instskip(SKIP_2) | instid1(VALU_DEP_4)
	v_lshrrev_b32_e32 v49, v39, v38
	v_lshl_add_u32 v48, 0x200000, v39, -1
	v_lshlrev_b32_e64 v51, v39, 0x100000
	v_add_nc_u32_e32 v39, v39, v20
	s_delay_alu instid0(VALU_DEP_4) | instskip(NEXT) | instid1(VALU_DEP_4)
	v_bfe_u32 v50, v49, 21, 1
	v_and_b32_e32 v38, v48, v38
	s_delay_alu instid0(VALU_DEP_2) | instskip(NEXT) | instid1(VALU_DEP_2)
	v_add_nc_u32_e32 v48, -1, v50
	v_cmp_eq_u32_e64 s13, v38, v51
	s_delay_alu instid0(VALU_DEP_1) | instskip(SKIP_2) | instid1(VALU_DEP_2)
	v_cndmask_b32_e64 v38, 0, v48, s13
	v_lshrrev_b32_e32 v48, 23, v49
	s_mov_b32 s13, exec_lo
	v_add_nc_u32_e32 v38, v38, v49
	s_delay_alu instid0(VALU_DEP_2) | instskip(NEXT) | instid1(VALU_DEP_2)
	v_xor_b32_e32 v48, 1, v48
	v_and_b32_e32 v20, 0x1fffff, v38
	s_delay_alu instid0(VALU_DEP_1) | instskip(NEXT) | instid1(VALU_DEP_3)
	v_add_nc_u32_e32 v38, v20, v49
                                        ; implicit-def: $vgpr20
	v_cmpx_ne_u32_e64 v39, v48
	s_xor_b32 s13, exec_lo, s13
; %bb.7381:                             ;   in Loop: Header=BB6_6496 Depth=4
	s_delay_alu instid0(VALU_DEP_2) | instskip(SKIP_2) | instid1(VALU_DEP_2)
	v_cmp_lt_u32_e32 vcc_lo, 0xffffff, v38
	v_sub_nc_u32_e32 v20, v39, v48
	v_cndmask_b32_e64 v39, 0, 1, vcc_lo
	v_add_co_ci_u32_e32 v20, vcc_lo, 0, v20, vcc_lo
	s_delay_alu instid0(VALU_DEP_2)
	v_lshrrev_b32_e32 v38, v39, v38
; %bb.7382:                             ;   in Loop: Header=BB6_6496 Depth=4
	s_and_not1_saveexec_b32 s13, s13
; %bb.7383:                             ;   in Loop: Header=BB6_6496 Depth=4
	s_delay_alu instid0(VALU_DEP_1)
	v_bfe_u32 v20, v38, 23, 1
; %bb.7384:                             ;   in Loop: Header=BB6_6496 Depth=4
	s_or_b32 exec_lo, exec_lo, s13
	v_lshrrev_b32_e32 v38, 21, v38
	s_delay_alu instid0(VALU_DEP_2) | instskip(SKIP_2) | instid1(VALU_DEP_2)
	v_cmp_gt_i32_e32 vcc_lo, 32, v20
	v_lshrrev_b32_e32 v23, 24, v23
	v_min_i32_e32 v39, 31, v20
	v_dual_cndmask_b32 v38, 3, v38 :: v_dual_and_b32 v23, 0x80, v23
	s_delay_alu instid0(VALU_DEP_2) | instskip(NEXT) | instid1(VALU_DEP_2)
	v_lshlrev_b32_e32 v39, 2, v39
	v_and_b32_e32 v48, 3, v38
	v_or_b32_e32 v20, v20, v38
	s_delay_alu instid0(VALU_DEP_2) | instskip(NEXT) | instid1(VALU_DEP_2)
	v_or3_b32 v23, v39, v23, v48
	v_cmp_ne_u32_e32 vcc_lo, 0, v20
	s_delay_alu instid0(VALU_DEP_2)
	v_cndmask_b32_e32 v20, 0, v23, vcc_lo
.LBB6_7385:                             ;   in Loop: Header=BB6_6496 Depth=4
	s_or_b32 exec_lo, exec_lo, s35
.LBB6_7386:                             ;   in Loop: Header=BB6_6496 Depth=4
	s_delay_alu instid0(SALU_CYCLE_1) | instskip(SKIP_3) | instid1(VALU_DEP_1)
	s_or_b32 exec_lo, exec_lo, s34
	v_and_b32_e32 v38, 0xff, v15
	s_mov_b32 s13, 0
	s_mov_b32 s35, exec_lo
                                        ; implicit-def: $sgpr34
	v_cmpx_lt_i16_e32 0x7f, v38
	s_xor_b32 s35, exec_lo, s35
	s_cbranch_execnz .LBB6_7779
; %bb.7387:                             ;   in Loop: Header=BB6_6496 Depth=4
	s_or_saveexec_b32 s35, s35
	v_mov_b32_e32 v23, s34
	s_xor_b32 exec_lo, exec_lo, s35
	s_cbranch_execnz .LBB6_7782
.LBB6_7388:                             ;   in Loop: Header=BB6_6496 Depth=4
	s_or_b32 exec_lo, exec_lo, s35
	s_and_saveexec_b32 s34, s13
	s_cbranch_execz .LBB6_7390
.LBB6_7389:                             ;   in Loop: Header=BB6_6496 Depth=4
	v_lshrrev_b16 v48, 2, v15
	s_delay_alu instid0(VALU_DEP_1) | instskip(NEXT) | instid1(VALU_DEP_1)
	v_and_b32_e32 v48, 31, v48
	v_cmp_eq_u32_e32 vcc_lo, 0, v48
	v_and_b32_e32 v23, 3, v15
	s_delay_alu instid0(VALU_DEP_1) | instskip(NEXT) | instid1(VALU_DEP_1)
	v_clz_i32_u32_e32 v38, v23
	v_min_u32_e32 v38, 32, v38
	s_delay_alu instid0(VALU_DEP_1) | instskip(SKIP_1) | instid1(VALU_DEP_1)
	v_subrev_nc_u32_e32 v39, 29, v38
	v_sub_nc_u32_e32 v38, 30, v38
	v_dual_cndmask_b32 v38, v48, v38 :: v_dual_lshlrev_b32 v39, v39, v15
	v_lshlrev_b32_e32 v15, 24, v15
	s_delay_alu instid0(VALU_DEP_2) | instskip(NEXT) | instid1(VALU_DEP_3)
	v_and_b32_e32 v39, 3, v39
	v_lshl_add_u32 v38, v38, 23, 0x37800000
	s_delay_alu instid0(VALU_DEP_3) | instskip(NEXT) | instid1(VALU_DEP_3)
	v_and_b32_e32 v15, 0x80000000, v15
	v_cndmask_b32_e32 v23, v23, v39, vcc_lo
	s_delay_alu instid0(VALU_DEP_1) | instskip(NEXT) | instid1(VALU_DEP_1)
	v_lshlrev_b32_e32 v23, 21, v23
	v_or3_b32 v23, v15, v38, v23
.LBB6_7390:                             ;   in Loop: Header=BB6_6496 Depth=4
	s_or_b32 exec_lo, exec_lo, s34
	s_waitcnt vmcnt(0) lgkmcnt(0)
	v_and_b32_e32 v38, 0xff, v14
	s_mov_b32 s13, 0
	s_mov_b32 s35, exec_lo
                                        ; implicit-def: $sgpr34
	s_delay_alu instid0(VALU_DEP_1)
	v_cmpx_lt_i16_e32 0x7f, v38
	s_xor_b32 s35, exec_lo, s35
	s_cbranch_execnz .LBB6_7783
; %bb.7391:                             ;   in Loop: Header=BB6_6496 Depth=4
	s_or_saveexec_b32 s35, s35
	v_mov_b32_e32 v15, s34
	s_xor_b32 exec_lo, exec_lo, s35
	s_cbranch_execnz .LBB6_7786
.LBB6_7392:                             ;   in Loop: Header=BB6_6496 Depth=4
	s_or_b32 exec_lo, exec_lo, s35
	s_and_saveexec_b32 s34, s13
	s_cbranch_execz .LBB6_7394
.LBB6_7393:                             ;   in Loop: Header=BB6_6496 Depth=4
	v_and_b32_e32 v15, 3, v14
	v_lshrrev_b16 v48, 2, v14
	s_delay_alu instid0(VALU_DEP_2) | instskip(NEXT) | instid1(VALU_DEP_1)
	v_clz_i32_u32_e32 v38, v15
	v_min_u32_e32 v38, 32, v38
	s_delay_alu instid0(VALU_DEP_1) | instskip(SKIP_1) | instid1(VALU_DEP_2)
	v_subrev_nc_u32_e32 v39, 29, v38
	v_sub_nc_u32_e32 v38, 30, v38
	v_lshlrev_b32_e32 v39, v39, v14
	v_lshlrev_b32_e32 v14, 24, v14
	s_delay_alu instid0(VALU_DEP_2) | instskip(SKIP_1) | instid1(VALU_DEP_3)
	v_and_b32_e32 v39, 3, v39
	v_and_b32_e32 v48, 31, v48
	;; [unrolled: 1-line block ×3, first 2 shown]
	s_delay_alu instid0(VALU_DEP_2) | instskip(NEXT) | instid1(VALU_DEP_4)
	v_cmp_eq_u32_e32 vcc_lo, 0, v48
	v_dual_cndmask_b32 v15, v15, v39 :: v_dual_cndmask_b32 v38, v48, v38
	s_delay_alu instid0(VALU_DEP_1) | instskip(NEXT) | instid1(VALU_DEP_2)
	v_lshlrev_b32_e32 v15, 21, v15
	v_lshl_add_u32 v38, v38, 23, 0x37800000
	s_delay_alu instid0(VALU_DEP_1)
	v_or3_b32 v15, v14, v38, v15
.LBB6_7394:                             ;   in Loop: Header=BB6_6496 Depth=4
	s_or_b32 exec_lo, exec_lo, s34
	s_delay_alu instid0(VALU_DEP_1) | instskip(NEXT) | instid1(VALU_DEP_1)
	v_add_f32_e32 v15, v23, v15
	v_and_b32_e32 v14, 0x7f800000, v15
	s_delay_alu instid0(VALU_DEP_1)
	v_cmp_ne_u32_e32 vcc_lo, 0x7f800000, v14
	v_mov_b32_e32 v14, 0x80
	s_and_saveexec_b32 s34, vcc_lo
	s_cbranch_execz .LBB6_7402
; %bb.7395:                             ;   in Loop: Header=BB6_6496 Depth=4
	v_mov_b32_e32 v14, 0
	s_mov_b32 s35, exec_lo
	v_cmpx_ne_u32_e32 0, v15
	s_cbranch_execz .LBB6_7401
; %bb.7396:                             ;   in Loop: Header=BB6_6496 Depth=4
	v_bfe_u32 v14, v15, 23, 8
	s_delay_alu instid0(VALU_DEP_1) | instskip(SKIP_1) | instid1(VALU_DEP_2)
	v_sub_nc_u32_e32 v38, 0x70, v14
	v_cmp_gt_u32_e32 vcc_lo, 0x71, v14
	v_dual_cndmask_b32 v38, 0, v38 :: v_dual_and_b32 v23, 0x7fffff, v15
	s_delay_alu instid0(VALU_DEP_1) | instskip(SKIP_2) | instid1(VALU_DEP_4)
	v_or_b32_e32 v39, 0x800000, v23
	v_cmp_eq_u32_e32 vcc_lo, 0, v14
	v_add_nc_u32_e32 v14, 0xffffff91, v14
	v_cndmask_b32_e64 v38, v38, 0x6f, vcc_lo
	s_delay_alu instid0(VALU_DEP_4) | instskip(NEXT) | instid1(VALU_DEP_3)
	v_cndmask_b32_e32 v23, v39, v23, vcc_lo
	v_cndmask_b32_e64 v14, v14, 0xffffff92, vcc_lo
	s_delay_alu instid0(VALU_DEP_3) | instskip(NEXT) | instid1(VALU_DEP_3)
	v_lshl_add_u32 v39, 0x200000, v38, -1
	v_lshrrev_b32_e32 v48, v38, v23
	v_lshlrev_b32_e64 v50, v38, 0x100000
	s_delay_alu instid0(VALU_DEP_4) | instskip(NEXT) | instid1(VALU_DEP_4)
	v_add_nc_u32_e32 v38, v38, v14
	v_and_b32_e32 v23, v39, v23
	s_delay_alu instid0(VALU_DEP_4) | instskip(NEXT) | instid1(VALU_DEP_2)
	v_bfe_u32 v49, v48, 21, 1
	v_cmp_eq_u32_e64 s13, v23, v50
	s_delay_alu instid0(VALU_DEP_2) | instskip(NEXT) | instid1(VALU_DEP_1)
	v_add_nc_u32_e32 v39, -1, v49
	v_cndmask_b32_e64 v23, 0, v39, s13
	v_lshrrev_b32_e32 v39, 23, v48
	s_mov_b32 s13, exec_lo
	s_delay_alu instid0(VALU_DEP_2) | instskip(NEXT) | instid1(VALU_DEP_2)
	v_add_nc_u32_e32 v23, v23, v48
	v_xor_b32_e32 v39, 1, v39
	s_delay_alu instid0(VALU_DEP_2) | instskip(NEXT) | instid1(VALU_DEP_1)
	v_and_b32_e32 v14, 0x1fffff, v23
	v_add_nc_u32_e32 v23, v14, v48
                                        ; implicit-def: $vgpr14
	s_delay_alu instid0(VALU_DEP_3)
	v_cmpx_ne_u32_e64 v38, v39
	s_xor_b32 s13, exec_lo, s13
; %bb.7397:                             ;   in Loop: Header=BB6_6496 Depth=4
	s_delay_alu instid0(VALU_DEP_2) | instskip(SKIP_2) | instid1(VALU_DEP_2)
	v_cmp_lt_u32_e32 vcc_lo, 0xffffff, v23
	v_sub_nc_u32_e32 v14, v38, v39
	v_cndmask_b32_e64 v38, 0, 1, vcc_lo
	v_add_co_ci_u32_e32 v14, vcc_lo, 0, v14, vcc_lo
	s_delay_alu instid0(VALU_DEP_2)
	v_lshrrev_b32_e32 v23, v38, v23
; %bb.7398:                             ;   in Loop: Header=BB6_6496 Depth=4
	s_and_not1_saveexec_b32 s13, s13
; %bb.7399:                             ;   in Loop: Header=BB6_6496 Depth=4
	s_delay_alu instid0(VALU_DEP_1)
	v_bfe_u32 v14, v23, 23, 1
; %bb.7400:                             ;   in Loop: Header=BB6_6496 Depth=4
	s_or_b32 exec_lo, exec_lo, s13
	v_lshrrev_b32_e32 v23, 21, v23
	s_delay_alu instid0(VALU_DEP_2) | instskip(SKIP_2) | instid1(VALU_DEP_4)
	v_cmp_gt_i32_e32 vcc_lo, 32, v14
	v_lshrrev_b32_e32 v15, 24, v15
	v_min_i32_e32 v38, 31, v14
	v_cndmask_b32_e32 v23, 3, v23, vcc_lo
	s_delay_alu instid0(VALU_DEP_3) | instskip(NEXT) | instid1(VALU_DEP_3)
	v_and_b32_e32 v15, 0x80, v15
	v_lshlrev_b32_e32 v38, 2, v38
	s_delay_alu instid0(VALU_DEP_3) | instskip(SKIP_1) | instid1(VALU_DEP_2)
	v_and_b32_e32 v39, 3, v23
	v_or_b32_e32 v14, v14, v23
	v_or3_b32 v15, v38, v15, v39
	s_delay_alu instid0(VALU_DEP_2) | instskip(NEXT) | instid1(VALU_DEP_2)
	v_cmp_ne_u32_e32 vcc_lo, 0, v14
	v_cndmask_b32_e32 v14, 0, v15, vcc_lo
.LBB6_7401:                             ;   in Loop: Header=BB6_6496 Depth=4
	s_or_b32 exec_lo, exec_lo, s35
.LBB6_7402:                             ;   in Loop: Header=BB6_6496 Depth=4
	s_delay_alu instid0(SALU_CYCLE_1)
	s_or_b32 exec_lo, exec_lo, s34
	v_add_co_u32 v38, vcc_lo, 0xfffffc20, v12
	v_add_co_ci_u32_e32 v39, vcc_lo, -1, v13, vcc_lo
	v_sub_nc_u32_e32 v2, v2, v114
	v_mov_b32_e32 v15, v184
	flat_store_b8 v[38:39], v21 glc slc dlc
	v_add_co_u32 v38, vcc_lo, 0xfffffc40, v12
	v_add_co_ci_u32_e32 v39, vcc_lo, -1, v13, vcc_lo
	v_add_co_u32 v48, vcc_lo, 0xfffffc60, v12
	v_add_co_ci_u32_e32 v49, vcc_lo, -1, v13, vcc_lo
	v_add_co_u32 v53, vcc_lo, 0xfffffc80, v12
	v_add_co_ci_u32_e32 v54, vcc_lo, -1, v13, vcc_lo
	v_add_co_u32 v80, vcc_lo, 0xfffffca0, v12
	v_add_co_ci_u32_e32 v81, vcc_lo, -1, v13, vcc_lo
	v_add_co_u32 v83, vcc_lo, 0xfffffcc0, v12
	v_add_co_ci_u32_e32 v84, vcc_lo, -1, v13, vcc_lo
	flat_store_b8 v[38:39], v82 glc slc dlc
	flat_store_b8 v[48:49], v150 glc slc dlc
	flat_store_b8 v[53:54], v163 glc slc dlc
	flat_store_b8 v[80:81], v176 glc slc dlc
	flat_store_b8 v[83:84], v181 glc slc dlc
	v_add_co_u32 v38, vcc_lo, 0xfffffce0, v12
	v_add_co_ci_u32_e32 v39, vcc_lo, -1, v13, vcc_lo
	v_add_co_u32 v48, vcc_lo, 0xfffffd00, v12
	v_add_co_ci_u32_e32 v49, vcc_lo, -1, v13, vcc_lo
	v_add_co_u32 v53, vcc_lo, 0xfffffd20, v12
	v_add_co_ci_u32_e32 v54, vcc_lo, -1, v13, vcc_lo
	v_add_co_u32 v80, vcc_lo, 0xfffffd40, v12
	v_add_co_ci_u32_e32 v81, vcc_lo, -1, v13, vcc_lo
	v_add_co_u32 v82, vcc_lo, 0xfffffd60, v12
	v_add_co_ci_u32_e32 v83, vcc_lo, -1, v13, vcc_lo
	flat_store_b8 v[38:39], v42 glc slc dlc
	flat_store_b8 v[48:49], v47 glc slc dlc
	flat_store_b8 v[53:54], v56 glc slc dlc
	flat_store_b8 v[80:81], v46 glc slc dlc
	;; [unrolled: 15-line block ×6, first 2 shown]
	flat_store_b8 v[80:81], v20 glc slc dlc
	flat_store_b8 v[12:13], v14 glc slc dlc
	v_mov_b32_e32 v14, v175
	s_delay_alu instid0(VALU_DEP_1)
	v_add_co_u32 v8, vcc_lo, v8, v14
	v_add_co_ci_u32_e32 v9, vcc_lo, v9, v15, vcc_lo
	v_add_co_u32 v10, vcc_lo, v10, v14
	v_add_co_ci_u32_e32 v11, vcc_lo, v11, v15, vcc_lo
	v_cmp_gt_i32_e32 vcc_lo, 1, v2
	v_add_co_u32 v12, s13, v12, v14
	s_delay_alu instid0(VALU_DEP_1) | instskip(SKIP_1) | instid1(SALU_CYCLE_1)
	v_add_co_ci_u32_e64 v13, s13, v13, v15, s13
	s_or_b32 s31, vcc_lo, s31
	s_and_not1_b32 exec_lo, exec_lo, s31
	s_cbranch_execnz .LBB6_6496
	s_branch .LBB6_7787
.LBB6_7403:                             ;   in Loop: Header=BB6_6496 Depth=4
	s_mov_b32 s13, -1
	s_mov_b32 s36, exec_lo
                                        ; implicit-def: $sgpr34
	v_cmpx_eq_u16_e32 0x80, v14
; %bb.7404:                             ;   in Loop: Header=BB6_6496 Depth=4
	s_mov_b32 s34, 0x7f800001
	s_xor_b32 s13, exec_lo, -1
; %bb.7405:                             ;   in Loop: Header=BB6_6496 Depth=4
	s_or_b32 exec_lo, exec_lo, s36
	s_delay_alu instid0(SALU_CYCLE_1)
	s_and_b32 s13, s13, exec_lo
	s_or_saveexec_b32 s35, s35
	v_mov_b32_e32 v20, s34
	s_xor_b32 exec_lo, exec_lo, s35
	s_cbranch_execz .LBB6_6508
.LBB6_7406:                             ;   in Loop: Header=BB6_6496 Depth=4
	v_cmp_ne_u16_e32 vcc_lo, 0, v14
	v_mov_b32_e32 v20, 0
	s_and_not1_b32 s13, s13, exec_lo
	s_and_b32 vcc_lo, vcc_lo, exec_lo
	s_delay_alu instid0(SALU_CYCLE_1)
	s_or_b32 s13, s13, vcc_lo
	s_or_b32 exec_lo, exec_lo, s35
	s_and_saveexec_b32 s34, s13
	s_cbranch_execnz .LBB6_6509
	s_branch .LBB6_6510
.LBB6_7407:                             ;   in Loop: Header=BB6_6496 Depth=4
	s_mov_b32 s13, -1
	s_mov_b32 s36, exec_lo
                                        ; implicit-def: $sgpr34
	v_cmpx_eq_u16_e32 0x80, v14
; %bb.7408:                             ;   in Loop: Header=BB6_6496 Depth=4
	s_mov_b32 s34, 0x7f800001
	s_xor_b32 s13, exec_lo, -1
; %bb.7409:                             ;   in Loop: Header=BB6_6496 Depth=4
	s_or_b32 exec_lo, exec_lo, s36
	s_delay_alu instid0(SALU_CYCLE_1)
	s_and_b32 s13, s13, exec_lo
	s_or_saveexec_b32 s35, s35
	v_mov_b32_e32 v20, s34
	s_xor_b32 exec_lo, exec_lo, s35
	s_cbranch_execz .LBB6_6520
.LBB6_7410:                             ;   in Loop: Header=BB6_6496 Depth=4
	v_cmp_ne_u16_e32 vcc_lo, 0, v14
	v_mov_b32_e32 v20, 0
	s_and_not1_b32 s13, s13, exec_lo
	s_and_b32 vcc_lo, vcc_lo, exec_lo
	s_delay_alu instid0(SALU_CYCLE_1)
	s_or_b32 s13, s13, vcc_lo
	s_or_b32 exec_lo, exec_lo, s35
	s_and_saveexec_b32 s34, s13
	s_cbranch_execnz .LBB6_6521
	s_branch .LBB6_6522
.LBB6_7411:                             ;   in Loop: Header=BB6_6496 Depth=4
	s_mov_b32 s13, -1
	s_mov_b32 s36, exec_lo
                                        ; implicit-def: $sgpr34
	v_cmpx_eq_u16_e32 0x80, v14
; %bb.7412:                             ;   in Loop: Header=BB6_6496 Depth=4
	s_mov_b32 s34, 0x7f800001
	s_xor_b32 s13, exec_lo, -1
; %bb.7413:                             ;   in Loop: Header=BB6_6496 Depth=4
	s_or_b32 exec_lo, exec_lo, s36
	s_delay_alu instid0(SALU_CYCLE_1)
	s_and_b32 s13, s13, exec_lo
	s_or_saveexec_b32 s35, s35
	v_mov_b32_e32 v20, s34
	s_xor_b32 exec_lo, exec_lo, s35
	s_cbranch_execz .LBB6_6532
.LBB6_7414:                             ;   in Loop: Header=BB6_6496 Depth=4
	v_cmp_ne_u16_e32 vcc_lo, 0, v14
	v_mov_b32_e32 v20, 0
	s_and_not1_b32 s13, s13, exec_lo
	s_and_b32 vcc_lo, vcc_lo, exec_lo
	s_delay_alu instid0(SALU_CYCLE_1)
	s_or_b32 s13, s13, vcc_lo
	s_or_b32 exec_lo, exec_lo, s35
	s_and_saveexec_b32 s34, s13
	s_cbranch_execnz .LBB6_6533
	s_branch .LBB6_6534
.LBB6_7415:                             ;   in Loop: Header=BB6_6496 Depth=4
	s_mov_b32 s13, -1
	s_mov_b32 s36, exec_lo
                                        ; implicit-def: $sgpr34
	v_cmpx_eq_u16_e32 0x80, v14
; %bb.7416:                             ;   in Loop: Header=BB6_6496 Depth=4
	s_mov_b32 s34, 0x7f800001
	s_xor_b32 s13, exec_lo, -1
; %bb.7417:                             ;   in Loop: Header=BB6_6496 Depth=4
	s_or_b32 exec_lo, exec_lo, s36
	s_delay_alu instid0(SALU_CYCLE_1)
	s_and_b32 s13, s13, exec_lo
	s_or_saveexec_b32 s35, s35
	v_mov_b32_e32 v20, s34
	s_xor_b32 exec_lo, exec_lo, s35
	s_cbranch_execz .LBB6_6544
.LBB6_7418:                             ;   in Loop: Header=BB6_6496 Depth=4
	v_cmp_ne_u16_e32 vcc_lo, 0, v14
	v_mov_b32_e32 v20, 0
	s_and_not1_b32 s13, s13, exec_lo
	s_and_b32 vcc_lo, vcc_lo, exec_lo
	s_delay_alu instid0(SALU_CYCLE_1)
	s_or_b32 s13, s13, vcc_lo
	s_or_b32 exec_lo, exec_lo, s35
	s_and_saveexec_b32 s34, s13
	s_cbranch_execnz .LBB6_6545
	s_branch .LBB6_6546
.LBB6_7419:                             ;   in Loop: Header=BB6_6496 Depth=4
	s_mov_b32 s13, -1
	s_mov_b32 s36, exec_lo
                                        ; implicit-def: $sgpr34
	v_cmpx_eq_u16_e32 0x80, v14
; %bb.7420:                             ;   in Loop: Header=BB6_6496 Depth=4
	s_mov_b32 s34, 0x7f800001
	s_xor_b32 s13, exec_lo, -1
; %bb.7421:                             ;   in Loop: Header=BB6_6496 Depth=4
	s_or_b32 exec_lo, exec_lo, s36
	s_delay_alu instid0(SALU_CYCLE_1)
	s_and_b32 s13, s13, exec_lo
	s_or_saveexec_b32 s35, s35
	v_mov_b32_e32 v20, s34
	s_xor_b32 exec_lo, exec_lo, s35
	s_cbranch_execz .LBB6_6556
.LBB6_7422:                             ;   in Loop: Header=BB6_6496 Depth=4
	v_cmp_ne_u16_e32 vcc_lo, 0, v14
	v_mov_b32_e32 v20, 0
	s_and_not1_b32 s13, s13, exec_lo
	s_and_b32 vcc_lo, vcc_lo, exec_lo
	s_delay_alu instid0(SALU_CYCLE_1)
	s_or_b32 s13, s13, vcc_lo
	s_or_b32 exec_lo, exec_lo, s35
	s_and_saveexec_b32 s34, s13
	s_cbranch_execnz .LBB6_6557
	s_branch .LBB6_6558
.LBB6_7423:                             ;   in Loop: Header=BB6_6496 Depth=4
	s_mov_b32 s13, -1
	s_mov_b32 s36, exec_lo
                                        ; implicit-def: $sgpr34
	v_cmpx_eq_u16_e32 0x80, v14
; %bb.7424:                             ;   in Loop: Header=BB6_6496 Depth=4
	s_mov_b32 s34, 0x7f800001
	s_xor_b32 s13, exec_lo, -1
; %bb.7425:                             ;   in Loop: Header=BB6_6496 Depth=4
	s_or_b32 exec_lo, exec_lo, s36
	s_delay_alu instid0(SALU_CYCLE_1)
	s_and_b32 s13, s13, exec_lo
	s_or_saveexec_b32 s35, s35
	v_mov_b32_e32 v20, s34
	s_xor_b32 exec_lo, exec_lo, s35
	s_cbranch_execz .LBB6_6568
.LBB6_7426:                             ;   in Loop: Header=BB6_6496 Depth=4
	v_cmp_ne_u16_e32 vcc_lo, 0, v14
	v_mov_b32_e32 v20, 0
	s_and_not1_b32 s13, s13, exec_lo
	s_and_b32 vcc_lo, vcc_lo, exec_lo
	s_delay_alu instid0(SALU_CYCLE_1)
	s_or_b32 s13, s13, vcc_lo
	s_or_b32 exec_lo, exec_lo, s35
	s_and_saveexec_b32 s34, s13
	s_cbranch_execnz .LBB6_6569
	s_branch .LBB6_6570
.LBB6_7427:                             ;   in Loop: Header=BB6_6496 Depth=4
	s_mov_b32 s13, -1
	s_mov_b32 s36, exec_lo
                                        ; implicit-def: $sgpr34
	v_cmpx_eq_u16_e32 0x80, v14
; %bb.7428:                             ;   in Loop: Header=BB6_6496 Depth=4
	s_mov_b32 s34, 0x7f800001
	s_xor_b32 s13, exec_lo, -1
; %bb.7429:                             ;   in Loop: Header=BB6_6496 Depth=4
	s_or_b32 exec_lo, exec_lo, s36
	s_delay_alu instid0(SALU_CYCLE_1)
	s_and_b32 s13, s13, exec_lo
	s_or_saveexec_b32 s35, s35
	v_mov_b32_e32 v20, s34
	s_xor_b32 exec_lo, exec_lo, s35
	s_cbranch_execz .LBB6_6580
.LBB6_7430:                             ;   in Loop: Header=BB6_6496 Depth=4
	v_cmp_ne_u16_e32 vcc_lo, 0, v14
	v_mov_b32_e32 v20, 0
	s_and_not1_b32 s13, s13, exec_lo
	s_and_b32 vcc_lo, vcc_lo, exec_lo
	s_delay_alu instid0(SALU_CYCLE_1)
	s_or_b32 s13, s13, vcc_lo
	s_or_b32 exec_lo, exec_lo, s35
	s_and_saveexec_b32 s34, s13
	s_cbranch_execnz .LBB6_6581
	s_branch .LBB6_6582
.LBB6_7431:                             ;   in Loop: Header=BB6_6496 Depth=4
	s_mov_b32 s13, -1
	s_mov_b32 s36, exec_lo
                                        ; implicit-def: $sgpr34
	v_cmpx_eq_u16_e32 0x80, v14
; %bb.7432:                             ;   in Loop: Header=BB6_6496 Depth=4
	s_mov_b32 s34, 0x7f800001
	s_xor_b32 s13, exec_lo, -1
; %bb.7433:                             ;   in Loop: Header=BB6_6496 Depth=4
	s_or_b32 exec_lo, exec_lo, s36
	s_delay_alu instid0(SALU_CYCLE_1)
	s_and_b32 s13, s13, exec_lo
	s_or_saveexec_b32 s35, s35
	v_mov_b32_e32 v20, s34
	s_xor_b32 exec_lo, exec_lo, s35
	s_cbranch_execz .LBB6_6592
.LBB6_7434:                             ;   in Loop: Header=BB6_6496 Depth=4
	v_cmp_ne_u16_e32 vcc_lo, 0, v14
	v_mov_b32_e32 v20, 0
	s_and_not1_b32 s13, s13, exec_lo
	s_and_b32 vcc_lo, vcc_lo, exec_lo
	s_delay_alu instid0(SALU_CYCLE_1)
	s_or_b32 s13, s13, vcc_lo
	s_or_b32 exec_lo, exec_lo, s35
	s_and_saveexec_b32 s34, s13
	s_cbranch_execnz .LBB6_6593
	s_branch .LBB6_6594
.LBB6_7435:                             ;   in Loop: Header=BB6_6496 Depth=4
	s_mov_b32 s13, -1
	s_mov_b32 s36, exec_lo
                                        ; implicit-def: $sgpr34
	v_cmpx_eq_u16_e32 0x80, v14
; %bb.7436:                             ;   in Loop: Header=BB6_6496 Depth=4
	s_mov_b32 s34, 0x7f800001
	s_xor_b32 s13, exec_lo, -1
; %bb.7437:                             ;   in Loop: Header=BB6_6496 Depth=4
	s_or_b32 exec_lo, exec_lo, s36
	s_delay_alu instid0(SALU_CYCLE_1)
	s_and_b32 s13, s13, exec_lo
	s_or_saveexec_b32 s35, s35
	v_mov_b32_e32 v20, s34
	s_xor_b32 exec_lo, exec_lo, s35
	s_cbranch_execz .LBB6_6604
.LBB6_7438:                             ;   in Loop: Header=BB6_6496 Depth=4
	v_cmp_ne_u16_e32 vcc_lo, 0, v14
	v_mov_b32_e32 v20, 0
	s_and_not1_b32 s13, s13, exec_lo
	s_and_b32 vcc_lo, vcc_lo, exec_lo
	s_delay_alu instid0(SALU_CYCLE_1)
	s_or_b32 s13, s13, vcc_lo
	s_or_b32 exec_lo, exec_lo, s35
	s_and_saveexec_b32 s34, s13
	s_cbranch_execnz .LBB6_6605
	s_branch .LBB6_6606
.LBB6_7439:                             ;   in Loop: Header=BB6_6496 Depth=4
	s_mov_b32 s13, -1
	s_mov_b32 s36, exec_lo
                                        ; implicit-def: $sgpr34
	v_cmpx_eq_u16_e32 0x80, v14
; %bb.7440:                             ;   in Loop: Header=BB6_6496 Depth=4
	s_mov_b32 s34, 0x7f800001
	s_xor_b32 s13, exec_lo, -1
; %bb.7441:                             ;   in Loop: Header=BB6_6496 Depth=4
	s_or_b32 exec_lo, exec_lo, s36
	s_delay_alu instid0(SALU_CYCLE_1)
	s_and_b32 s13, s13, exec_lo
	s_or_saveexec_b32 s35, s35
	v_mov_b32_e32 v20, s34
	s_xor_b32 exec_lo, exec_lo, s35
	s_cbranch_execz .LBB6_6616
.LBB6_7442:                             ;   in Loop: Header=BB6_6496 Depth=4
	v_cmp_ne_u16_e32 vcc_lo, 0, v14
	v_mov_b32_e32 v20, 0
	s_and_not1_b32 s13, s13, exec_lo
	s_and_b32 vcc_lo, vcc_lo, exec_lo
	s_delay_alu instid0(SALU_CYCLE_1)
	s_or_b32 s13, s13, vcc_lo
	s_or_b32 exec_lo, exec_lo, s35
	s_and_saveexec_b32 s34, s13
	s_cbranch_execnz .LBB6_6617
	s_branch .LBB6_6618
.LBB6_7443:                             ;   in Loop: Header=BB6_6496 Depth=4
	s_mov_b32 s13, -1
	s_mov_b32 s36, exec_lo
                                        ; implicit-def: $sgpr34
	v_cmpx_eq_u16_e32 0x80, v14
; %bb.7444:                             ;   in Loop: Header=BB6_6496 Depth=4
	s_mov_b32 s34, 0x7f800001
	s_xor_b32 s13, exec_lo, -1
; %bb.7445:                             ;   in Loop: Header=BB6_6496 Depth=4
	s_or_b32 exec_lo, exec_lo, s36
	s_delay_alu instid0(SALU_CYCLE_1)
	s_and_b32 s13, s13, exec_lo
	s_or_saveexec_b32 s35, s35
	v_mov_b32_e32 v20, s34
	s_xor_b32 exec_lo, exec_lo, s35
	s_cbranch_execz .LBB6_6628
.LBB6_7446:                             ;   in Loop: Header=BB6_6496 Depth=4
	v_cmp_ne_u16_e32 vcc_lo, 0, v14
	v_mov_b32_e32 v20, 0
	s_and_not1_b32 s13, s13, exec_lo
	s_and_b32 vcc_lo, vcc_lo, exec_lo
	s_delay_alu instid0(SALU_CYCLE_1)
	s_or_b32 s13, s13, vcc_lo
	s_or_b32 exec_lo, exec_lo, s35
	s_and_saveexec_b32 s34, s13
	s_cbranch_execnz .LBB6_6629
	s_branch .LBB6_6630
.LBB6_7447:                             ;   in Loop: Header=BB6_6496 Depth=4
	s_mov_b32 s13, -1
	s_mov_b32 s36, exec_lo
                                        ; implicit-def: $sgpr34
	v_cmpx_eq_u16_e32 0x80, v14
; %bb.7448:                             ;   in Loop: Header=BB6_6496 Depth=4
	s_mov_b32 s34, 0x7f800001
	s_xor_b32 s13, exec_lo, -1
; %bb.7449:                             ;   in Loop: Header=BB6_6496 Depth=4
	s_or_b32 exec_lo, exec_lo, s36
	s_delay_alu instid0(SALU_CYCLE_1)
	s_and_b32 s13, s13, exec_lo
	s_or_saveexec_b32 s35, s35
	v_mov_b32_e32 v20, s34
	s_xor_b32 exec_lo, exec_lo, s35
	s_cbranch_execz .LBB6_6640
.LBB6_7450:                             ;   in Loop: Header=BB6_6496 Depth=4
	v_cmp_ne_u16_e32 vcc_lo, 0, v14
	v_mov_b32_e32 v20, 0
	s_and_not1_b32 s13, s13, exec_lo
	s_and_b32 vcc_lo, vcc_lo, exec_lo
	s_delay_alu instid0(SALU_CYCLE_1)
	s_or_b32 s13, s13, vcc_lo
	s_or_b32 exec_lo, exec_lo, s35
	s_and_saveexec_b32 s34, s13
	s_cbranch_execnz .LBB6_6641
	s_branch .LBB6_6642
.LBB6_7451:                             ;   in Loop: Header=BB6_6496 Depth=4
	s_mov_b32 s13, -1
	s_mov_b32 s36, exec_lo
                                        ; implicit-def: $sgpr34
	v_cmpx_eq_u16_e32 0x80, v14
; %bb.7452:                             ;   in Loop: Header=BB6_6496 Depth=4
	s_mov_b32 s34, 0x7f800001
	s_xor_b32 s13, exec_lo, -1
; %bb.7453:                             ;   in Loop: Header=BB6_6496 Depth=4
	s_or_b32 exec_lo, exec_lo, s36
	s_delay_alu instid0(SALU_CYCLE_1)
	s_and_b32 s13, s13, exec_lo
	s_or_saveexec_b32 s35, s35
	v_mov_b32_e32 v20, s34
	s_xor_b32 exec_lo, exec_lo, s35
	s_cbranch_execz .LBB6_6652
.LBB6_7454:                             ;   in Loop: Header=BB6_6496 Depth=4
	v_cmp_ne_u16_e32 vcc_lo, 0, v14
	v_mov_b32_e32 v20, 0
	s_and_not1_b32 s13, s13, exec_lo
	s_and_b32 vcc_lo, vcc_lo, exec_lo
	s_delay_alu instid0(SALU_CYCLE_1)
	s_or_b32 s13, s13, vcc_lo
	s_or_b32 exec_lo, exec_lo, s35
	s_and_saveexec_b32 s34, s13
	s_cbranch_execnz .LBB6_6653
	s_branch .LBB6_6654
.LBB6_7455:                             ;   in Loop: Header=BB6_6496 Depth=4
	s_mov_b32 s13, -1
	s_mov_b32 s36, exec_lo
                                        ; implicit-def: $sgpr34
	v_cmpx_eq_u16_e32 0x80, v14
; %bb.7456:                             ;   in Loop: Header=BB6_6496 Depth=4
	s_mov_b32 s34, 0x7f800001
	s_xor_b32 s13, exec_lo, -1
; %bb.7457:                             ;   in Loop: Header=BB6_6496 Depth=4
	s_or_b32 exec_lo, exec_lo, s36
	s_delay_alu instid0(SALU_CYCLE_1)
	s_and_b32 s13, s13, exec_lo
	s_or_saveexec_b32 s35, s35
	v_mov_b32_e32 v20, s34
	s_xor_b32 exec_lo, exec_lo, s35
	s_cbranch_execz .LBB6_6664
.LBB6_7458:                             ;   in Loop: Header=BB6_6496 Depth=4
	v_cmp_ne_u16_e32 vcc_lo, 0, v14
	v_mov_b32_e32 v20, 0
	s_and_not1_b32 s13, s13, exec_lo
	s_and_b32 vcc_lo, vcc_lo, exec_lo
	s_delay_alu instid0(SALU_CYCLE_1)
	s_or_b32 s13, s13, vcc_lo
	s_or_b32 exec_lo, exec_lo, s35
	s_and_saveexec_b32 s34, s13
	s_cbranch_execnz .LBB6_6665
	s_branch .LBB6_6666
.LBB6_7459:                             ;   in Loop: Header=BB6_6496 Depth=4
	s_mov_b32 s13, -1
	s_mov_b32 s36, exec_lo
                                        ; implicit-def: $sgpr34
	v_cmpx_eq_u16_e32 0x80, v14
; %bb.7460:                             ;   in Loop: Header=BB6_6496 Depth=4
	s_mov_b32 s34, 0x7f800001
	s_xor_b32 s13, exec_lo, -1
; %bb.7461:                             ;   in Loop: Header=BB6_6496 Depth=4
	s_or_b32 exec_lo, exec_lo, s36
	s_delay_alu instid0(SALU_CYCLE_1)
	s_and_b32 s13, s13, exec_lo
	s_or_saveexec_b32 s35, s35
	v_mov_b32_e32 v20, s34
	s_xor_b32 exec_lo, exec_lo, s35
	s_cbranch_execz .LBB6_6676
.LBB6_7462:                             ;   in Loop: Header=BB6_6496 Depth=4
	v_cmp_ne_u16_e32 vcc_lo, 0, v14
	v_mov_b32_e32 v20, 0
	s_and_not1_b32 s13, s13, exec_lo
	s_and_b32 vcc_lo, vcc_lo, exec_lo
	s_delay_alu instid0(SALU_CYCLE_1)
	s_or_b32 s13, s13, vcc_lo
	s_or_b32 exec_lo, exec_lo, s35
	s_and_saveexec_b32 s34, s13
	s_cbranch_execnz .LBB6_6677
	s_branch .LBB6_6678
.LBB6_7463:                             ;   in Loop: Header=BB6_6496 Depth=4
	s_mov_b32 s13, -1
	s_mov_b32 s36, exec_lo
                                        ; implicit-def: $sgpr34
	v_cmpx_eq_u16_e32 0x80, v14
; %bb.7464:                             ;   in Loop: Header=BB6_6496 Depth=4
	s_mov_b32 s34, 0x7f800001
	s_xor_b32 s13, exec_lo, -1
; %bb.7465:                             ;   in Loop: Header=BB6_6496 Depth=4
	s_or_b32 exec_lo, exec_lo, s36
	s_delay_alu instid0(SALU_CYCLE_1)
	s_and_b32 s13, s13, exec_lo
	s_or_saveexec_b32 s35, s35
	v_mov_b32_e32 v20, s34
	s_xor_b32 exec_lo, exec_lo, s35
	s_cbranch_execz .LBB6_6688
.LBB6_7466:                             ;   in Loop: Header=BB6_6496 Depth=4
	v_cmp_ne_u16_e32 vcc_lo, 0, v14
	v_mov_b32_e32 v20, 0
	s_and_not1_b32 s13, s13, exec_lo
	s_and_b32 vcc_lo, vcc_lo, exec_lo
	s_delay_alu instid0(SALU_CYCLE_1)
	s_or_b32 s13, s13, vcc_lo
	s_or_b32 exec_lo, exec_lo, s35
	s_and_saveexec_b32 s34, s13
	s_cbranch_execnz .LBB6_6689
	s_branch .LBB6_6690
.LBB6_7467:                             ;   in Loop: Header=BB6_6496 Depth=4
	s_mov_b32 s13, -1
	s_mov_b32 s36, exec_lo
                                        ; implicit-def: $sgpr34
	v_cmpx_eq_u16_e32 0x80, v14
; %bb.7468:                             ;   in Loop: Header=BB6_6496 Depth=4
	s_mov_b32 s34, 0x7f800001
	s_xor_b32 s13, exec_lo, -1
; %bb.7469:                             ;   in Loop: Header=BB6_6496 Depth=4
	s_or_b32 exec_lo, exec_lo, s36
	s_delay_alu instid0(SALU_CYCLE_1)
	s_and_b32 s13, s13, exec_lo
	s_or_saveexec_b32 s35, s35
	v_mov_b32_e32 v20, s34
	s_xor_b32 exec_lo, exec_lo, s35
	s_cbranch_execz .LBB6_6700
.LBB6_7470:                             ;   in Loop: Header=BB6_6496 Depth=4
	v_cmp_ne_u16_e32 vcc_lo, 0, v14
	v_mov_b32_e32 v20, 0
	s_and_not1_b32 s13, s13, exec_lo
	s_and_b32 vcc_lo, vcc_lo, exec_lo
	s_delay_alu instid0(SALU_CYCLE_1)
	s_or_b32 s13, s13, vcc_lo
	s_or_b32 exec_lo, exec_lo, s35
	s_and_saveexec_b32 s34, s13
	s_cbranch_execnz .LBB6_6701
	s_branch .LBB6_6702
.LBB6_7471:                             ;   in Loop: Header=BB6_6496 Depth=4
	s_mov_b32 s13, -1
	s_mov_b32 s36, exec_lo
                                        ; implicit-def: $sgpr34
	v_cmpx_eq_u16_e32 0x80, v14
; %bb.7472:                             ;   in Loop: Header=BB6_6496 Depth=4
	s_mov_b32 s34, 0x7f800001
	s_xor_b32 s13, exec_lo, -1
; %bb.7473:                             ;   in Loop: Header=BB6_6496 Depth=4
	s_or_b32 exec_lo, exec_lo, s36
	s_delay_alu instid0(SALU_CYCLE_1)
	s_and_b32 s13, s13, exec_lo
	s_or_saveexec_b32 s35, s35
	v_mov_b32_e32 v20, s34
	s_xor_b32 exec_lo, exec_lo, s35
	s_cbranch_execz .LBB6_6712
.LBB6_7474:                             ;   in Loop: Header=BB6_6496 Depth=4
	v_cmp_ne_u16_e32 vcc_lo, 0, v14
	v_mov_b32_e32 v20, 0
	s_and_not1_b32 s13, s13, exec_lo
	s_and_b32 vcc_lo, vcc_lo, exec_lo
	s_delay_alu instid0(SALU_CYCLE_1)
	s_or_b32 s13, s13, vcc_lo
	s_or_b32 exec_lo, exec_lo, s35
	s_and_saveexec_b32 s34, s13
	s_cbranch_execnz .LBB6_6713
	s_branch .LBB6_6714
.LBB6_7475:                             ;   in Loop: Header=BB6_6496 Depth=4
	s_mov_b32 s13, -1
	s_mov_b32 s36, exec_lo
                                        ; implicit-def: $sgpr34
	v_cmpx_eq_u16_e32 0x80, v14
; %bb.7476:                             ;   in Loop: Header=BB6_6496 Depth=4
	s_mov_b32 s34, 0x7f800001
	s_xor_b32 s13, exec_lo, -1
; %bb.7477:                             ;   in Loop: Header=BB6_6496 Depth=4
	s_or_b32 exec_lo, exec_lo, s36
	s_delay_alu instid0(SALU_CYCLE_1)
	s_and_b32 s13, s13, exec_lo
	s_or_saveexec_b32 s35, s35
	v_mov_b32_e32 v20, s34
	s_xor_b32 exec_lo, exec_lo, s35
	s_cbranch_execz .LBB6_6724
.LBB6_7478:                             ;   in Loop: Header=BB6_6496 Depth=4
	v_cmp_ne_u16_e32 vcc_lo, 0, v14
	v_mov_b32_e32 v20, 0
	s_and_not1_b32 s13, s13, exec_lo
	s_and_b32 vcc_lo, vcc_lo, exec_lo
	s_delay_alu instid0(SALU_CYCLE_1)
	s_or_b32 s13, s13, vcc_lo
	s_or_b32 exec_lo, exec_lo, s35
	s_and_saveexec_b32 s34, s13
	s_cbranch_execnz .LBB6_6725
	s_branch .LBB6_6726
.LBB6_7479:                             ;   in Loop: Header=BB6_6496 Depth=4
	s_mov_b32 s13, -1
	s_mov_b32 s36, exec_lo
                                        ; implicit-def: $sgpr34
	v_cmpx_eq_u16_e32 0x80, v14
; %bb.7480:                             ;   in Loop: Header=BB6_6496 Depth=4
	s_mov_b32 s34, 0x7f800001
	s_xor_b32 s13, exec_lo, -1
; %bb.7481:                             ;   in Loop: Header=BB6_6496 Depth=4
	s_or_b32 exec_lo, exec_lo, s36
	s_delay_alu instid0(SALU_CYCLE_1)
	s_and_b32 s13, s13, exec_lo
	s_or_saveexec_b32 s35, s35
	v_mov_b32_e32 v20, s34
	s_xor_b32 exec_lo, exec_lo, s35
	s_cbranch_execz .LBB6_6736
.LBB6_7482:                             ;   in Loop: Header=BB6_6496 Depth=4
	v_cmp_ne_u16_e32 vcc_lo, 0, v14
	v_mov_b32_e32 v20, 0
	s_and_not1_b32 s13, s13, exec_lo
	s_and_b32 vcc_lo, vcc_lo, exec_lo
	s_delay_alu instid0(SALU_CYCLE_1)
	s_or_b32 s13, s13, vcc_lo
	s_or_b32 exec_lo, exec_lo, s35
	s_and_saveexec_b32 s34, s13
	s_cbranch_execnz .LBB6_6737
	s_branch .LBB6_6738
.LBB6_7483:                             ;   in Loop: Header=BB6_6496 Depth=4
	s_mov_b32 s13, -1
	s_mov_b32 s36, exec_lo
                                        ; implicit-def: $sgpr34
	v_cmpx_eq_u16_e32 0x80, v14
; %bb.7484:                             ;   in Loop: Header=BB6_6496 Depth=4
	s_mov_b32 s34, 0x7f800001
	s_xor_b32 s13, exec_lo, -1
; %bb.7485:                             ;   in Loop: Header=BB6_6496 Depth=4
	s_or_b32 exec_lo, exec_lo, s36
	s_delay_alu instid0(SALU_CYCLE_1)
	s_and_b32 s13, s13, exec_lo
	s_or_saveexec_b32 s35, s35
	v_mov_b32_e32 v20, s34
	s_xor_b32 exec_lo, exec_lo, s35
	s_cbranch_execz .LBB6_6748
.LBB6_7486:                             ;   in Loop: Header=BB6_6496 Depth=4
	v_cmp_ne_u16_e32 vcc_lo, 0, v14
	v_mov_b32_e32 v20, 0
	s_and_not1_b32 s13, s13, exec_lo
	s_and_b32 vcc_lo, vcc_lo, exec_lo
	s_delay_alu instid0(SALU_CYCLE_1)
	s_or_b32 s13, s13, vcc_lo
	s_or_b32 exec_lo, exec_lo, s35
	s_and_saveexec_b32 s34, s13
	s_cbranch_execnz .LBB6_6749
	s_branch .LBB6_6750
.LBB6_7487:                             ;   in Loop: Header=BB6_6496 Depth=4
	s_mov_b32 s13, -1
	s_mov_b32 s36, exec_lo
                                        ; implicit-def: $sgpr34
	v_cmpx_eq_u16_e32 0x80, v14
; %bb.7488:                             ;   in Loop: Header=BB6_6496 Depth=4
	s_mov_b32 s34, 0x7f800001
	s_xor_b32 s13, exec_lo, -1
; %bb.7489:                             ;   in Loop: Header=BB6_6496 Depth=4
	s_or_b32 exec_lo, exec_lo, s36
	s_delay_alu instid0(SALU_CYCLE_1)
	s_and_b32 s13, s13, exec_lo
	s_or_saveexec_b32 s35, s35
	v_mov_b32_e32 v20, s34
	s_xor_b32 exec_lo, exec_lo, s35
	s_cbranch_execz .LBB6_6760
.LBB6_7490:                             ;   in Loop: Header=BB6_6496 Depth=4
	v_cmp_ne_u16_e32 vcc_lo, 0, v14
	v_mov_b32_e32 v20, 0
	s_and_not1_b32 s13, s13, exec_lo
	s_and_b32 vcc_lo, vcc_lo, exec_lo
	s_delay_alu instid0(SALU_CYCLE_1)
	s_or_b32 s13, s13, vcc_lo
	s_or_b32 exec_lo, exec_lo, s35
	s_and_saveexec_b32 s34, s13
	s_cbranch_execnz .LBB6_6761
	s_branch .LBB6_6762
.LBB6_7491:                             ;   in Loop: Header=BB6_6496 Depth=4
	s_mov_b32 s13, -1
	s_mov_b32 s36, exec_lo
                                        ; implicit-def: $sgpr34
	v_cmpx_eq_u16_e32 0x80, v14
; %bb.7492:                             ;   in Loop: Header=BB6_6496 Depth=4
	s_mov_b32 s34, 0x7f800001
	s_xor_b32 s13, exec_lo, -1
; %bb.7493:                             ;   in Loop: Header=BB6_6496 Depth=4
	s_or_b32 exec_lo, exec_lo, s36
	s_delay_alu instid0(SALU_CYCLE_1)
	s_and_b32 s13, s13, exec_lo
	s_or_saveexec_b32 s35, s35
	v_mov_b32_e32 v20, s34
	s_xor_b32 exec_lo, exec_lo, s35
	s_cbranch_execz .LBB6_6772
.LBB6_7494:                             ;   in Loop: Header=BB6_6496 Depth=4
	v_cmp_ne_u16_e32 vcc_lo, 0, v14
	v_mov_b32_e32 v20, 0
	s_and_not1_b32 s13, s13, exec_lo
	s_and_b32 vcc_lo, vcc_lo, exec_lo
	s_delay_alu instid0(SALU_CYCLE_1)
	s_or_b32 s13, s13, vcc_lo
	s_or_b32 exec_lo, exec_lo, s35
	s_and_saveexec_b32 s34, s13
	s_cbranch_execnz .LBB6_6773
	s_branch .LBB6_6774
.LBB6_7495:                             ;   in Loop: Header=BB6_6496 Depth=4
	s_mov_b32 s13, -1
	s_mov_b32 s36, exec_lo
                                        ; implicit-def: $sgpr34
	v_cmpx_eq_u16_e32 0x80, v14
; %bb.7496:                             ;   in Loop: Header=BB6_6496 Depth=4
	s_mov_b32 s34, 0x7f800001
	s_xor_b32 s13, exec_lo, -1
; %bb.7497:                             ;   in Loop: Header=BB6_6496 Depth=4
	s_or_b32 exec_lo, exec_lo, s36
	s_delay_alu instid0(SALU_CYCLE_1)
	s_and_b32 s13, s13, exec_lo
	s_or_saveexec_b32 s35, s35
	v_mov_b32_e32 v20, s34
	s_xor_b32 exec_lo, exec_lo, s35
	s_cbranch_execz .LBB6_6784
.LBB6_7498:                             ;   in Loop: Header=BB6_6496 Depth=4
	v_cmp_ne_u16_e32 vcc_lo, 0, v14
	v_mov_b32_e32 v20, 0
	s_and_not1_b32 s13, s13, exec_lo
	s_and_b32 vcc_lo, vcc_lo, exec_lo
	s_delay_alu instid0(SALU_CYCLE_1)
	s_or_b32 s13, s13, vcc_lo
	s_or_b32 exec_lo, exec_lo, s35
	s_and_saveexec_b32 s34, s13
	s_cbranch_execnz .LBB6_6785
	s_branch .LBB6_6786
.LBB6_7499:                             ;   in Loop: Header=BB6_6496 Depth=4
	s_mov_b32 s13, -1
	s_mov_b32 s36, exec_lo
                                        ; implicit-def: $sgpr34
	v_cmpx_eq_u16_e32 0x80, v14
; %bb.7500:                             ;   in Loop: Header=BB6_6496 Depth=4
	s_mov_b32 s34, 0x7f800001
	s_xor_b32 s13, exec_lo, -1
; %bb.7501:                             ;   in Loop: Header=BB6_6496 Depth=4
	s_or_b32 exec_lo, exec_lo, s36
	s_delay_alu instid0(SALU_CYCLE_1)
	s_and_b32 s13, s13, exec_lo
	s_or_saveexec_b32 s35, s35
	v_mov_b32_e32 v20, s34
	s_xor_b32 exec_lo, exec_lo, s35
	s_cbranch_execz .LBB6_6796
.LBB6_7502:                             ;   in Loop: Header=BB6_6496 Depth=4
	v_cmp_ne_u16_e32 vcc_lo, 0, v14
	v_mov_b32_e32 v20, 0
	s_and_not1_b32 s13, s13, exec_lo
	s_and_b32 vcc_lo, vcc_lo, exec_lo
	s_delay_alu instid0(SALU_CYCLE_1)
	s_or_b32 s13, s13, vcc_lo
	s_or_b32 exec_lo, exec_lo, s35
	s_and_saveexec_b32 s34, s13
	s_cbranch_execnz .LBB6_6797
	s_branch .LBB6_6798
.LBB6_7503:                             ;   in Loop: Header=BB6_6496 Depth=4
	s_mov_b32 s13, -1
	s_mov_b32 s36, exec_lo
                                        ; implicit-def: $sgpr34
	v_cmpx_eq_u16_e32 0x80, v14
; %bb.7504:                             ;   in Loop: Header=BB6_6496 Depth=4
	s_mov_b32 s34, 0x7f800001
	s_xor_b32 s13, exec_lo, -1
; %bb.7505:                             ;   in Loop: Header=BB6_6496 Depth=4
	s_or_b32 exec_lo, exec_lo, s36
	s_delay_alu instid0(SALU_CYCLE_1)
	s_and_b32 s13, s13, exec_lo
	s_or_saveexec_b32 s35, s35
	v_mov_b32_e32 v20, s34
	s_xor_b32 exec_lo, exec_lo, s35
	s_cbranch_execz .LBB6_6808
.LBB6_7506:                             ;   in Loop: Header=BB6_6496 Depth=4
	v_cmp_ne_u16_e32 vcc_lo, 0, v14
	v_mov_b32_e32 v20, 0
	s_and_not1_b32 s13, s13, exec_lo
	s_and_b32 vcc_lo, vcc_lo, exec_lo
	s_delay_alu instid0(SALU_CYCLE_1)
	s_or_b32 s13, s13, vcc_lo
	s_or_b32 exec_lo, exec_lo, s35
	s_and_saveexec_b32 s34, s13
	s_cbranch_execnz .LBB6_6809
	s_branch .LBB6_6810
.LBB6_7507:                             ;   in Loop: Header=BB6_6496 Depth=4
	s_mov_b32 s13, -1
	s_mov_b32 s36, exec_lo
                                        ; implicit-def: $sgpr34
	v_cmpx_eq_u16_e32 0x80, v14
; %bb.7508:                             ;   in Loop: Header=BB6_6496 Depth=4
	s_mov_b32 s34, 0x7f800001
	s_xor_b32 s13, exec_lo, -1
; %bb.7509:                             ;   in Loop: Header=BB6_6496 Depth=4
	s_or_b32 exec_lo, exec_lo, s36
	s_delay_alu instid0(SALU_CYCLE_1)
	s_and_b32 s13, s13, exec_lo
	s_or_saveexec_b32 s35, s35
	v_mov_b32_e32 v20, s34
	s_xor_b32 exec_lo, exec_lo, s35
	s_cbranch_execz .LBB6_6820
.LBB6_7510:                             ;   in Loop: Header=BB6_6496 Depth=4
	v_cmp_ne_u16_e32 vcc_lo, 0, v14
	v_mov_b32_e32 v20, 0
	s_and_not1_b32 s13, s13, exec_lo
	s_and_b32 vcc_lo, vcc_lo, exec_lo
	s_delay_alu instid0(SALU_CYCLE_1)
	s_or_b32 s13, s13, vcc_lo
	s_or_b32 exec_lo, exec_lo, s35
	s_and_saveexec_b32 s34, s13
	s_cbranch_execnz .LBB6_6821
	s_branch .LBB6_6822
.LBB6_7511:                             ;   in Loop: Header=BB6_6496 Depth=4
	s_mov_b32 s13, -1
	s_mov_b32 s36, exec_lo
                                        ; implicit-def: $sgpr34
	v_cmpx_eq_u16_e32 0x80, v14
; %bb.7512:                             ;   in Loop: Header=BB6_6496 Depth=4
	s_mov_b32 s34, 0x7f800001
	s_xor_b32 s13, exec_lo, -1
; %bb.7513:                             ;   in Loop: Header=BB6_6496 Depth=4
	s_or_b32 exec_lo, exec_lo, s36
	s_delay_alu instid0(SALU_CYCLE_1)
	s_and_b32 s13, s13, exec_lo
	s_or_saveexec_b32 s35, s35
	v_mov_b32_e32 v20, s34
	s_xor_b32 exec_lo, exec_lo, s35
	s_cbranch_execz .LBB6_6832
.LBB6_7514:                             ;   in Loop: Header=BB6_6496 Depth=4
	v_cmp_ne_u16_e32 vcc_lo, 0, v14
	v_mov_b32_e32 v20, 0
	s_and_not1_b32 s13, s13, exec_lo
	s_and_b32 vcc_lo, vcc_lo, exec_lo
	s_delay_alu instid0(SALU_CYCLE_1)
	s_or_b32 s13, s13, vcc_lo
	s_or_b32 exec_lo, exec_lo, s35
	s_and_saveexec_b32 s34, s13
	s_cbranch_execnz .LBB6_6833
	s_branch .LBB6_6834
.LBB6_7515:                             ;   in Loop: Header=BB6_6496 Depth=4
	s_mov_b32 s13, -1
	s_mov_b32 s36, exec_lo
                                        ; implicit-def: $sgpr34
	v_cmpx_eq_u16_e32 0x80, v14
; %bb.7516:                             ;   in Loop: Header=BB6_6496 Depth=4
	s_mov_b32 s34, 0x7f800001
	s_xor_b32 s13, exec_lo, -1
; %bb.7517:                             ;   in Loop: Header=BB6_6496 Depth=4
	s_or_b32 exec_lo, exec_lo, s36
	s_delay_alu instid0(SALU_CYCLE_1)
	s_and_b32 s13, s13, exec_lo
	s_or_saveexec_b32 s35, s35
	v_mov_b32_e32 v20, s34
	s_xor_b32 exec_lo, exec_lo, s35
	s_cbranch_execz .LBB6_6844
.LBB6_7518:                             ;   in Loop: Header=BB6_6496 Depth=4
	v_cmp_ne_u16_e32 vcc_lo, 0, v14
	v_mov_b32_e32 v20, 0
	s_and_not1_b32 s13, s13, exec_lo
	s_and_b32 vcc_lo, vcc_lo, exec_lo
	s_delay_alu instid0(SALU_CYCLE_1)
	s_or_b32 s13, s13, vcc_lo
	s_or_b32 exec_lo, exec_lo, s35
	s_and_saveexec_b32 s34, s13
	s_cbranch_execnz .LBB6_6845
	s_branch .LBB6_6846
.LBB6_7519:                             ;   in Loop: Header=BB6_6496 Depth=4
	s_mov_b32 s13, -1
	s_mov_b32 s36, exec_lo
                                        ; implicit-def: $sgpr34
	v_cmpx_eq_u16_e32 0x80, v14
; %bb.7520:                             ;   in Loop: Header=BB6_6496 Depth=4
	s_mov_b32 s34, 0x7f800001
	s_xor_b32 s13, exec_lo, -1
; %bb.7521:                             ;   in Loop: Header=BB6_6496 Depth=4
	s_or_b32 exec_lo, exec_lo, s36
	s_delay_alu instid0(SALU_CYCLE_1)
	s_and_b32 s13, s13, exec_lo
	s_or_saveexec_b32 s35, s35
	v_mov_b32_e32 v20, s34
	s_xor_b32 exec_lo, exec_lo, s35
	s_cbranch_execz .LBB6_6856
.LBB6_7522:                             ;   in Loop: Header=BB6_6496 Depth=4
	v_cmp_ne_u16_e32 vcc_lo, 0, v14
	v_mov_b32_e32 v20, 0
	s_and_not1_b32 s13, s13, exec_lo
	s_and_b32 vcc_lo, vcc_lo, exec_lo
	s_delay_alu instid0(SALU_CYCLE_1)
	s_or_b32 s13, s13, vcc_lo
	s_or_b32 exec_lo, exec_lo, s35
	s_and_saveexec_b32 s34, s13
	s_cbranch_execnz .LBB6_6857
	s_branch .LBB6_6858
.LBB6_7523:                             ;   in Loop: Header=BB6_6496 Depth=4
	s_mov_b32 s13, -1
	s_mov_b32 s36, exec_lo
                                        ; implicit-def: $sgpr34
	v_cmpx_eq_u16_e32 0x80, v14
; %bb.7524:                             ;   in Loop: Header=BB6_6496 Depth=4
	s_mov_b32 s34, 0x7f800001
	s_xor_b32 s13, exec_lo, -1
; %bb.7525:                             ;   in Loop: Header=BB6_6496 Depth=4
	s_or_b32 exec_lo, exec_lo, s36
	s_delay_alu instid0(SALU_CYCLE_1)
	s_and_b32 s13, s13, exec_lo
	s_or_saveexec_b32 s35, s35
	v_mov_b32_e32 v20, s34
	s_xor_b32 exec_lo, exec_lo, s35
	s_cbranch_execz .LBB6_6868
.LBB6_7526:                             ;   in Loop: Header=BB6_6496 Depth=4
	v_cmp_ne_u16_e32 vcc_lo, 0, v14
	v_mov_b32_e32 v20, 0
	s_and_not1_b32 s13, s13, exec_lo
	s_and_b32 vcc_lo, vcc_lo, exec_lo
	s_delay_alu instid0(SALU_CYCLE_1)
	s_or_b32 s13, s13, vcc_lo
	s_or_b32 exec_lo, exec_lo, s35
	s_and_saveexec_b32 s34, s13
	s_cbranch_execnz .LBB6_6869
	s_branch .LBB6_6870
.LBB6_7527:                             ;   in Loop: Header=BB6_6496 Depth=4
	s_mov_b32 s13, -1
	s_mov_b32 s36, exec_lo
                                        ; implicit-def: $sgpr34
	v_cmpx_eq_u16_e32 0x80, v14
; %bb.7528:                             ;   in Loop: Header=BB6_6496 Depth=4
	s_mov_b32 s34, 0x7f800001
	s_xor_b32 s13, exec_lo, -1
; %bb.7529:                             ;   in Loop: Header=BB6_6496 Depth=4
	s_or_b32 exec_lo, exec_lo, s36
	s_delay_alu instid0(SALU_CYCLE_1)
	s_and_b32 s13, s13, exec_lo
	s_or_saveexec_b32 s35, s35
	v_mov_b32_e32 v23, s34
	s_xor_b32 exec_lo, exec_lo, s35
	s_cbranch_execz .LBB6_6880
.LBB6_7530:                             ;   in Loop: Header=BB6_6496 Depth=4
	v_cmp_ne_u16_e32 vcc_lo, 0, v14
	v_mov_b32_e32 v23, 0
	s_and_not1_b32 s13, s13, exec_lo
	s_and_b32 vcc_lo, vcc_lo, exec_lo
	s_delay_alu instid0(SALU_CYCLE_1)
	s_or_b32 s13, s13, vcc_lo
	s_or_b32 exec_lo, exec_lo, s35
	s_and_saveexec_b32 s34, s13
	s_cbranch_execnz .LBB6_6881
	s_branch .LBB6_6882
.LBB6_7531:                             ;   in Loop: Header=BB6_6496 Depth=4
	s_mov_b32 s13, -1
	s_mov_b32 s36, exec_lo
                                        ; implicit-def: $sgpr34
	v_cmpx_eq_u16_e32 0x80, v52
; %bb.7532:                             ;   in Loop: Header=BB6_6496 Depth=4
	s_mov_b32 s34, 0x7f800001
	s_xor_b32 s13, exec_lo, -1
; %bb.7533:                             ;   in Loop: Header=BB6_6496 Depth=4
	s_or_b32 exec_lo, exec_lo, s36
	s_delay_alu instid0(SALU_CYCLE_1)
	s_and_b32 s13, s13, exec_lo
                                        ; implicit-def: $vgpr52
	s_or_saveexec_b32 s35, s35
	v_mov_b32_e32 v49, s34
	s_xor_b32 exec_lo, exec_lo, s35
	s_cbranch_execz .LBB6_6892
.LBB6_7534:                             ;   in Loop: Header=BB6_6496 Depth=4
	v_cmp_ne_u16_e32 vcc_lo, 0, v52
	v_mov_b32_e32 v49, 0
	s_and_not1_b32 s13, s13, exec_lo
	s_and_b32 vcc_lo, vcc_lo, exec_lo
	s_delay_alu instid0(SALU_CYCLE_1)
	s_or_b32 s13, s13, vcc_lo
	s_or_b32 exec_lo, exec_lo, s35
	s_and_saveexec_b32 s34, s13
	s_cbranch_execnz .LBB6_6893
	s_branch .LBB6_6894
.LBB6_7535:                             ;   in Loop: Header=BB6_6496 Depth=4
	s_mov_b32 s13, -1
	s_mov_b32 s36, exec_lo
                                        ; implicit-def: $sgpr34
	v_cmpx_eq_u16_e32 0x80, v52
; %bb.7536:                             ;   in Loop: Header=BB6_6496 Depth=4
	s_mov_b32 s34, 0x7f800001
	s_xor_b32 s13, exec_lo, -1
; %bb.7537:                             ;   in Loop: Header=BB6_6496 Depth=4
	s_or_b32 exec_lo, exec_lo, s36
	s_delay_alu instid0(SALU_CYCLE_1)
	s_and_b32 s13, s13, exec_lo
                                        ; implicit-def: $vgpr52
	s_or_saveexec_b32 s35, s35
	v_mov_b32_e32 v21, s34
	s_xor_b32 exec_lo, exec_lo, s35
	s_cbranch_execz .LBB6_6896
.LBB6_7538:                             ;   in Loop: Header=BB6_6496 Depth=4
	v_cmp_ne_u16_e32 vcc_lo, 0, v52
	v_mov_b32_e32 v21, 0
	s_and_not1_b32 s13, s13, exec_lo
	s_and_b32 vcc_lo, vcc_lo, exec_lo
	s_delay_alu instid0(SALU_CYCLE_1)
	s_or_b32 s13, s13, vcc_lo
	s_or_b32 exec_lo, exec_lo, s35
	s_and_saveexec_b32 s34, s13
	s_cbranch_execnz .LBB6_6897
	s_branch .LBB6_6898
.LBB6_7539:                             ;   in Loop: Header=BB6_6496 Depth=4
	s_mov_b32 s13, -1
	s_mov_b32 s36, exec_lo
                                        ; implicit-def: $sgpr34
	v_cmpx_eq_u16_e32 0x80, v49
; %bb.7540:                             ;   in Loop: Header=BB6_6496 Depth=4
	s_mov_b32 s34, 0x7f800001
	s_xor_b32 s13, exec_lo, -1
; %bb.7541:                             ;   in Loop: Header=BB6_6496 Depth=4
	s_or_b32 exec_lo, exec_lo, s36
	s_delay_alu instid0(SALU_CYCLE_1)
	s_and_b32 s13, s13, exec_lo
                                        ; implicit-def: $vgpr49
	s_or_saveexec_b32 s35, s35
	v_mov_b32_e32 v48, s34
	s_xor_b32 exec_lo, exec_lo, s35
	s_cbranch_execz .LBB6_6908
.LBB6_7542:                             ;   in Loop: Header=BB6_6496 Depth=4
	v_cmp_ne_u16_e32 vcc_lo, 0, v49
	v_mov_b32_e32 v48, 0
	s_and_not1_b32 s13, s13, exec_lo
	s_and_b32 vcc_lo, vcc_lo, exec_lo
	s_delay_alu instid0(SALU_CYCLE_1)
	s_or_b32 s13, s13, vcc_lo
	s_or_b32 exec_lo, exec_lo, s35
	s_and_saveexec_b32 s34, s13
	s_cbranch_execnz .LBB6_6909
	s_branch .LBB6_6910
.LBB6_7543:                             ;   in Loop: Header=BB6_6496 Depth=4
	s_mov_b32 s13, -1
	s_mov_b32 s36, exec_lo
                                        ; implicit-def: $sgpr34
	v_cmpx_eq_u16_e32 0x80, v52
; %bb.7544:                             ;   in Loop: Header=BB6_6496 Depth=4
	s_mov_b32 s34, 0x7f800001
	s_xor_b32 s13, exec_lo, -1
; %bb.7545:                             ;   in Loop: Header=BB6_6496 Depth=4
	s_or_b32 exec_lo, exec_lo, s36
	s_delay_alu instid0(SALU_CYCLE_1)
	s_and_b32 s13, s13, exec_lo
                                        ; implicit-def: $vgpr52
	s_or_saveexec_b32 s35, s35
	v_mov_b32_e32 v49, s34
	s_xor_b32 exec_lo, exec_lo, s35
	s_cbranch_execz .LBB6_6912
.LBB6_7546:                             ;   in Loop: Header=BB6_6496 Depth=4
	v_cmp_ne_u16_e32 vcc_lo, 0, v52
	v_mov_b32_e32 v49, 0
	s_and_not1_b32 s13, s13, exec_lo
	s_and_b32 vcc_lo, vcc_lo, exec_lo
	s_delay_alu instid0(SALU_CYCLE_1)
	s_or_b32 s13, s13, vcc_lo
	s_or_b32 exec_lo, exec_lo, s35
	s_and_saveexec_b32 s34, s13
	s_cbranch_execnz .LBB6_6913
	s_branch .LBB6_6914
.LBB6_7547:                             ;   in Loop: Header=BB6_6496 Depth=4
	s_mov_b32 s13, -1
	s_mov_b32 s36, exec_lo
                                        ; implicit-def: $sgpr34
	v_cmpx_eq_u16_e32 0x80, v48
; %bb.7548:                             ;   in Loop: Header=BB6_6496 Depth=4
	s_mov_b32 s34, 0x7f800001
	s_xor_b32 s13, exec_lo, -1
; %bb.7549:                             ;   in Loop: Header=BB6_6496 Depth=4
	s_or_b32 exec_lo, exec_lo, s36
	s_delay_alu instid0(SALU_CYCLE_1)
	s_and_b32 s13, s13, exec_lo
                                        ; implicit-def: $vgpr48
	s_or_saveexec_b32 s35, s35
	v_mov_b32_e32 v39, s34
	s_xor_b32 exec_lo, exec_lo, s35
	s_cbranch_execz .LBB6_6924
.LBB6_7550:                             ;   in Loop: Header=BB6_6496 Depth=4
	v_cmp_ne_u16_e32 vcc_lo, 0, v48
	v_mov_b32_e32 v39, 0
	s_and_not1_b32 s13, s13, exec_lo
	s_and_b32 vcc_lo, vcc_lo, exec_lo
	s_delay_alu instid0(SALU_CYCLE_1)
	s_or_b32 s13, s13, vcc_lo
	s_or_b32 exec_lo, exec_lo, s35
	s_and_saveexec_b32 s34, s13
	s_cbranch_execnz .LBB6_6925
	s_branch .LBB6_6926
.LBB6_7551:                             ;   in Loop: Header=BB6_6496 Depth=4
	s_mov_b32 s13, -1
	s_mov_b32 s36, exec_lo
                                        ; implicit-def: $sgpr34
	v_cmpx_eq_u16_e32 0x80, v49
; %bb.7552:                             ;   in Loop: Header=BB6_6496 Depth=4
	s_mov_b32 s34, 0x7f800001
	s_xor_b32 s13, exec_lo, -1
; %bb.7553:                             ;   in Loop: Header=BB6_6496 Depth=4
	s_or_b32 exec_lo, exec_lo, s36
	s_delay_alu instid0(SALU_CYCLE_1)
	s_and_b32 s13, s13, exec_lo
                                        ; implicit-def: $vgpr49
	s_or_saveexec_b32 s35, s35
	v_mov_b32_e32 v48, s34
	s_xor_b32 exec_lo, exec_lo, s35
	s_cbranch_execz .LBB6_6928
.LBB6_7554:                             ;   in Loop: Header=BB6_6496 Depth=4
	v_cmp_ne_u16_e32 vcc_lo, 0, v49
	v_mov_b32_e32 v48, 0
	s_and_not1_b32 s13, s13, exec_lo
	s_and_b32 vcc_lo, vcc_lo, exec_lo
	s_delay_alu instid0(SALU_CYCLE_1)
	s_or_b32 s13, s13, vcc_lo
	s_or_b32 exec_lo, exec_lo, s35
	s_and_saveexec_b32 s34, s13
	s_cbranch_execnz .LBB6_6929
	s_branch .LBB6_6930
.LBB6_7555:                             ;   in Loop: Header=BB6_6496 Depth=4
	s_mov_b32 s13, -1
	s_mov_b32 s36, exec_lo
                                        ; implicit-def: $sgpr34
	v_cmpx_eq_u16_e32 0x80, v39
; %bb.7556:                             ;   in Loop: Header=BB6_6496 Depth=4
	s_mov_b32 s34, 0x7f800001
	s_xor_b32 s13, exec_lo, -1
; %bb.7557:                             ;   in Loop: Header=BB6_6496 Depth=4
	s_or_b32 exec_lo, exec_lo, s36
	s_delay_alu instid0(SALU_CYCLE_1)
	s_and_b32 s13, s13, exec_lo
                                        ; implicit-def: $vgpr39
	s_or_saveexec_b32 s35, s35
	v_mov_b32_e32 v38, s34
	s_xor_b32 exec_lo, exec_lo, s35
	s_cbranch_execz .LBB6_6940
.LBB6_7558:                             ;   in Loop: Header=BB6_6496 Depth=4
	v_cmp_ne_u16_e32 vcc_lo, 0, v39
	v_mov_b32_e32 v38, 0
	s_and_not1_b32 s13, s13, exec_lo
	s_and_b32 vcc_lo, vcc_lo, exec_lo
	s_delay_alu instid0(SALU_CYCLE_1)
	s_or_b32 s13, s13, vcc_lo
	s_or_b32 exec_lo, exec_lo, s35
	s_and_saveexec_b32 s34, s13
	s_cbranch_execnz .LBB6_6941
	s_branch .LBB6_6942
.LBB6_7559:                             ;   in Loop: Header=BB6_6496 Depth=4
	s_mov_b32 s13, -1
	s_mov_b32 s36, exec_lo
                                        ; implicit-def: $sgpr34
	v_cmpx_eq_u16_e32 0x80, v48
; %bb.7560:                             ;   in Loop: Header=BB6_6496 Depth=4
	s_mov_b32 s34, 0x7f800001
	s_xor_b32 s13, exec_lo, -1
; %bb.7561:                             ;   in Loop: Header=BB6_6496 Depth=4
	s_or_b32 exec_lo, exec_lo, s36
	s_delay_alu instid0(SALU_CYCLE_1)
	s_and_b32 s13, s13, exec_lo
                                        ; implicit-def: $vgpr48
	s_or_saveexec_b32 s35, s35
	v_mov_b32_e32 v39, s34
	s_xor_b32 exec_lo, exec_lo, s35
	s_cbranch_execz .LBB6_6944
.LBB6_7562:                             ;   in Loop: Header=BB6_6496 Depth=4
	v_cmp_ne_u16_e32 vcc_lo, 0, v48
	v_mov_b32_e32 v39, 0
	s_and_not1_b32 s13, s13, exec_lo
	s_and_b32 vcc_lo, vcc_lo, exec_lo
	s_delay_alu instid0(SALU_CYCLE_1)
	s_or_b32 s13, s13, vcc_lo
	s_or_b32 exec_lo, exec_lo, s35
	s_and_saveexec_b32 s34, s13
	s_cbranch_execnz .LBB6_6945
	s_branch .LBB6_6946
.LBB6_7563:                             ;   in Loop: Header=BB6_6496 Depth=4
	s_mov_b32 s13, -1
	s_mov_b32 s36, exec_lo
                                        ; implicit-def: $sgpr34
	v_cmpx_eq_u16_e32 0x80, v38
; %bb.7564:                             ;   in Loop: Header=BB6_6496 Depth=4
	s_mov_b32 s34, 0x7f800001
	s_xor_b32 s13, exec_lo, -1
; %bb.7565:                             ;   in Loop: Header=BB6_6496 Depth=4
	s_or_b32 exec_lo, exec_lo, s36
	s_delay_alu instid0(SALU_CYCLE_1)
	s_and_b32 s13, s13, exec_lo
                                        ; implicit-def: $vgpr38
	s_or_saveexec_b32 s35, s35
	v_mov_b32_e32 v37, s34
	s_xor_b32 exec_lo, exec_lo, s35
	s_cbranch_execz .LBB6_6956
.LBB6_7566:                             ;   in Loop: Header=BB6_6496 Depth=4
	v_cmp_ne_u16_e32 vcc_lo, 0, v38
	v_mov_b32_e32 v37, 0
	s_and_not1_b32 s13, s13, exec_lo
	s_and_b32 vcc_lo, vcc_lo, exec_lo
	s_delay_alu instid0(SALU_CYCLE_1)
	s_or_b32 s13, s13, vcc_lo
	s_or_b32 exec_lo, exec_lo, s35
	s_and_saveexec_b32 s34, s13
	s_cbranch_execnz .LBB6_6957
	s_branch .LBB6_6958
.LBB6_7567:                             ;   in Loop: Header=BB6_6496 Depth=4
	s_mov_b32 s13, -1
	s_mov_b32 s36, exec_lo
                                        ; implicit-def: $sgpr34
	v_cmpx_eq_u16_e32 0x80, v39
; %bb.7568:                             ;   in Loop: Header=BB6_6496 Depth=4
	s_mov_b32 s34, 0x7f800001
	s_xor_b32 s13, exec_lo, -1
; %bb.7569:                             ;   in Loop: Header=BB6_6496 Depth=4
	s_or_b32 exec_lo, exec_lo, s36
	s_delay_alu instid0(SALU_CYCLE_1)
	s_and_b32 s13, s13, exec_lo
                                        ; implicit-def: $vgpr39
	s_or_saveexec_b32 s35, s35
	v_mov_b32_e32 v38, s34
	s_xor_b32 exec_lo, exec_lo, s35
	s_cbranch_execz .LBB6_6960
.LBB6_7570:                             ;   in Loop: Header=BB6_6496 Depth=4
	v_cmp_ne_u16_e32 vcc_lo, 0, v39
	v_mov_b32_e32 v38, 0
	s_and_not1_b32 s13, s13, exec_lo
	s_and_b32 vcc_lo, vcc_lo, exec_lo
	s_delay_alu instid0(SALU_CYCLE_1)
	s_or_b32 s13, s13, vcc_lo
	s_or_b32 exec_lo, exec_lo, s35
	s_and_saveexec_b32 s34, s13
	s_cbranch_execnz .LBB6_6961
	s_branch .LBB6_6962
.LBB6_7571:                             ;   in Loop: Header=BB6_6496 Depth=4
	s_mov_b32 s13, -1
	s_mov_b32 s36, exec_lo
                                        ; implicit-def: $sgpr34
	v_cmpx_eq_u16_e32 0x80, v37
; %bb.7572:                             ;   in Loop: Header=BB6_6496 Depth=4
	s_mov_b32 s34, 0x7f800001
	s_xor_b32 s13, exec_lo, -1
; %bb.7573:                             ;   in Loop: Header=BB6_6496 Depth=4
	s_or_b32 exec_lo, exec_lo, s36
	s_delay_alu instid0(SALU_CYCLE_1)
	s_and_b32 s13, s13, exec_lo
                                        ; implicit-def: $vgpr37
	s_or_saveexec_b32 s35, s35
	v_mov_b32_e32 v36, s34
	s_xor_b32 exec_lo, exec_lo, s35
	s_cbranch_execz .LBB6_6972
.LBB6_7574:                             ;   in Loop: Header=BB6_6496 Depth=4
	v_cmp_ne_u16_e32 vcc_lo, 0, v37
	v_mov_b32_e32 v36, 0
	s_and_not1_b32 s13, s13, exec_lo
	s_and_b32 vcc_lo, vcc_lo, exec_lo
	s_delay_alu instid0(SALU_CYCLE_1)
	s_or_b32 s13, s13, vcc_lo
	s_or_b32 exec_lo, exec_lo, s35
	s_and_saveexec_b32 s34, s13
	s_cbranch_execnz .LBB6_6973
	s_branch .LBB6_6974
.LBB6_7575:                             ;   in Loop: Header=BB6_6496 Depth=4
	s_mov_b32 s13, -1
	s_mov_b32 s36, exec_lo
                                        ; implicit-def: $sgpr34
	v_cmpx_eq_u16_e32 0x80, v38
; %bb.7576:                             ;   in Loop: Header=BB6_6496 Depth=4
	s_mov_b32 s34, 0x7f800001
	s_xor_b32 s13, exec_lo, -1
; %bb.7577:                             ;   in Loop: Header=BB6_6496 Depth=4
	s_or_b32 exec_lo, exec_lo, s36
	s_delay_alu instid0(SALU_CYCLE_1)
	s_and_b32 s13, s13, exec_lo
                                        ; implicit-def: $vgpr38
	s_or_saveexec_b32 s35, s35
	v_mov_b32_e32 v37, s34
	s_xor_b32 exec_lo, exec_lo, s35
	s_cbranch_execz .LBB6_6976
.LBB6_7578:                             ;   in Loop: Header=BB6_6496 Depth=4
	v_cmp_ne_u16_e32 vcc_lo, 0, v38
	v_mov_b32_e32 v37, 0
	s_and_not1_b32 s13, s13, exec_lo
	s_and_b32 vcc_lo, vcc_lo, exec_lo
	s_delay_alu instid0(SALU_CYCLE_1)
	s_or_b32 s13, s13, vcc_lo
	s_or_b32 exec_lo, exec_lo, s35
	s_and_saveexec_b32 s34, s13
	s_cbranch_execnz .LBB6_6977
	s_branch .LBB6_6978
.LBB6_7579:                             ;   in Loop: Header=BB6_6496 Depth=4
	s_mov_b32 s13, -1
	s_mov_b32 s36, exec_lo
                                        ; implicit-def: $sgpr34
	v_cmpx_eq_u16_e32 0x80, v36
; %bb.7580:                             ;   in Loop: Header=BB6_6496 Depth=4
	s_mov_b32 s34, 0x7f800001
	s_xor_b32 s13, exec_lo, -1
; %bb.7581:                             ;   in Loop: Header=BB6_6496 Depth=4
	s_or_b32 exec_lo, exec_lo, s36
	s_delay_alu instid0(SALU_CYCLE_1)
	s_and_b32 s13, s13, exec_lo
                                        ; implicit-def: $vgpr36
	s_or_saveexec_b32 s35, s35
	v_mov_b32_e32 v27, s34
	s_xor_b32 exec_lo, exec_lo, s35
	s_cbranch_execz .LBB6_6988
.LBB6_7582:                             ;   in Loop: Header=BB6_6496 Depth=4
	v_cmp_ne_u16_e32 vcc_lo, 0, v36
	v_mov_b32_e32 v27, 0
	s_and_not1_b32 s13, s13, exec_lo
	s_and_b32 vcc_lo, vcc_lo, exec_lo
	s_delay_alu instid0(SALU_CYCLE_1)
	s_or_b32 s13, s13, vcc_lo
	s_or_b32 exec_lo, exec_lo, s35
	s_and_saveexec_b32 s34, s13
	s_cbranch_execnz .LBB6_6989
	s_branch .LBB6_6990
.LBB6_7583:                             ;   in Loop: Header=BB6_6496 Depth=4
	s_mov_b32 s13, -1
	s_mov_b32 s36, exec_lo
                                        ; implicit-def: $sgpr34
	v_cmpx_eq_u16_e32 0x80, v37
; %bb.7584:                             ;   in Loop: Header=BB6_6496 Depth=4
	s_mov_b32 s34, 0x7f800001
	s_xor_b32 s13, exec_lo, -1
; %bb.7585:                             ;   in Loop: Header=BB6_6496 Depth=4
	s_or_b32 exec_lo, exec_lo, s36
	s_delay_alu instid0(SALU_CYCLE_1)
	s_and_b32 s13, s13, exec_lo
                                        ; implicit-def: $vgpr37
	s_or_saveexec_b32 s35, s35
	v_mov_b32_e32 v36, s34
	s_xor_b32 exec_lo, exec_lo, s35
	s_cbranch_execz .LBB6_6992
.LBB6_7586:                             ;   in Loop: Header=BB6_6496 Depth=4
	v_cmp_ne_u16_e32 vcc_lo, 0, v37
	v_mov_b32_e32 v36, 0
	s_and_not1_b32 s13, s13, exec_lo
	s_and_b32 vcc_lo, vcc_lo, exec_lo
	s_delay_alu instid0(SALU_CYCLE_1)
	s_or_b32 s13, s13, vcc_lo
	s_or_b32 exec_lo, exec_lo, s35
	s_and_saveexec_b32 s34, s13
	s_cbranch_execnz .LBB6_6993
	s_branch .LBB6_6994
.LBB6_7587:                             ;   in Loop: Header=BB6_6496 Depth=4
	s_mov_b32 s13, -1
	s_mov_b32 s36, exec_lo
                                        ; implicit-def: $sgpr34
	v_cmpx_eq_u16_e32 0x80, v27
; %bb.7588:                             ;   in Loop: Header=BB6_6496 Depth=4
	s_mov_b32 s34, 0x7f800001
	s_xor_b32 s13, exec_lo, -1
; %bb.7589:                             ;   in Loop: Header=BB6_6496 Depth=4
	s_or_b32 exec_lo, exec_lo, s36
	s_delay_alu instid0(SALU_CYCLE_1)
	s_and_b32 s13, s13, exec_lo
                                        ; implicit-def: $vgpr27
	s_or_saveexec_b32 s35, s35
	v_mov_b32_e32 v26, s34
	s_xor_b32 exec_lo, exec_lo, s35
	s_cbranch_execz .LBB6_7004
.LBB6_7590:                             ;   in Loop: Header=BB6_6496 Depth=4
	v_cmp_ne_u16_e32 vcc_lo, 0, v27
	v_mov_b32_e32 v26, 0
	s_and_not1_b32 s13, s13, exec_lo
	s_and_b32 vcc_lo, vcc_lo, exec_lo
	s_delay_alu instid0(SALU_CYCLE_1)
	s_or_b32 s13, s13, vcc_lo
	s_or_b32 exec_lo, exec_lo, s35
	s_and_saveexec_b32 s34, s13
	s_cbranch_execnz .LBB6_7005
	s_branch .LBB6_7006
.LBB6_7591:                             ;   in Loop: Header=BB6_6496 Depth=4
	s_mov_b32 s13, -1
	s_mov_b32 s36, exec_lo
                                        ; implicit-def: $sgpr34
	v_cmpx_eq_u16_e32 0x80, v36
; %bb.7592:                             ;   in Loop: Header=BB6_6496 Depth=4
	s_mov_b32 s34, 0x7f800001
	s_xor_b32 s13, exec_lo, -1
; %bb.7593:                             ;   in Loop: Header=BB6_6496 Depth=4
	s_or_b32 exec_lo, exec_lo, s36
	s_delay_alu instid0(SALU_CYCLE_1)
	s_and_b32 s13, s13, exec_lo
                                        ; implicit-def: $vgpr36
	s_or_saveexec_b32 s35, s35
	v_mov_b32_e32 v27, s34
	s_xor_b32 exec_lo, exec_lo, s35
	s_cbranch_execz .LBB6_7008
.LBB6_7594:                             ;   in Loop: Header=BB6_6496 Depth=4
	v_cmp_ne_u16_e32 vcc_lo, 0, v36
	v_mov_b32_e32 v27, 0
	s_and_not1_b32 s13, s13, exec_lo
	s_and_b32 vcc_lo, vcc_lo, exec_lo
	s_delay_alu instid0(SALU_CYCLE_1)
	s_or_b32 s13, s13, vcc_lo
	s_or_b32 exec_lo, exec_lo, s35
	s_and_saveexec_b32 s34, s13
	s_cbranch_execnz .LBB6_7009
	s_branch .LBB6_7010
.LBB6_7595:                             ;   in Loop: Header=BB6_6496 Depth=4
	s_mov_b32 s13, -1
	s_mov_b32 s36, exec_lo
                                        ; implicit-def: $sgpr34
	v_cmpx_eq_u16_e32 0x80, v27
; %bb.7596:                             ;   in Loop: Header=BB6_6496 Depth=4
	s_mov_b32 s34, 0x7f800001
	s_xor_b32 s13, exec_lo, -1
; %bb.7597:                             ;   in Loop: Header=BB6_6496 Depth=4
	s_or_b32 exec_lo, exec_lo, s36
	s_delay_alu instid0(SALU_CYCLE_1)
	s_and_b32 s13, s13, exec_lo
                                        ; implicit-def: $vgpr27
	s_or_saveexec_b32 s35, s35
	v_mov_b32_e32 v26, s34
	s_xor_b32 exec_lo, exec_lo, s35
	s_cbranch_execz .LBB6_7020
.LBB6_7598:                             ;   in Loop: Header=BB6_6496 Depth=4
	v_cmp_ne_u16_e32 vcc_lo, 0, v27
	v_mov_b32_e32 v26, 0
	s_and_not1_b32 s13, s13, exec_lo
	s_and_b32 vcc_lo, vcc_lo, exec_lo
	s_delay_alu instid0(SALU_CYCLE_1)
	s_or_b32 s13, s13, vcc_lo
	s_or_b32 exec_lo, exec_lo, s35
	s_and_saveexec_b32 s34, s13
	s_cbranch_execnz .LBB6_7021
	s_branch .LBB6_7022
.LBB6_7599:                             ;   in Loop: Header=BB6_6496 Depth=4
	s_mov_b32 s13, -1
	s_mov_b32 s36, exec_lo
                                        ; implicit-def: $sgpr34
	v_cmpx_eq_u16_e32 0x80, v36
; %bb.7600:                             ;   in Loop: Header=BB6_6496 Depth=4
	s_mov_b32 s34, 0x7f800001
	s_xor_b32 s13, exec_lo, -1
; %bb.7601:                             ;   in Loop: Header=BB6_6496 Depth=4
	s_or_b32 exec_lo, exec_lo, s36
	s_delay_alu instid0(SALU_CYCLE_1)
	s_and_b32 s13, s13, exec_lo
                                        ; implicit-def: $vgpr36
	s_or_saveexec_b32 s35, s35
	v_mov_b32_e32 v27, s34
	s_xor_b32 exec_lo, exec_lo, s35
	s_cbranch_execz .LBB6_7024
.LBB6_7602:                             ;   in Loop: Header=BB6_6496 Depth=4
	v_cmp_ne_u16_e32 vcc_lo, 0, v36
	v_mov_b32_e32 v27, 0
	s_and_not1_b32 s13, s13, exec_lo
	s_and_b32 vcc_lo, vcc_lo, exec_lo
	s_delay_alu instid0(SALU_CYCLE_1)
	s_or_b32 s13, s13, vcc_lo
	s_or_b32 exec_lo, exec_lo, s35
	s_and_saveexec_b32 s34, s13
	s_cbranch_execnz .LBB6_7025
	s_branch .LBB6_7026
.LBB6_7603:                             ;   in Loop: Header=BB6_6496 Depth=4
	s_mov_b32 s13, -1
	s_mov_b32 s36, exec_lo
                                        ; implicit-def: $sgpr34
	v_cmpx_eq_u16_e32 0x80, v27
; %bb.7604:                             ;   in Loop: Header=BB6_6496 Depth=4
	s_mov_b32 s34, 0x7f800001
	s_xor_b32 s13, exec_lo, -1
; %bb.7605:                             ;   in Loop: Header=BB6_6496 Depth=4
	s_or_b32 exec_lo, exec_lo, s36
	s_delay_alu instid0(SALU_CYCLE_1)
	s_and_b32 s13, s13, exec_lo
                                        ; implicit-def: $vgpr27
	s_or_saveexec_b32 s35, s35
	v_mov_b32_e32 v26, s34
	s_xor_b32 exec_lo, exec_lo, s35
	s_cbranch_execz .LBB6_7036
.LBB6_7606:                             ;   in Loop: Header=BB6_6496 Depth=4
	v_cmp_ne_u16_e32 vcc_lo, 0, v27
	v_mov_b32_e32 v26, 0
	s_and_not1_b32 s13, s13, exec_lo
	s_and_b32 vcc_lo, vcc_lo, exec_lo
	s_delay_alu instid0(SALU_CYCLE_1)
	s_or_b32 s13, s13, vcc_lo
	s_or_b32 exec_lo, exec_lo, s35
	s_and_saveexec_b32 s34, s13
	s_cbranch_execnz .LBB6_7037
	s_branch .LBB6_7038
.LBB6_7607:                             ;   in Loop: Header=BB6_6496 Depth=4
	s_mov_b32 s13, -1
	s_mov_b32 s36, exec_lo
                                        ; implicit-def: $sgpr34
	v_cmpx_eq_u16_e32 0x80, v36
; %bb.7608:                             ;   in Loop: Header=BB6_6496 Depth=4
	s_mov_b32 s34, 0x7f800001
	s_xor_b32 s13, exec_lo, -1
; %bb.7609:                             ;   in Loop: Header=BB6_6496 Depth=4
	s_or_b32 exec_lo, exec_lo, s36
	s_delay_alu instid0(SALU_CYCLE_1)
	s_and_b32 s13, s13, exec_lo
                                        ; implicit-def: $vgpr36
	s_or_saveexec_b32 s35, s35
	v_mov_b32_e32 v27, s34
	s_xor_b32 exec_lo, exec_lo, s35
	s_cbranch_execz .LBB6_7040
.LBB6_7610:                             ;   in Loop: Header=BB6_6496 Depth=4
	v_cmp_ne_u16_e32 vcc_lo, 0, v36
	v_mov_b32_e32 v27, 0
	s_and_not1_b32 s13, s13, exec_lo
	s_and_b32 vcc_lo, vcc_lo, exec_lo
	s_delay_alu instid0(SALU_CYCLE_1)
	s_or_b32 s13, s13, vcc_lo
	s_or_b32 exec_lo, exec_lo, s35
	s_and_saveexec_b32 s34, s13
	s_cbranch_execnz .LBB6_7041
	s_branch .LBB6_7042
.LBB6_7611:                             ;   in Loop: Header=BB6_6496 Depth=4
	s_mov_b32 s13, -1
	s_mov_b32 s36, exec_lo
                                        ; implicit-def: $sgpr34
	v_cmpx_eq_u16_e32 0x80, v27
; %bb.7612:                             ;   in Loop: Header=BB6_6496 Depth=4
	s_mov_b32 s34, 0x7f800001
	s_xor_b32 s13, exec_lo, -1
; %bb.7613:                             ;   in Loop: Header=BB6_6496 Depth=4
	s_or_b32 exec_lo, exec_lo, s36
	s_delay_alu instid0(SALU_CYCLE_1)
	s_and_b32 s13, s13, exec_lo
                                        ; implicit-def: $vgpr27
	s_or_saveexec_b32 s35, s35
	v_mov_b32_e32 v26, s34
	s_xor_b32 exec_lo, exec_lo, s35
	s_cbranch_execz .LBB6_7052
.LBB6_7614:                             ;   in Loop: Header=BB6_6496 Depth=4
	v_cmp_ne_u16_e32 vcc_lo, 0, v27
	v_mov_b32_e32 v26, 0
	s_and_not1_b32 s13, s13, exec_lo
	s_and_b32 vcc_lo, vcc_lo, exec_lo
	s_delay_alu instid0(SALU_CYCLE_1)
	s_or_b32 s13, s13, vcc_lo
	s_or_b32 exec_lo, exec_lo, s35
	s_and_saveexec_b32 s34, s13
	s_cbranch_execnz .LBB6_7053
	s_branch .LBB6_7054
.LBB6_7615:                             ;   in Loop: Header=BB6_6496 Depth=4
	s_mov_b32 s13, -1
	s_mov_b32 s36, exec_lo
                                        ; implicit-def: $sgpr34
	v_cmpx_eq_u16_e32 0x80, v36
; %bb.7616:                             ;   in Loop: Header=BB6_6496 Depth=4
	s_mov_b32 s34, 0x7f800001
	s_xor_b32 s13, exec_lo, -1
; %bb.7617:                             ;   in Loop: Header=BB6_6496 Depth=4
	s_or_b32 exec_lo, exec_lo, s36
	s_delay_alu instid0(SALU_CYCLE_1)
	s_and_b32 s13, s13, exec_lo
                                        ; implicit-def: $vgpr36
	s_or_saveexec_b32 s35, s35
	v_mov_b32_e32 v27, s34
	s_xor_b32 exec_lo, exec_lo, s35
	s_cbranch_execz .LBB6_7056
.LBB6_7618:                             ;   in Loop: Header=BB6_6496 Depth=4
	v_cmp_ne_u16_e32 vcc_lo, 0, v36
	v_mov_b32_e32 v27, 0
	s_and_not1_b32 s13, s13, exec_lo
	s_and_b32 vcc_lo, vcc_lo, exec_lo
	s_delay_alu instid0(SALU_CYCLE_1)
	s_or_b32 s13, s13, vcc_lo
	s_or_b32 exec_lo, exec_lo, s35
	s_and_saveexec_b32 s34, s13
	s_cbranch_execnz .LBB6_7057
	s_branch .LBB6_7058
.LBB6_7619:                             ;   in Loop: Header=BB6_6496 Depth=4
	s_mov_b32 s13, -1
	s_mov_b32 s36, exec_lo
                                        ; implicit-def: $sgpr34
	v_cmpx_eq_u16_e32 0x80, v27
; %bb.7620:                             ;   in Loop: Header=BB6_6496 Depth=4
	s_mov_b32 s34, 0x7f800001
	s_xor_b32 s13, exec_lo, -1
; %bb.7621:                             ;   in Loop: Header=BB6_6496 Depth=4
	s_or_b32 exec_lo, exec_lo, s36
	s_delay_alu instid0(SALU_CYCLE_1)
	s_and_b32 s13, s13, exec_lo
                                        ; implicit-def: $vgpr27
	s_or_saveexec_b32 s35, s35
	v_mov_b32_e32 v26, s34
	s_xor_b32 exec_lo, exec_lo, s35
	s_cbranch_execz .LBB6_7068
.LBB6_7622:                             ;   in Loop: Header=BB6_6496 Depth=4
	v_cmp_ne_u16_e32 vcc_lo, 0, v27
	v_mov_b32_e32 v26, 0
	s_and_not1_b32 s13, s13, exec_lo
	s_and_b32 vcc_lo, vcc_lo, exec_lo
	s_delay_alu instid0(SALU_CYCLE_1)
	s_or_b32 s13, s13, vcc_lo
	s_or_b32 exec_lo, exec_lo, s35
	s_and_saveexec_b32 s34, s13
	s_cbranch_execnz .LBB6_7069
	s_branch .LBB6_7070
.LBB6_7623:                             ;   in Loop: Header=BB6_6496 Depth=4
	s_mov_b32 s13, -1
	s_mov_b32 s36, exec_lo
                                        ; implicit-def: $sgpr34
	v_cmpx_eq_u16_e32 0x80, v36
; %bb.7624:                             ;   in Loop: Header=BB6_6496 Depth=4
	s_mov_b32 s34, 0x7f800001
	s_xor_b32 s13, exec_lo, -1
; %bb.7625:                             ;   in Loop: Header=BB6_6496 Depth=4
	s_or_b32 exec_lo, exec_lo, s36
	s_delay_alu instid0(SALU_CYCLE_1)
	s_and_b32 s13, s13, exec_lo
                                        ; implicit-def: $vgpr36
	s_or_saveexec_b32 s35, s35
	v_mov_b32_e32 v27, s34
	s_xor_b32 exec_lo, exec_lo, s35
	s_cbranch_execz .LBB6_7072
.LBB6_7626:                             ;   in Loop: Header=BB6_6496 Depth=4
	v_cmp_ne_u16_e32 vcc_lo, 0, v36
	v_mov_b32_e32 v27, 0
	s_and_not1_b32 s13, s13, exec_lo
	s_and_b32 vcc_lo, vcc_lo, exec_lo
	s_delay_alu instid0(SALU_CYCLE_1)
	s_or_b32 s13, s13, vcc_lo
	s_or_b32 exec_lo, exec_lo, s35
	s_and_saveexec_b32 s34, s13
	s_cbranch_execnz .LBB6_7073
	s_branch .LBB6_7074
.LBB6_7627:                             ;   in Loop: Header=BB6_6496 Depth=4
	s_mov_b32 s13, -1
	s_mov_b32 s36, exec_lo
                                        ; implicit-def: $sgpr34
	v_cmpx_eq_u16_e32 0x80, v27
; %bb.7628:                             ;   in Loop: Header=BB6_6496 Depth=4
	s_mov_b32 s34, 0x7f800001
	s_xor_b32 s13, exec_lo, -1
; %bb.7629:                             ;   in Loop: Header=BB6_6496 Depth=4
	s_or_b32 exec_lo, exec_lo, s36
	s_delay_alu instid0(SALU_CYCLE_1)
	s_and_b32 s13, s13, exec_lo
                                        ; implicit-def: $vgpr27
	s_or_saveexec_b32 s35, s35
	v_mov_b32_e32 v26, s34
	s_xor_b32 exec_lo, exec_lo, s35
	s_cbranch_execz .LBB6_7084
.LBB6_7630:                             ;   in Loop: Header=BB6_6496 Depth=4
	v_cmp_ne_u16_e32 vcc_lo, 0, v27
	v_mov_b32_e32 v26, 0
	s_and_not1_b32 s13, s13, exec_lo
	s_and_b32 vcc_lo, vcc_lo, exec_lo
	s_delay_alu instid0(SALU_CYCLE_1)
	s_or_b32 s13, s13, vcc_lo
	s_or_b32 exec_lo, exec_lo, s35
	s_and_saveexec_b32 s34, s13
	s_cbranch_execnz .LBB6_7085
	s_branch .LBB6_7086
.LBB6_7631:                             ;   in Loop: Header=BB6_6496 Depth=4
	s_mov_b32 s13, -1
	s_mov_b32 s36, exec_lo
                                        ; implicit-def: $sgpr34
	v_cmpx_eq_u16_e32 0x80, v36
; %bb.7632:                             ;   in Loop: Header=BB6_6496 Depth=4
	s_mov_b32 s34, 0x7f800001
	s_xor_b32 s13, exec_lo, -1
; %bb.7633:                             ;   in Loop: Header=BB6_6496 Depth=4
	s_or_b32 exec_lo, exec_lo, s36
	s_delay_alu instid0(SALU_CYCLE_1)
	s_and_b32 s13, s13, exec_lo
                                        ; implicit-def: $vgpr36
	s_or_saveexec_b32 s35, s35
	v_mov_b32_e32 v27, s34
	s_xor_b32 exec_lo, exec_lo, s35
	s_cbranch_execz .LBB6_7088
.LBB6_7634:                             ;   in Loop: Header=BB6_6496 Depth=4
	v_cmp_ne_u16_e32 vcc_lo, 0, v36
	v_mov_b32_e32 v27, 0
	s_and_not1_b32 s13, s13, exec_lo
	s_and_b32 vcc_lo, vcc_lo, exec_lo
	s_delay_alu instid0(SALU_CYCLE_1)
	s_or_b32 s13, s13, vcc_lo
	s_or_b32 exec_lo, exec_lo, s35
	s_and_saveexec_b32 s34, s13
	s_cbranch_execnz .LBB6_7089
	s_branch .LBB6_7090
.LBB6_7635:                             ;   in Loop: Header=BB6_6496 Depth=4
	s_mov_b32 s13, -1
	s_mov_b32 s36, exec_lo
                                        ; implicit-def: $sgpr34
	v_cmpx_eq_u16_e32 0x80, v27
; %bb.7636:                             ;   in Loop: Header=BB6_6496 Depth=4
	s_mov_b32 s34, 0x7f800001
	s_xor_b32 s13, exec_lo, -1
; %bb.7637:                             ;   in Loop: Header=BB6_6496 Depth=4
	s_or_b32 exec_lo, exec_lo, s36
	s_delay_alu instid0(SALU_CYCLE_1)
	s_and_b32 s13, s13, exec_lo
                                        ; implicit-def: $vgpr27
	s_or_saveexec_b32 s35, s35
	v_mov_b32_e32 v26, s34
	s_xor_b32 exec_lo, exec_lo, s35
	s_cbranch_execz .LBB6_7100
.LBB6_7638:                             ;   in Loop: Header=BB6_6496 Depth=4
	v_cmp_ne_u16_e32 vcc_lo, 0, v27
	v_mov_b32_e32 v26, 0
	s_and_not1_b32 s13, s13, exec_lo
	s_and_b32 vcc_lo, vcc_lo, exec_lo
	s_delay_alu instid0(SALU_CYCLE_1)
	s_or_b32 s13, s13, vcc_lo
	s_or_b32 exec_lo, exec_lo, s35
	s_and_saveexec_b32 s34, s13
	s_cbranch_execnz .LBB6_7101
	s_branch .LBB6_7102
.LBB6_7639:                             ;   in Loop: Header=BB6_6496 Depth=4
	s_mov_b32 s13, -1
	s_mov_b32 s36, exec_lo
                                        ; implicit-def: $sgpr34
	v_cmpx_eq_u16_e32 0x80, v36
; %bb.7640:                             ;   in Loop: Header=BB6_6496 Depth=4
	s_mov_b32 s34, 0x7f800001
	s_xor_b32 s13, exec_lo, -1
; %bb.7641:                             ;   in Loop: Header=BB6_6496 Depth=4
	s_or_b32 exec_lo, exec_lo, s36
	s_delay_alu instid0(SALU_CYCLE_1)
	s_and_b32 s13, s13, exec_lo
                                        ; implicit-def: $vgpr36
	s_or_saveexec_b32 s35, s35
	v_mov_b32_e32 v27, s34
	s_xor_b32 exec_lo, exec_lo, s35
	s_cbranch_execz .LBB6_7104
.LBB6_7642:                             ;   in Loop: Header=BB6_6496 Depth=4
	v_cmp_ne_u16_e32 vcc_lo, 0, v36
	v_mov_b32_e32 v27, 0
	s_and_not1_b32 s13, s13, exec_lo
	s_and_b32 vcc_lo, vcc_lo, exec_lo
	s_delay_alu instid0(SALU_CYCLE_1)
	s_or_b32 s13, s13, vcc_lo
	s_or_b32 exec_lo, exec_lo, s35
	s_and_saveexec_b32 s34, s13
	s_cbranch_execnz .LBB6_7105
	s_branch .LBB6_7106
.LBB6_7643:                             ;   in Loop: Header=BB6_6496 Depth=4
	s_mov_b32 s13, -1
	s_mov_b32 s36, exec_lo
                                        ; implicit-def: $sgpr34
	v_cmpx_eq_u16_e32 0x80, v27
; %bb.7644:                             ;   in Loop: Header=BB6_6496 Depth=4
	s_mov_b32 s34, 0x7f800001
	s_xor_b32 s13, exec_lo, -1
; %bb.7645:                             ;   in Loop: Header=BB6_6496 Depth=4
	s_or_b32 exec_lo, exec_lo, s36
	s_delay_alu instid0(SALU_CYCLE_1)
	s_and_b32 s13, s13, exec_lo
                                        ; implicit-def: $vgpr27
	s_or_saveexec_b32 s35, s35
	v_mov_b32_e32 v26, s34
	s_xor_b32 exec_lo, exec_lo, s35
	s_cbranch_execz .LBB6_7116
.LBB6_7646:                             ;   in Loop: Header=BB6_6496 Depth=4
	v_cmp_ne_u16_e32 vcc_lo, 0, v27
	v_mov_b32_e32 v26, 0
	s_and_not1_b32 s13, s13, exec_lo
	s_and_b32 vcc_lo, vcc_lo, exec_lo
	s_delay_alu instid0(SALU_CYCLE_1)
	s_or_b32 s13, s13, vcc_lo
	s_or_b32 exec_lo, exec_lo, s35
	s_and_saveexec_b32 s34, s13
	s_cbranch_execnz .LBB6_7117
	s_branch .LBB6_7118
.LBB6_7647:                             ;   in Loop: Header=BB6_6496 Depth=4
	s_mov_b32 s13, -1
	s_mov_b32 s36, exec_lo
                                        ; implicit-def: $sgpr34
	v_cmpx_eq_u16_e32 0x80, v36
; %bb.7648:                             ;   in Loop: Header=BB6_6496 Depth=4
	s_mov_b32 s34, 0x7f800001
	s_xor_b32 s13, exec_lo, -1
; %bb.7649:                             ;   in Loop: Header=BB6_6496 Depth=4
	s_or_b32 exec_lo, exec_lo, s36
	s_delay_alu instid0(SALU_CYCLE_1)
	s_and_b32 s13, s13, exec_lo
                                        ; implicit-def: $vgpr36
	s_or_saveexec_b32 s35, s35
	v_mov_b32_e32 v27, s34
	s_xor_b32 exec_lo, exec_lo, s35
	s_cbranch_execz .LBB6_7120
.LBB6_7650:                             ;   in Loop: Header=BB6_6496 Depth=4
	v_cmp_ne_u16_e32 vcc_lo, 0, v36
	v_mov_b32_e32 v27, 0
	s_and_not1_b32 s13, s13, exec_lo
	s_and_b32 vcc_lo, vcc_lo, exec_lo
	s_delay_alu instid0(SALU_CYCLE_1)
	s_or_b32 s13, s13, vcc_lo
	s_or_b32 exec_lo, exec_lo, s35
	s_and_saveexec_b32 s34, s13
	s_cbranch_execnz .LBB6_7121
	s_branch .LBB6_7122
.LBB6_7651:                             ;   in Loop: Header=BB6_6496 Depth=4
	s_mov_b32 s13, -1
	s_mov_b32 s36, exec_lo
                                        ; implicit-def: $sgpr34
	v_cmpx_eq_u16_e32 0x80, v27
; %bb.7652:                             ;   in Loop: Header=BB6_6496 Depth=4
	s_mov_b32 s34, 0x7f800001
	s_xor_b32 s13, exec_lo, -1
; %bb.7653:                             ;   in Loop: Header=BB6_6496 Depth=4
	s_or_b32 exec_lo, exec_lo, s36
	s_delay_alu instid0(SALU_CYCLE_1)
	s_and_b32 s13, s13, exec_lo
                                        ; implicit-def: $vgpr27
	s_or_saveexec_b32 s35, s35
	v_mov_b32_e32 v26, s34
	s_xor_b32 exec_lo, exec_lo, s35
	s_cbranch_execz .LBB6_7132
.LBB6_7654:                             ;   in Loop: Header=BB6_6496 Depth=4
	v_cmp_ne_u16_e32 vcc_lo, 0, v27
	v_mov_b32_e32 v26, 0
	s_and_not1_b32 s13, s13, exec_lo
	s_and_b32 vcc_lo, vcc_lo, exec_lo
	s_delay_alu instid0(SALU_CYCLE_1)
	s_or_b32 s13, s13, vcc_lo
	s_or_b32 exec_lo, exec_lo, s35
	s_and_saveexec_b32 s34, s13
	s_cbranch_execnz .LBB6_7133
	s_branch .LBB6_7134
.LBB6_7655:                             ;   in Loop: Header=BB6_6496 Depth=4
	s_mov_b32 s13, -1
	s_mov_b32 s36, exec_lo
                                        ; implicit-def: $sgpr34
	v_cmpx_eq_u16_e32 0x80, v36
; %bb.7656:                             ;   in Loop: Header=BB6_6496 Depth=4
	s_mov_b32 s34, 0x7f800001
	s_xor_b32 s13, exec_lo, -1
; %bb.7657:                             ;   in Loop: Header=BB6_6496 Depth=4
	s_or_b32 exec_lo, exec_lo, s36
	s_delay_alu instid0(SALU_CYCLE_1)
	s_and_b32 s13, s13, exec_lo
                                        ; implicit-def: $vgpr36
	s_or_saveexec_b32 s35, s35
	v_mov_b32_e32 v27, s34
	s_xor_b32 exec_lo, exec_lo, s35
	s_cbranch_execz .LBB6_7136
.LBB6_7658:                             ;   in Loop: Header=BB6_6496 Depth=4
	v_cmp_ne_u16_e32 vcc_lo, 0, v36
	v_mov_b32_e32 v27, 0
	s_and_not1_b32 s13, s13, exec_lo
	s_and_b32 vcc_lo, vcc_lo, exec_lo
	s_delay_alu instid0(SALU_CYCLE_1)
	s_or_b32 s13, s13, vcc_lo
	s_or_b32 exec_lo, exec_lo, s35
	s_and_saveexec_b32 s34, s13
	s_cbranch_execnz .LBB6_7137
	s_branch .LBB6_7138
.LBB6_7659:                             ;   in Loop: Header=BB6_6496 Depth=4
	s_mov_b32 s13, -1
	s_mov_b32 s36, exec_lo
                                        ; implicit-def: $sgpr34
	v_cmpx_eq_u16_e32 0x80, v27
; %bb.7660:                             ;   in Loop: Header=BB6_6496 Depth=4
	s_mov_b32 s34, 0x7f800001
	s_xor_b32 s13, exec_lo, -1
; %bb.7661:                             ;   in Loop: Header=BB6_6496 Depth=4
	s_or_b32 exec_lo, exec_lo, s36
	s_delay_alu instid0(SALU_CYCLE_1)
	s_and_b32 s13, s13, exec_lo
                                        ; implicit-def: $vgpr27
	s_or_saveexec_b32 s35, s35
	v_mov_b32_e32 v26, s34
	s_xor_b32 exec_lo, exec_lo, s35
	s_cbranch_execz .LBB6_7148
.LBB6_7662:                             ;   in Loop: Header=BB6_6496 Depth=4
	v_cmp_ne_u16_e32 vcc_lo, 0, v27
	v_mov_b32_e32 v26, 0
	s_and_not1_b32 s13, s13, exec_lo
	s_and_b32 vcc_lo, vcc_lo, exec_lo
	s_delay_alu instid0(SALU_CYCLE_1)
	s_or_b32 s13, s13, vcc_lo
	s_or_b32 exec_lo, exec_lo, s35
	s_and_saveexec_b32 s34, s13
	s_cbranch_execnz .LBB6_7149
	s_branch .LBB6_7150
.LBB6_7663:                             ;   in Loop: Header=BB6_6496 Depth=4
	s_mov_b32 s13, -1
	s_mov_b32 s36, exec_lo
                                        ; implicit-def: $sgpr34
	v_cmpx_eq_u16_e32 0x80, v36
; %bb.7664:                             ;   in Loop: Header=BB6_6496 Depth=4
	s_mov_b32 s34, 0x7f800001
	s_xor_b32 s13, exec_lo, -1
; %bb.7665:                             ;   in Loop: Header=BB6_6496 Depth=4
	s_or_b32 exec_lo, exec_lo, s36
	s_delay_alu instid0(SALU_CYCLE_1)
	s_and_b32 s13, s13, exec_lo
                                        ; implicit-def: $vgpr36
	s_or_saveexec_b32 s35, s35
	v_mov_b32_e32 v27, s34
	s_xor_b32 exec_lo, exec_lo, s35
	s_cbranch_execz .LBB6_7152
.LBB6_7666:                             ;   in Loop: Header=BB6_6496 Depth=4
	v_cmp_ne_u16_e32 vcc_lo, 0, v36
	v_mov_b32_e32 v27, 0
	s_and_not1_b32 s13, s13, exec_lo
	s_and_b32 vcc_lo, vcc_lo, exec_lo
	s_delay_alu instid0(SALU_CYCLE_1)
	s_or_b32 s13, s13, vcc_lo
	s_or_b32 exec_lo, exec_lo, s35
	s_and_saveexec_b32 s34, s13
	s_cbranch_execnz .LBB6_7153
	s_branch .LBB6_7154
.LBB6_7667:                             ;   in Loop: Header=BB6_6496 Depth=4
	s_mov_b32 s13, -1
	s_mov_b32 s36, exec_lo
                                        ; implicit-def: $sgpr34
	v_cmpx_eq_u16_e32 0x80, v27
; %bb.7668:                             ;   in Loop: Header=BB6_6496 Depth=4
	s_mov_b32 s34, 0x7f800001
	s_xor_b32 s13, exec_lo, -1
; %bb.7669:                             ;   in Loop: Header=BB6_6496 Depth=4
	s_or_b32 exec_lo, exec_lo, s36
	s_delay_alu instid0(SALU_CYCLE_1)
	s_and_b32 s13, s13, exec_lo
                                        ; implicit-def: $vgpr27
	s_or_saveexec_b32 s35, s35
	v_mov_b32_e32 v26, s34
	s_xor_b32 exec_lo, exec_lo, s35
	s_cbranch_execz .LBB6_7164
.LBB6_7670:                             ;   in Loop: Header=BB6_6496 Depth=4
	v_cmp_ne_u16_e32 vcc_lo, 0, v27
	v_mov_b32_e32 v26, 0
	s_and_not1_b32 s13, s13, exec_lo
	s_and_b32 vcc_lo, vcc_lo, exec_lo
	s_delay_alu instid0(SALU_CYCLE_1)
	s_or_b32 s13, s13, vcc_lo
	s_or_b32 exec_lo, exec_lo, s35
	s_and_saveexec_b32 s34, s13
	s_cbranch_execnz .LBB6_7165
	s_branch .LBB6_7166
.LBB6_7671:                             ;   in Loop: Header=BB6_6496 Depth=4
	s_mov_b32 s13, -1
	s_mov_b32 s36, exec_lo
                                        ; implicit-def: $sgpr34
	v_cmpx_eq_u16_e32 0x80, v36
; %bb.7672:                             ;   in Loop: Header=BB6_6496 Depth=4
	s_mov_b32 s34, 0x7f800001
	s_xor_b32 s13, exec_lo, -1
; %bb.7673:                             ;   in Loop: Header=BB6_6496 Depth=4
	s_or_b32 exec_lo, exec_lo, s36
	s_delay_alu instid0(SALU_CYCLE_1)
	s_and_b32 s13, s13, exec_lo
                                        ; implicit-def: $vgpr36
	s_or_saveexec_b32 s35, s35
	v_mov_b32_e32 v27, s34
	s_xor_b32 exec_lo, exec_lo, s35
	s_cbranch_execz .LBB6_7168
.LBB6_7674:                             ;   in Loop: Header=BB6_6496 Depth=4
	v_cmp_ne_u16_e32 vcc_lo, 0, v36
	v_mov_b32_e32 v27, 0
	s_and_not1_b32 s13, s13, exec_lo
	s_and_b32 vcc_lo, vcc_lo, exec_lo
	s_delay_alu instid0(SALU_CYCLE_1)
	s_or_b32 s13, s13, vcc_lo
	s_or_b32 exec_lo, exec_lo, s35
	s_and_saveexec_b32 s34, s13
	s_cbranch_execnz .LBB6_7169
	s_branch .LBB6_7170
.LBB6_7675:                             ;   in Loop: Header=BB6_6496 Depth=4
	s_mov_b32 s13, -1
	s_mov_b32 s36, exec_lo
                                        ; implicit-def: $sgpr34
	v_cmpx_eq_u16_e32 0x80, v27
; %bb.7676:                             ;   in Loop: Header=BB6_6496 Depth=4
	s_mov_b32 s34, 0x7f800001
	s_xor_b32 s13, exec_lo, -1
; %bb.7677:                             ;   in Loop: Header=BB6_6496 Depth=4
	s_or_b32 exec_lo, exec_lo, s36
	s_delay_alu instid0(SALU_CYCLE_1)
	s_and_b32 s13, s13, exec_lo
                                        ; implicit-def: $vgpr27
	s_or_saveexec_b32 s35, s35
	v_mov_b32_e32 v26, s34
	s_xor_b32 exec_lo, exec_lo, s35
	s_cbranch_execz .LBB6_7180
.LBB6_7678:                             ;   in Loop: Header=BB6_6496 Depth=4
	v_cmp_ne_u16_e32 vcc_lo, 0, v27
	v_mov_b32_e32 v26, 0
	s_and_not1_b32 s13, s13, exec_lo
	s_and_b32 vcc_lo, vcc_lo, exec_lo
	s_delay_alu instid0(SALU_CYCLE_1)
	s_or_b32 s13, s13, vcc_lo
	s_or_b32 exec_lo, exec_lo, s35
	s_and_saveexec_b32 s34, s13
	s_cbranch_execnz .LBB6_7181
	s_branch .LBB6_7182
.LBB6_7679:                             ;   in Loop: Header=BB6_6496 Depth=4
	s_mov_b32 s13, -1
	s_mov_b32 s36, exec_lo
                                        ; implicit-def: $sgpr34
	v_cmpx_eq_u16_e32 0x80, v36
; %bb.7680:                             ;   in Loop: Header=BB6_6496 Depth=4
	s_mov_b32 s34, 0x7f800001
	s_xor_b32 s13, exec_lo, -1
; %bb.7681:                             ;   in Loop: Header=BB6_6496 Depth=4
	s_or_b32 exec_lo, exec_lo, s36
	s_delay_alu instid0(SALU_CYCLE_1)
	s_and_b32 s13, s13, exec_lo
                                        ; implicit-def: $vgpr36
	s_or_saveexec_b32 s35, s35
	v_mov_b32_e32 v27, s34
	s_xor_b32 exec_lo, exec_lo, s35
	s_cbranch_execz .LBB6_7184
.LBB6_7682:                             ;   in Loop: Header=BB6_6496 Depth=4
	v_cmp_ne_u16_e32 vcc_lo, 0, v36
	v_mov_b32_e32 v27, 0
	s_and_not1_b32 s13, s13, exec_lo
	s_and_b32 vcc_lo, vcc_lo, exec_lo
	s_delay_alu instid0(SALU_CYCLE_1)
	s_or_b32 s13, s13, vcc_lo
	s_or_b32 exec_lo, exec_lo, s35
	s_and_saveexec_b32 s34, s13
	s_cbranch_execnz .LBB6_7185
	s_branch .LBB6_7186
.LBB6_7683:                             ;   in Loop: Header=BB6_6496 Depth=4
	s_mov_b32 s13, -1
	s_mov_b32 s36, exec_lo
                                        ; implicit-def: $sgpr34
	v_cmpx_eq_u16_e32 0x80, v27
; %bb.7684:                             ;   in Loop: Header=BB6_6496 Depth=4
	s_mov_b32 s34, 0x7f800001
	s_xor_b32 s13, exec_lo, -1
; %bb.7685:                             ;   in Loop: Header=BB6_6496 Depth=4
	s_or_b32 exec_lo, exec_lo, s36
	s_delay_alu instid0(SALU_CYCLE_1)
	s_and_b32 s13, s13, exec_lo
                                        ; implicit-def: $vgpr27
	s_or_saveexec_b32 s35, s35
	v_mov_b32_e32 v26, s34
	s_xor_b32 exec_lo, exec_lo, s35
	s_cbranch_execz .LBB6_7196
.LBB6_7686:                             ;   in Loop: Header=BB6_6496 Depth=4
	v_cmp_ne_u16_e32 vcc_lo, 0, v27
	v_mov_b32_e32 v26, 0
	s_and_not1_b32 s13, s13, exec_lo
	s_and_b32 vcc_lo, vcc_lo, exec_lo
	s_delay_alu instid0(SALU_CYCLE_1)
	s_or_b32 s13, s13, vcc_lo
	s_or_b32 exec_lo, exec_lo, s35
	s_and_saveexec_b32 s34, s13
	s_cbranch_execnz .LBB6_7197
	s_branch .LBB6_7198
.LBB6_7687:                             ;   in Loop: Header=BB6_6496 Depth=4
	s_mov_b32 s13, -1
	s_mov_b32 s36, exec_lo
                                        ; implicit-def: $sgpr34
	v_cmpx_eq_u16_e32 0x80, v36
; %bb.7688:                             ;   in Loop: Header=BB6_6496 Depth=4
	s_mov_b32 s34, 0x7f800001
	s_xor_b32 s13, exec_lo, -1
; %bb.7689:                             ;   in Loop: Header=BB6_6496 Depth=4
	s_or_b32 exec_lo, exec_lo, s36
	s_delay_alu instid0(SALU_CYCLE_1)
	s_and_b32 s13, s13, exec_lo
                                        ; implicit-def: $vgpr36
	s_or_saveexec_b32 s35, s35
	v_mov_b32_e32 v27, s34
	s_xor_b32 exec_lo, exec_lo, s35
	s_cbranch_execz .LBB6_7200
.LBB6_7690:                             ;   in Loop: Header=BB6_6496 Depth=4
	v_cmp_ne_u16_e32 vcc_lo, 0, v36
	v_mov_b32_e32 v27, 0
	s_and_not1_b32 s13, s13, exec_lo
	s_and_b32 vcc_lo, vcc_lo, exec_lo
	s_delay_alu instid0(SALU_CYCLE_1)
	s_or_b32 s13, s13, vcc_lo
	s_or_b32 exec_lo, exec_lo, s35
	s_and_saveexec_b32 s34, s13
	s_cbranch_execnz .LBB6_7201
	s_branch .LBB6_7202
.LBB6_7691:                             ;   in Loop: Header=BB6_6496 Depth=4
	s_mov_b32 s13, -1
	s_mov_b32 s36, exec_lo
                                        ; implicit-def: $sgpr34
	v_cmpx_eq_u16_e32 0x80, v27
; %bb.7692:                             ;   in Loop: Header=BB6_6496 Depth=4
	s_mov_b32 s34, 0x7f800001
	s_xor_b32 s13, exec_lo, -1
; %bb.7693:                             ;   in Loop: Header=BB6_6496 Depth=4
	s_or_b32 exec_lo, exec_lo, s36
	s_delay_alu instid0(SALU_CYCLE_1)
	s_and_b32 s13, s13, exec_lo
                                        ; implicit-def: $vgpr27
	s_or_saveexec_b32 s35, s35
	v_mov_b32_e32 v26, s34
	s_xor_b32 exec_lo, exec_lo, s35
	s_cbranch_execz .LBB6_7212
.LBB6_7694:                             ;   in Loop: Header=BB6_6496 Depth=4
	v_cmp_ne_u16_e32 vcc_lo, 0, v27
	v_mov_b32_e32 v26, 0
	s_and_not1_b32 s13, s13, exec_lo
	s_and_b32 vcc_lo, vcc_lo, exec_lo
	s_delay_alu instid0(SALU_CYCLE_1)
	s_or_b32 s13, s13, vcc_lo
	s_or_b32 exec_lo, exec_lo, s35
	s_and_saveexec_b32 s34, s13
	s_cbranch_execnz .LBB6_7213
	s_branch .LBB6_7214
.LBB6_7695:                             ;   in Loop: Header=BB6_6496 Depth=4
	s_mov_b32 s13, -1
	s_mov_b32 s36, exec_lo
                                        ; implicit-def: $sgpr34
	v_cmpx_eq_u16_e32 0x80, v36
; %bb.7696:                             ;   in Loop: Header=BB6_6496 Depth=4
	s_mov_b32 s34, 0x7f800001
	s_xor_b32 s13, exec_lo, -1
; %bb.7697:                             ;   in Loop: Header=BB6_6496 Depth=4
	s_or_b32 exec_lo, exec_lo, s36
	s_delay_alu instid0(SALU_CYCLE_1)
	s_and_b32 s13, s13, exec_lo
                                        ; implicit-def: $vgpr36
	s_or_saveexec_b32 s35, s35
	v_mov_b32_e32 v27, s34
	s_xor_b32 exec_lo, exec_lo, s35
	s_cbranch_execz .LBB6_7216
.LBB6_7698:                             ;   in Loop: Header=BB6_6496 Depth=4
	v_cmp_ne_u16_e32 vcc_lo, 0, v36
	v_mov_b32_e32 v27, 0
	s_and_not1_b32 s13, s13, exec_lo
	s_and_b32 vcc_lo, vcc_lo, exec_lo
	s_delay_alu instid0(SALU_CYCLE_1)
	s_or_b32 s13, s13, vcc_lo
	s_or_b32 exec_lo, exec_lo, s35
	s_and_saveexec_b32 s34, s13
	s_cbranch_execnz .LBB6_7217
	s_branch .LBB6_7218
.LBB6_7699:                             ;   in Loop: Header=BB6_6496 Depth=4
	s_mov_b32 s13, -1
	s_mov_b32 s36, exec_lo
                                        ; implicit-def: $sgpr34
	v_cmpx_eq_u16_e32 0x80, v27
; %bb.7700:                             ;   in Loop: Header=BB6_6496 Depth=4
	s_mov_b32 s34, 0x7f800001
	s_xor_b32 s13, exec_lo, -1
; %bb.7701:                             ;   in Loop: Header=BB6_6496 Depth=4
	s_or_b32 exec_lo, exec_lo, s36
	s_delay_alu instid0(SALU_CYCLE_1)
	s_and_b32 s13, s13, exec_lo
                                        ; implicit-def: $vgpr27
	s_or_saveexec_b32 s35, s35
	v_mov_b32_e32 v26, s34
	s_xor_b32 exec_lo, exec_lo, s35
	s_cbranch_execz .LBB6_7228
.LBB6_7702:                             ;   in Loop: Header=BB6_6496 Depth=4
	v_cmp_ne_u16_e32 vcc_lo, 0, v27
	v_mov_b32_e32 v26, 0
	s_and_not1_b32 s13, s13, exec_lo
	s_and_b32 vcc_lo, vcc_lo, exec_lo
	s_delay_alu instid0(SALU_CYCLE_1)
	s_or_b32 s13, s13, vcc_lo
	s_or_b32 exec_lo, exec_lo, s35
	s_and_saveexec_b32 s34, s13
	s_cbranch_execnz .LBB6_7229
	s_branch .LBB6_7230
.LBB6_7703:                             ;   in Loop: Header=BB6_6496 Depth=4
	s_mov_b32 s13, -1
	s_mov_b32 s36, exec_lo
                                        ; implicit-def: $sgpr34
	v_cmpx_eq_u16_e32 0x80, v36
; %bb.7704:                             ;   in Loop: Header=BB6_6496 Depth=4
	s_mov_b32 s34, 0x7f800001
	s_xor_b32 s13, exec_lo, -1
; %bb.7705:                             ;   in Loop: Header=BB6_6496 Depth=4
	s_or_b32 exec_lo, exec_lo, s36
	s_delay_alu instid0(SALU_CYCLE_1)
	s_and_b32 s13, s13, exec_lo
                                        ; implicit-def: $vgpr36
	s_or_saveexec_b32 s35, s35
	v_mov_b32_e32 v27, s34
	s_xor_b32 exec_lo, exec_lo, s35
	s_cbranch_execz .LBB6_7232
.LBB6_7706:                             ;   in Loop: Header=BB6_6496 Depth=4
	v_cmp_ne_u16_e32 vcc_lo, 0, v36
	v_mov_b32_e32 v27, 0
	s_and_not1_b32 s13, s13, exec_lo
	s_and_b32 vcc_lo, vcc_lo, exec_lo
	s_delay_alu instid0(SALU_CYCLE_1)
	s_or_b32 s13, s13, vcc_lo
	s_or_b32 exec_lo, exec_lo, s35
	s_and_saveexec_b32 s34, s13
	s_cbranch_execnz .LBB6_7233
	s_branch .LBB6_7234
.LBB6_7707:                             ;   in Loop: Header=BB6_6496 Depth=4
	s_mov_b32 s13, -1
	s_mov_b32 s36, exec_lo
                                        ; implicit-def: $sgpr34
	v_cmpx_eq_u16_e32 0x80, v27
; %bb.7708:                             ;   in Loop: Header=BB6_6496 Depth=4
	s_mov_b32 s34, 0x7f800001
	s_xor_b32 s13, exec_lo, -1
; %bb.7709:                             ;   in Loop: Header=BB6_6496 Depth=4
	s_or_b32 exec_lo, exec_lo, s36
	s_delay_alu instid0(SALU_CYCLE_1)
	s_and_b32 s13, s13, exec_lo
                                        ; implicit-def: $vgpr27
	s_or_saveexec_b32 s35, s35
	v_mov_b32_e32 v26, s34
	s_xor_b32 exec_lo, exec_lo, s35
	s_cbranch_execz .LBB6_7244
.LBB6_7710:                             ;   in Loop: Header=BB6_6496 Depth=4
	v_cmp_ne_u16_e32 vcc_lo, 0, v27
	v_mov_b32_e32 v26, 0
	s_and_not1_b32 s13, s13, exec_lo
	s_and_b32 vcc_lo, vcc_lo, exec_lo
	s_delay_alu instid0(SALU_CYCLE_1)
	s_or_b32 s13, s13, vcc_lo
	s_or_b32 exec_lo, exec_lo, s35
	s_and_saveexec_b32 s34, s13
	s_cbranch_execnz .LBB6_7245
	s_branch .LBB6_7246
.LBB6_7711:                             ;   in Loop: Header=BB6_6496 Depth=4
	s_mov_b32 s13, -1
	s_mov_b32 s36, exec_lo
                                        ; implicit-def: $sgpr34
	v_cmpx_eq_u16_e32 0x80, v36
; %bb.7712:                             ;   in Loop: Header=BB6_6496 Depth=4
	s_mov_b32 s34, 0x7f800001
	s_xor_b32 s13, exec_lo, -1
; %bb.7713:                             ;   in Loop: Header=BB6_6496 Depth=4
	s_or_b32 exec_lo, exec_lo, s36
	s_delay_alu instid0(SALU_CYCLE_1)
	s_and_b32 s13, s13, exec_lo
                                        ; implicit-def: $vgpr36
	s_or_saveexec_b32 s35, s35
	v_mov_b32_e32 v27, s34
	s_xor_b32 exec_lo, exec_lo, s35
	s_cbranch_execz .LBB6_7248
.LBB6_7714:                             ;   in Loop: Header=BB6_6496 Depth=4
	v_cmp_ne_u16_e32 vcc_lo, 0, v36
	v_mov_b32_e32 v27, 0
	s_and_not1_b32 s13, s13, exec_lo
	s_and_b32 vcc_lo, vcc_lo, exec_lo
	s_delay_alu instid0(SALU_CYCLE_1)
	s_or_b32 s13, s13, vcc_lo
	s_or_b32 exec_lo, exec_lo, s35
	s_and_saveexec_b32 s34, s13
	s_cbranch_execnz .LBB6_7249
	s_branch .LBB6_7250
.LBB6_7715:                             ;   in Loop: Header=BB6_6496 Depth=4
	s_mov_b32 s13, -1
	s_mov_b32 s36, exec_lo
                                        ; implicit-def: $sgpr34
	v_cmpx_eq_u16_e32 0x80, v27
; %bb.7716:                             ;   in Loop: Header=BB6_6496 Depth=4
	s_mov_b32 s34, 0x7f800001
	s_xor_b32 s13, exec_lo, -1
; %bb.7717:                             ;   in Loop: Header=BB6_6496 Depth=4
	s_or_b32 exec_lo, exec_lo, s36
	s_delay_alu instid0(SALU_CYCLE_1)
	s_and_b32 s13, s13, exec_lo
                                        ; implicit-def: $vgpr27
	s_or_saveexec_b32 s35, s35
	v_mov_b32_e32 v26, s34
	s_xor_b32 exec_lo, exec_lo, s35
	s_cbranch_execz .LBB6_7260
.LBB6_7718:                             ;   in Loop: Header=BB6_6496 Depth=4
	v_cmp_ne_u16_e32 vcc_lo, 0, v27
	v_mov_b32_e32 v26, 0
	s_and_not1_b32 s13, s13, exec_lo
	s_and_b32 vcc_lo, vcc_lo, exec_lo
	s_delay_alu instid0(SALU_CYCLE_1)
	s_or_b32 s13, s13, vcc_lo
	s_or_b32 exec_lo, exec_lo, s35
	s_and_saveexec_b32 s34, s13
	s_cbranch_execnz .LBB6_7261
	s_branch .LBB6_7262
.LBB6_7719:                             ;   in Loop: Header=BB6_6496 Depth=4
	s_mov_b32 s13, -1
	s_mov_b32 s36, exec_lo
                                        ; implicit-def: $sgpr34
	v_cmpx_eq_u16_e32 0x80, v36
; %bb.7720:                             ;   in Loop: Header=BB6_6496 Depth=4
	s_mov_b32 s34, 0x7f800001
	s_xor_b32 s13, exec_lo, -1
; %bb.7721:                             ;   in Loop: Header=BB6_6496 Depth=4
	s_or_b32 exec_lo, exec_lo, s36
	s_delay_alu instid0(SALU_CYCLE_1)
	s_and_b32 s13, s13, exec_lo
                                        ; implicit-def: $vgpr36
	s_or_saveexec_b32 s35, s35
	v_mov_b32_e32 v27, s34
	s_xor_b32 exec_lo, exec_lo, s35
	s_cbranch_execz .LBB6_7264
.LBB6_7722:                             ;   in Loop: Header=BB6_6496 Depth=4
	v_cmp_ne_u16_e32 vcc_lo, 0, v36
	v_mov_b32_e32 v27, 0
	s_and_not1_b32 s13, s13, exec_lo
	s_and_b32 vcc_lo, vcc_lo, exec_lo
	s_delay_alu instid0(SALU_CYCLE_1)
	s_or_b32 s13, s13, vcc_lo
	s_or_b32 exec_lo, exec_lo, s35
	s_and_saveexec_b32 s34, s13
	s_cbranch_execnz .LBB6_7265
	s_branch .LBB6_7266
.LBB6_7723:                             ;   in Loop: Header=BB6_6496 Depth=4
	s_mov_b32 s13, -1
	s_mov_b32 s36, exec_lo
                                        ; implicit-def: $sgpr34
	v_cmpx_eq_u16_e32 0x80, v27
; %bb.7724:                             ;   in Loop: Header=BB6_6496 Depth=4
	s_mov_b32 s34, 0x7f800001
	s_xor_b32 s13, exec_lo, -1
; %bb.7725:                             ;   in Loop: Header=BB6_6496 Depth=4
	s_or_b32 exec_lo, exec_lo, s36
	s_delay_alu instid0(SALU_CYCLE_1)
	s_and_b32 s13, s13, exec_lo
                                        ; implicit-def: $vgpr27
	s_or_saveexec_b32 s35, s35
	v_mov_b32_e32 v26, s34
	s_xor_b32 exec_lo, exec_lo, s35
	s_cbranch_execz .LBB6_7276
.LBB6_7726:                             ;   in Loop: Header=BB6_6496 Depth=4
	v_cmp_ne_u16_e32 vcc_lo, 0, v27
	v_mov_b32_e32 v26, 0
	s_and_not1_b32 s13, s13, exec_lo
	s_and_b32 vcc_lo, vcc_lo, exec_lo
	s_delay_alu instid0(SALU_CYCLE_1)
	s_or_b32 s13, s13, vcc_lo
	s_or_b32 exec_lo, exec_lo, s35
	s_and_saveexec_b32 s34, s13
	s_cbranch_execnz .LBB6_7277
	s_branch .LBB6_7278
.LBB6_7727:                             ;   in Loop: Header=BB6_6496 Depth=4
	s_mov_b32 s13, -1
	s_mov_b32 s36, exec_lo
                                        ; implicit-def: $sgpr34
	v_cmpx_eq_u16_e32 0x80, v36
; %bb.7728:                             ;   in Loop: Header=BB6_6496 Depth=4
	s_mov_b32 s34, 0x7f800001
	s_xor_b32 s13, exec_lo, -1
; %bb.7729:                             ;   in Loop: Header=BB6_6496 Depth=4
	s_or_b32 exec_lo, exec_lo, s36
	s_delay_alu instid0(SALU_CYCLE_1)
	s_and_b32 s13, s13, exec_lo
                                        ; implicit-def: $vgpr36
	s_or_saveexec_b32 s35, s35
	v_mov_b32_e32 v27, s34
	s_xor_b32 exec_lo, exec_lo, s35
	s_cbranch_execz .LBB6_7280
.LBB6_7730:                             ;   in Loop: Header=BB6_6496 Depth=4
	v_cmp_ne_u16_e32 vcc_lo, 0, v36
	v_mov_b32_e32 v27, 0
	s_and_not1_b32 s13, s13, exec_lo
	s_and_b32 vcc_lo, vcc_lo, exec_lo
	s_delay_alu instid0(SALU_CYCLE_1)
	s_or_b32 s13, s13, vcc_lo
	s_or_b32 exec_lo, exec_lo, s35
	s_and_saveexec_b32 s34, s13
	s_cbranch_execnz .LBB6_7281
	s_branch .LBB6_7282
.LBB6_7731:                             ;   in Loop: Header=BB6_6496 Depth=4
	s_mov_b32 s13, -1
	s_mov_b32 s36, exec_lo
                                        ; implicit-def: $sgpr34
	v_cmpx_eq_u16_e32 0x80, v27
; %bb.7732:                             ;   in Loop: Header=BB6_6496 Depth=4
	s_mov_b32 s34, 0x7f800001
	s_xor_b32 s13, exec_lo, -1
; %bb.7733:                             ;   in Loop: Header=BB6_6496 Depth=4
	s_or_b32 exec_lo, exec_lo, s36
	s_delay_alu instid0(SALU_CYCLE_1)
	s_and_b32 s13, s13, exec_lo
                                        ; implicit-def: $vgpr27
	s_or_saveexec_b32 s35, s35
	v_mov_b32_e32 v26, s34
	s_xor_b32 exec_lo, exec_lo, s35
	s_cbranch_execz .LBB6_7292
.LBB6_7734:                             ;   in Loop: Header=BB6_6496 Depth=4
	v_cmp_ne_u16_e32 vcc_lo, 0, v27
	v_mov_b32_e32 v26, 0
	s_and_not1_b32 s13, s13, exec_lo
	s_and_b32 vcc_lo, vcc_lo, exec_lo
	s_delay_alu instid0(SALU_CYCLE_1)
	s_or_b32 s13, s13, vcc_lo
	s_or_b32 exec_lo, exec_lo, s35
	s_and_saveexec_b32 s34, s13
	s_cbranch_execnz .LBB6_7293
	s_branch .LBB6_7294
.LBB6_7735:                             ;   in Loop: Header=BB6_6496 Depth=4
	s_mov_b32 s13, -1
	s_mov_b32 s36, exec_lo
                                        ; implicit-def: $sgpr34
	v_cmpx_eq_u16_e32 0x80, v36
; %bb.7736:                             ;   in Loop: Header=BB6_6496 Depth=4
	s_mov_b32 s34, 0x7f800001
	s_xor_b32 s13, exec_lo, -1
; %bb.7737:                             ;   in Loop: Header=BB6_6496 Depth=4
	s_or_b32 exec_lo, exec_lo, s36
	s_delay_alu instid0(SALU_CYCLE_1)
	s_and_b32 s13, s13, exec_lo
                                        ; implicit-def: $vgpr36
	s_or_saveexec_b32 s35, s35
	v_mov_b32_e32 v27, s34
	s_xor_b32 exec_lo, exec_lo, s35
	s_cbranch_execz .LBB6_7296
.LBB6_7738:                             ;   in Loop: Header=BB6_6496 Depth=4
	v_cmp_ne_u16_e32 vcc_lo, 0, v36
	v_mov_b32_e32 v27, 0
	s_and_not1_b32 s13, s13, exec_lo
	s_and_b32 vcc_lo, vcc_lo, exec_lo
	s_delay_alu instid0(SALU_CYCLE_1)
	s_or_b32 s13, s13, vcc_lo
	s_or_b32 exec_lo, exec_lo, s35
	s_and_saveexec_b32 s34, s13
	s_cbranch_execnz .LBB6_7297
	s_branch .LBB6_7298
.LBB6_7739:                             ;   in Loop: Header=BB6_6496 Depth=4
	s_mov_b32 s13, -1
	s_mov_b32 s36, exec_lo
                                        ; implicit-def: $sgpr34
	v_cmpx_eq_u16_e32 0x80, v36
; %bb.7740:                             ;   in Loop: Header=BB6_6496 Depth=4
	s_mov_b32 s34, 0x7f800001
	s_xor_b32 s13, exec_lo, -1
; %bb.7741:                             ;   in Loop: Header=BB6_6496 Depth=4
	s_or_b32 exec_lo, exec_lo, s36
	s_delay_alu instid0(SALU_CYCLE_1)
	s_and_b32 s13, s13, exec_lo
                                        ; implicit-def: $vgpr36
	s_or_saveexec_b32 s35, s35
	v_mov_b32_e32 v27, s34
	s_xor_b32 exec_lo, exec_lo, s35
	s_cbranch_execz .LBB6_7308
.LBB6_7742:                             ;   in Loop: Header=BB6_6496 Depth=4
	v_cmp_ne_u16_e32 vcc_lo, 0, v36
	v_mov_b32_e32 v27, 0
	s_and_not1_b32 s13, s13, exec_lo
	s_and_b32 vcc_lo, vcc_lo, exec_lo
	s_delay_alu instid0(SALU_CYCLE_1)
	s_or_b32 s13, s13, vcc_lo
	s_or_b32 exec_lo, exec_lo, s35
	s_and_saveexec_b32 s34, s13
	s_cbranch_execnz .LBB6_7309
	s_branch .LBB6_7310
.LBB6_7743:                             ;   in Loop: Header=BB6_6496 Depth=4
	s_mov_b32 s13, -1
	s_mov_b32 s36, exec_lo
                                        ; implicit-def: $sgpr34
	v_cmpx_eq_u16_e32 0x80, v37
; %bb.7744:                             ;   in Loop: Header=BB6_6496 Depth=4
	s_mov_b32 s34, 0x7f800001
	s_xor_b32 s13, exec_lo, -1
; %bb.7745:                             ;   in Loop: Header=BB6_6496 Depth=4
	s_or_b32 exec_lo, exec_lo, s36
	s_delay_alu instid0(SALU_CYCLE_1)
	s_and_b32 s13, s13, exec_lo
                                        ; implicit-def: $vgpr37
	s_or_saveexec_b32 s35, s35
	v_mov_b32_e32 v36, s34
	s_xor_b32 exec_lo, exec_lo, s35
	s_cbranch_execz .LBB6_7312
.LBB6_7746:                             ;   in Loop: Header=BB6_6496 Depth=4
	v_cmp_ne_u16_e32 vcc_lo, 0, v37
	v_mov_b32_e32 v36, 0
	s_and_not1_b32 s13, s13, exec_lo
	s_and_b32 vcc_lo, vcc_lo, exec_lo
	s_delay_alu instid0(SALU_CYCLE_1)
	s_or_b32 s13, s13, vcc_lo
	s_or_b32 exec_lo, exec_lo, s35
	s_and_saveexec_b32 s34, s13
	s_cbranch_execnz .LBB6_7313
	s_branch .LBB6_7314
.LBB6_7747:                             ;   in Loop: Header=BB6_6496 Depth=4
	s_mov_b32 s13, -1
	s_mov_b32 s36, exec_lo
                                        ; implicit-def: $sgpr34
	v_cmpx_eq_u16_e32 0x80, v37
; %bb.7748:                             ;   in Loop: Header=BB6_6496 Depth=4
	s_mov_b32 s34, 0x7f800001
	s_xor_b32 s13, exec_lo, -1
; %bb.7749:                             ;   in Loop: Header=BB6_6496 Depth=4
	s_or_b32 exec_lo, exec_lo, s36
	s_delay_alu instid0(SALU_CYCLE_1)
	s_and_b32 s13, s13, exec_lo
                                        ; implicit-def: $vgpr37
	s_or_saveexec_b32 s35, s35
	v_mov_b32_e32 v36, s34
	s_xor_b32 exec_lo, exec_lo, s35
	s_cbranch_execz .LBB6_7324
.LBB6_7750:                             ;   in Loop: Header=BB6_6496 Depth=4
	v_cmp_ne_u16_e32 vcc_lo, 0, v37
	v_mov_b32_e32 v36, 0
	s_and_not1_b32 s13, s13, exec_lo
	s_and_b32 vcc_lo, vcc_lo, exec_lo
	s_delay_alu instid0(SALU_CYCLE_1)
	s_or_b32 s13, s13, vcc_lo
	s_or_b32 exec_lo, exec_lo, s35
	s_and_saveexec_b32 s34, s13
	s_cbranch_execnz .LBB6_7325
	s_branch .LBB6_7326
.LBB6_7751:                             ;   in Loop: Header=BB6_6496 Depth=4
	s_mov_b32 s13, -1
	s_mov_b32 s36, exec_lo
                                        ; implicit-def: $sgpr34
	v_cmpx_eq_u16_e32 0x80, v38
; %bb.7752:                             ;   in Loop: Header=BB6_6496 Depth=4
	s_mov_b32 s34, 0x7f800001
	s_xor_b32 s13, exec_lo, -1
; %bb.7753:                             ;   in Loop: Header=BB6_6496 Depth=4
	s_or_b32 exec_lo, exec_lo, s36
	s_delay_alu instid0(SALU_CYCLE_1)
	s_and_b32 s13, s13, exec_lo
                                        ; implicit-def: $vgpr38
	s_or_saveexec_b32 s35, s35
	v_mov_b32_e32 v37, s34
	s_xor_b32 exec_lo, exec_lo, s35
	s_cbranch_execz .LBB6_7328
.LBB6_7754:                             ;   in Loop: Header=BB6_6496 Depth=4
	v_cmp_ne_u16_e32 vcc_lo, 0, v38
	v_mov_b32_e32 v37, 0
	s_and_not1_b32 s13, s13, exec_lo
	s_and_b32 vcc_lo, vcc_lo, exec_lo
	s_delay_alu instid0(SALU_CYCLE_1)
	s_or_b32 s13, s13, vcc_lo
	s_or_b32 exec_lo, exec_lo, s35
	s_and_saveexec_b32 s34, s13
	s_cbranch_execnz .LBB6_7329
	s_branch .LBB6_7330
.LBB6_7755:                             ;   in Loop: Header=BB6_6496 Depth=4
	s_mov_b32 s13, -1
	s_mov_b32 s36, exec_lo
                                        ; implicit-def: $sgpr34
	v_cmpx_eq_u16_e32 0x80, v38
; %bb.7756:                             ;   in Loop: Header=BB6_6496 Depth=4
	s_mov_b32 s34, 0x7f800001
	s_xor_b32 s13, exec_lo, -1
; %bb.7757:                             ;   in Loop: Header=BB6_6496 Depth=4
	s_or_b32 exec_lo, exec_lo, s36
	s_delay_alu instid0(SALU_CYCLE_1)
	s_and_b32 s13, s13, exec_lo
                                        ; implicit-def: $vgpr38
	s_or_saveexec_b32 s35, s35
	v_mov_b32_e32 v37, s34
	s_xor_b32 exec_lo, exec_lo, s35
	s_cbranch_execz .LBB6_7340
.LBB6_7758:                             ;   in Loop: Header=BB6_6496 Depth=4
	v_cmp_ne_u16_e32 vcc_lo, 0, v38
	v_mov_b32_e32 v37, 0
	s_and_not1_b32 s13, s13, exec_lo
	s_and_b32 vcc_lo, vcc_lo, exec_lo
	s_delay_alu instid0(SALU_CYCLE_1)
	s_or_b32 s13, s13, vcc_lo
	s_or_b32 exec_lo, exec_lo, s35
	s_and_saveexec_b32 s34, s13
	s_cbranch_execnz .LBB6_7341
	s_branch .LBB6_7342
.LBB6_7759:                             ;   in Loop: Header=BB6_6496 Depth=4
	s_mov_b32 s13, -1
	s_mov_b32 s36, exec_lo
                                        ; implicit-def: $sgpr34
	v_cmpx_eq_u16_e32 0x80, v39
; %bb.7760:                             ;   in Loop: Header=BB6_6496 Depth=4
	s_mov_b32 s34, 0x7f800001
	s_xor_b32 s13, exec_lo, -1
; %bb.7761:                             ;   in Loop: Header=BB6_6496 Depth=4
	s_or_b32 exec_lo, exec_lo, s36
	s_delay_alu instid0(SALU_CYCLE_1)
	s_and_b32 s13, s13, exec_lo
                                        ; implicit-def: $vgpr39
	s_or_saveexec_b32 s35, s35
	v_mov_b32_e32 v38, s34
	s_xor_b32 exec_lo, exec_lo, s35
	s_cbranch_execz .LBB6_7344
.LBB6_7762:                             ;   in Loop: Header=BB6_6496 Depth=4
	v_cmp_ne_u16_e32 vcc_lo, 0, v39
	v_mov_b32_e32 v38, 0
	s_and_not1_b32 s13, s13, exec_lo
	s_and_b32 vcc_lo, vcc_lo, exec_lo
	s_delay_alu instid0(SALU_CYCLE_1)
	s_or_b32 s13, s13, vcc_lo
	s_or_b32 exec_lo, exec_lo, s35
	s_and_saveexec_b32 s34, s13
	s_cbranch_execnz .LBB6_7345
	s_branch .LBB6_7346
.LBB6_7763:                             ;   in Loop: Header=BB6_6496 Depth=4
	s_mov_b32 s13, -1
	s_mov_b32 s36, exec_lo
                                        ; implicit-def: $sgpr34
	v_cmpx_eq_u16_e32 0x80, v39
; %bb.7764:                             ;   in Loop: Header=BB6_6496 Depth=4
	s_mov_b32 s34, 0x7f800001
	s_xor_b32 s13, exec_lo, -1
; %bb.7765:                             ;   in Loop: Header=BB6_6496 Depth=4
	s_or_b32 exec_lo, exec_lo, s36
	s_delay_alu instid0(SALU_CYCLE_1)
	s_and_b32 s13, s13, exec_lo
                                        ; implicit-def: $vgpr39
	s_or_saveexec_b32 s35, s35
	v_mov_b32_e32 v38, s34
	s_xor_b32 exec_lo, exec_lo, s35
	s_cbranch_execz .LBB6_7356
.LBB6_7766:                             ;   in Loop: Header=BB6_6496 Depth=4
	v_cmp_ne_u16_e32 vcc_lo, 0, v39
	v_mov_b32_e32 v38, 0
	s_and_not1_b32 s13, s13, exec_lo
	s_and_b32 vcc_lo, vcc_lo, exec_lo
	s_delay_alu instid0(SALU_CYCLE_1)
	s_or_b32 s13, s13, vcc_lo
	s_or_b32 exec_lo, exec_lo, s35
	s_and_saveexec_b32 s34, s13
	s_cbranch_execnz .LBB6_7357
	s_branch .LBB6_7358
.LBB6_7767:                             ;   in Loop: Header=BB6_6496 Depth=4
	s_mov_b32 s13, -1
	s_mov_b32 s36, exec_lo
                                        ; implicit-def: $sgpr34
	v_cmpx_eq_u16_e32 0x80, v39
; %bb.7768:                             ;   in Loop: Header=BB6_6496 Depth=4
	s_mov_b32 s34, 0x7f800001
	s_xor_b32 s13, exec_lo, -1
; %bb.7769:                             ;   in Loop: Header=BB6_6496 Depth=4
	s_or_b32 exec_lo, exec_lo, s36
	s_delay_alu instid0(SALU_CYCLE_1)
	s_and_b32 s13, s13, exec_lo
                                        ; implicit-def: $vgpr39
	s_or_saveexec_b32 s35, s35
	v_mov_b32_e32 v22, s34
	s_xor_b32 exec_lo, exec_lo, s35
	s_cbranch_execz .LBB6_7360
.LBB6_7770:                             ;   in Loop: Header=BB6_6496 Depth=4
	v_cmp_ne_u16_e32 vcc_lo, 0, v39
	v_mov_b32_e32 v22, 0
	s_and_not1_b32 s13, s13, exec_lo
	s_and_b32 vcc_lo, vcc_lo, exec_lo
	s_delay_alu instid0(SALU_CYCLE_1)
	s_or_b32 s13, s13, vcc_lo
	s_or_b32 exec_lo, exec_lo, s35
	s_and_saveexec_b32 s34, s13
	s_cbranch_execnz .LBB6_7361
	s_branch .LBB6_7362
.LBB6_7771:                             ;   in Loop: Header=BB6_6496 Depth=4
	s_mov_b32 s13, -1
	s_mov_b32 s36, exec_lo
                                        ; implicit-def: $sgpr34
	v_cmpx_eq_u16_e32 0x80, v39
; %bb.7772:                             ;   in Loop: Header=BB6_6496 Depth=4
	s_mov_b32 s34, 0x7f800001
	s_xor_b32 s13, exec_lo, -1
; %bb.7773:                             ;   in Loop: Header=BB6_6496 Depth=4
	s_or_b32 exec_lo, exec_lo, s36
	s_delay_alu instid0(SALU_CYCLE_1)
	s_and_b32 s13, s13, exec_lo
                                        ; implicit-def: $vgpr39
	s_or_saveexec_b32 s35, s35
	v_mov_b32_e32 v38, s34
	s_xor_b32 exec_lo, exec_lo, s35
	s_cbranch_execz .LBB6_7372
.LBB6_7774:                             ;   in Loop: Header=BB6_6496 Depth=4
	v_cmp_ne_u16_e32 vcc_lo, 0, v39
	v_mov_b32_e32 v38, 0
	s_and_not1_b32 s13, s13, exec_lo
	s_and_b32 vcc_lo, vcc_lo, exec_lo
	s_delay_alu instid0(SALU_CYCLE_1)
	s_or_b32 s13, s13, vcc_lo
	s_or_b32 exec_lo, exec_lo, s35
	s_and_saveexec_b32 s34, s13
	s_cbranch_execnz .LBB6_7373
	s_branch .LBB6_7374
.LBB6_7775:                             ;   in Loop: Header=BB6_6496 Depth=4
	s_mov_b32 s13, -1
	s_mov_b32 s36, exec_lo
                                        ; implicit-def: $sgpr34
	v_cmpx_eq_u16_e32 0x80, v39
; %bb.7776:                             ;   in Loop: Header=BB6_6496 Depth=4
	s_mov_b32 s34, 0x7f800001
	s_xor_b32 s13, exec_lo, -1
; %bb.7777:                             ;   in Loop: Header=BB6_6496 Depth=4
	s_or_b32 exec_lo, exec_lo, s36
	s_delay_alu instid0(SALU_CYCLE_1)
	s_and_b32 s13, s13, exec_lo
                                        ; implicit-def: $vgpr39
	s_or_saveexec_b32 s35, s35
	v_mov_b32_e32 v20, s34
	s_xor_b32 exec_lo, exec_lo, s35
	s_cbranch_execz .LBB6_7376
.LBB6_7778:                             ;   in Loop: Header=BB6_6496 Depth=4
	v_cmp_ne_u16_e32 vcc_lo, 0, v39
	v_mov_b32_e32 v20, 0
	s_and_not1_b32 s13, s13, exec_lo
	s_and_b32 vcc_lo, vcc_lo, exec_lo
	s_delay_alu instid0(SALU_CYCLE_1)
	s_or_b32 s13, s13, vcc_lo
	s_or_b32 exec_lo, exec_lo, s35
	s_and_saveexec_b32 s34, s13
	s_cbranch_execnz .LBB6_7377
	s_branch .LBB6_7378
.LBB6_7779:                             ;   in Loop: Header=BB6_6496 Depth=4
	s_mov_b32 s13, -1
	s_mov_b32 s36, exec_lo
                                        ; implicit-def: $sgpr34
	v_cmpx_eq_u16_e32 0x80, v38
; %bb.7780:                             ;   in Loop: Header=BB6_6496 Depth=4
	s_mov_b32 s34, 0x7f800001
	s_xor_b32 s13, exec_lo, -1
; %bb.7781:                             ;   in Loop: Header=BB6_6496 Depth=4
	s_or_b32 exec_lo, exec_lo, s36
	s_delay_alu instid0(SALU_CYCLE_1)
	s_and_b32 s13, s13, exec_lo
                                        ; implicit-def: $vgpr38
	s_or_saveexec_b32 s35, s35
	v_mov_b32_e32 v23, s34
	s_xor_b32 exec_lo, exec_lo, s35
	s_cbranch_execz .LBB6_7388
.LBB6_7782:                             ;   in Loop: Header=BB6_6496 Depth=4
	v_cmp_ne_u16_e32 vcc_lo, 0, v38
	v_mov_b32_e32 v23, 0
	s_and_not1_b32 s13, s13, exec_lo
	s_and_b32 vcc_lo, vcc_lo, exec_lo
	s_delay_alu instid0(SALU_CYCLE_1)
	s_or_b32 s13, s13, vcc_lo
	s_or_b32 exec_lo, exec_lo, s35
	s_and_saveexec_b32 s34, s13
	s_cbranch_execnz .LBB6_7389
	s_branch .LBB6_7390
.LBB6_7783:                             ;   in Loop: Header=BB6_6496 Depth=4
	s_mov_b32 s13, -1
	s_mov_b32 s36, exec_lo
                                        ; implicit-def: $sgpr34
	v_cmpx_eq_u16_e32 0x80, v38
; %bb.7784:                             ;   in Loop: Header=BB6_6496 Depth=4
	s_mov_b32 s34, 0x7f800001
	s_xor_b32 s13, exec_lo, -1
; %bb.7785:                             ;   in Loop: Header=BB6_6496 Depth=4
	s_or_b32 exec_lo, exec_lo, s36
	s_delay_alu instid0(SALU_CYCLE_1)
	s_and_b32 s13, s13, exec_lo
                                        ; implicit-def: $vgpr38
	s_or_saveexec_b32 s35, s35
	v_mov_b32_e32 v15, s34
	s_xor_b32 exec_lo, exec_lo, s35
	s_cbranch_execz .LBB6_7392
.LBB6_7786:                             ;   in Loop: Header=BB6_6496 Depth=4
	v_cmp_ne_u16_e32 vcc_lo, 0, v38
	v_mov_b32_e32 v15, 0
	s_and_not1_b32 s13, s13, exec_lo
	s_and_b32 vcc_lo, vcc_lo, exec_lo
	s_delay_alu instid0(SALU_CYCLE_1)
	s_or_b32 s13, s13, vcc_lo
	s_or_b32 exec_lo, exec_lo, s35
	s_and_saveexec_b32 s34, s13
	s_cbranch_execnz .LBB6_7393
	s_branch .LBB6_7394
.LBB6_7787:                             ;   in Loop: Header=BB6_3175 Depth=3
	s_or_b32 exec_lo, exec_lo, s31
.LBB6_7788:                             ;   in Loop: Header=BB6_3175 Depth=3
	s_delay_alu instid0(SALU_CYCLE_1) | instskip(SKIP_2) | instid1(VALU_DEP_1)
	s_or_b32 exec_lo, exec_lo, s30
	v_lshlrev_b32_e32 v8, 10, v19
	s_mov_b32 s30, exec_lo
	v_cmpx_ne_u32_e64 v17, v8
	s_cbranch_execz .LBB6_7843
; %bb.7789:                             ;   in Loop: Header=BB6_3175 Depth=3
	v_ashrrev_i32_e32 v9, 31, v18
	v_lshlrev_b32_e32 v2, 5, v2
	s_delay_alu instid0(VALU_DEP_2) | instskip(NEXT) | instid1(VALU_DEP_1)
	v_lshrrev_b32_e32 v9, 27, v9
	v_add_nc_u32_e32 v9, v18, v9
	s_delay_alu instid0(VALU_DEP_1) | instskip(NEXT) | instid1(VALU_DEP_1)
	v_and_b32_e32 v9, 0xffffffe0, v9
	v_sub_nc_u32_e32 v9, v18, v9
	s_delay_alu instid0(VALU_DEP_1) | instskip(NEXT) | instid1(VALU_DEP_1)
	v_sub_nc_u32_e32 v2, v9, v2
	v_add_nc_u32_e32 v8, v8, v2
	s_delay_alu instid0(VALU_DEP_1) | instskip(NEXT) | instid1(VALU_DEP_1)
	v_sub_nc_u32_e32 v2, v17, v8
	v_cmp_lt_i32_e32 vcc_lo, 0, v2
	s_and_b32 exec_lo, exec_lo, vcc_lo
	s_cbranch_execz .LBB6_7843
; %bb.7790:                             ;   in Loop: Header=BB6_3175 Depth=3
	s_cbranch_execz .LBB6_7791
; %bb.18669:
	s_getpc_b64 s[48:49]
.Lpost_getpc361:
	s_add_u32 s48, s48, (.LBB6_18291-.Lpost_getpc361)&4294967295
	s_addc_u32 s49, s49, (.LBB6_18291-.Lpost_getpc361)>>32
	s_setpc_b64 s[48:49]
.LBB6_7791:                             ;   in Loop: Header=BB6_3175 Depth=3
	ds_load_b128 v[9:12], v0
	ds_load_b64 v[13:14], v0
	v_add_nc_u32_e32 v15, v8, v16
	s_mov_b32 s31, 0
	s_delay_alu instid0(VALU_DEP_1) | instskip(SKIP_2) | instid1(VALU_DEP_2)
	v_ashrrev_i32_e32 v16, 31, v15
	s_waitcnt lgkmcnt(1)
	v_add_co_u32 v8, vcc_lo, v9, v15
	v_add_co_ci_u32_e32 v9, vcc_lo, v10, v16, vcc_lo
	v_add_co_u32 v10, vcc_lo, v11, v15
	v_add_co_ci_u32_e32 v11, vcc_lo, v12, v16, vcc_lo
	s_waitcnt lgkmcnt(0)
	v_add_co_u32 v12, vcc_lo, v13, v15
	v_add_co_ci_u32_e32 v13, vcc_lo, v14, v16, vcc_lo
.LBB6_7792:                             ;   Parent Loop BB6_51 Depth=1
                                        ;     Parent Loop BB6_3173 Depth=2
                                        ;       Parent Loop BB6_3175 Depth=3
                                        ; =>      This Inner Loop Header: Depth=4
	s_cbranch_execz .LBB6_7793
; %bb.18671:
	s_getpc_b64 s[48:49]
.Lpost_getpc362:
	s_add_u32 s48, s48, (.LBB6_18295-.Lpost_getpc362)&4294967295
	s_addc_u32 s49, s49, (.LBB6_18295-.Lpost_getpc362)>>32
	s_setpc_b64 s[48:49]
.LBB6_7793:                             ;   in Loop: Header=BB6_7792 Depth=4
	ds_load_b64 v[14:15], v0
	s_waitcnt lgkmcnt(0)
	v_and_b32_e32 v15, 0xff, v14
	v_readfirstlane_b32 s13, v14
	s_delay_alu instid0(VALU_DEP_2)
	v_cmp_gt_i16_e32 vcc_lo, 0x80, v15
	s_cbranch_vccnz .LBB6_7797
; %bb.7794:                             ;   in Loop: Header=BB6_7792 Depth=4
	v_cmp_eq_u16_e32 vcc_lo, 0x80, v15
	s_mov_b32 s34, -1
                                        ; implicit-def: $sgpr35
	s_cbranch_vccz .LBB6_7796
; %bb.7795:                             ;   in Loop: Header=BB6_7792 Depth=4
	s_mov_b32 s34, 0
	s_mov_b32 s35, 0x7f800001
.LBB6_7796:                             ;   in Loop: Header=BB6_7792 Depth=4
	s_mov_b32 vcc_lo, 0
	s_branch .LBB6_7798
.LBB6_7797:                             ;   in Loop: Header=BB6_7792 Depth=4
	s_mov_b32 vcc_lo, -1
	s_mov_b32 s34, 0
                                        ; implicit-def: $sgpr35
.LBB6_7798:                             ;   in Loop: Header=BB6_7792 Depth=4
	s_and_b32 vcc_lo, exec_lo, vcc_lo
	s_cbranch_vccz .LBB6_7800
; %bb.7799:                             ;   in Loop: Header=BB6_7792 Depth=4
	v_cmp_ne_u16_e64 s34, 0, v15
	s_mov_b32 s35, 0
.LBB6_7800:                             ;   in Loop: Header=BB6_7792 Depth=4
	s_delay_alu instid0(SALU_CYCLE_1) | instskip(NEXT) | instid1(VALU_DEP_2)
	v_mov_b32_e32 v15, s35
	s_and_not1_b32 vcc_lo, exec_lo, s34
	s_cbranch_vccnz .LBB6_7802
; %bb.7801:                             ;   in Loop: Header=BB6_7792 Depth=4
	s_and_b32 vcc_lo, s13, 3
	s_bfe_u32 s35, s13, 0x50002
	s_clz_i32_u32 s34, vcc_lo
	v_lshlrev_b32_e32 v14, 24, v14
	s_min_u32 s34, s34, 32
	s_delay_alu instid0(SALU_CYCLE_1)
	s_sub_i32 s36, s34, 29
	s_sub_i32 s34, 30, s34
	s_lshl_b32 s13, s13, s36
	v_and_b32_e32 v14, 0x80000000, v14
	s_and_b32 s13, s13, 3
	s_cmp_eq_u32 s35, 0
	s_cselect_b32 s34, s34, s35
	s_cselect_b32 s13, s13, vcc_lo
	s_lshl_b32 vcc_lo, s34, 23
	s_lshl_b32 s13, s13, 21
	s_add_i32 vcc_lo, vcc_lo, 0x37800000
	s_delay_alu instid0(SALU_CYCLE_1) | instskip(NEXT) | instid1(VALU_DEP_1)
	v_or_b32_e32 v14, vcc_lo, v14
	v_or_b32_e32 v15, s13, v14
.LBB6_7802:                             ;   in Loop: Header=BB6_7792 Depth=4
	flat_load_u8 v14, v[8:9] slc dlc
	s_mov_b32 s13, 0
	s_mov_b32 s35, exec_lo
                                        ; implicit-def: $sgpr34
	s_waitcnt vmcnt(0) lgkmcnt(0)
	v_cmpx_lt_i16_e32 0x7f, v14
	s_xor_b32 s35, exec_lo, s35
	s_cbranch_execnz .LBB6_7831
; %bb.7803:                             ;   in Loop: Header=BB6_7792 Depth=4
	s_or_saveexec_b32 s35, s35
	v_mov_b32_e32 v16, s34
	s_xor_b32 exec_lo, exec_lo, s35
	s_cbranch_execnz .LBB6_7834
.LBB6_7804:                             ;   in Loop: Header=BB6_7792 Depth=4
	s_or_b32 exec_lo, exec_lo, s35
	s_and_saveexec_b32 s34, s13
	s_cbranch_execz .LBB6_7806
.LBB6_7805:                             ;   in Loop: Header=BB6_7792 Depth=4
	v_and_b32_e32 v16, 0xffff, v14
	v_lshlrev_b32_e32 v14, 24, v14
	s_delay_alu instid0(VALU_DEP_2) | instskip(NEXT) | instid1(VALU_DEP_2)
	v_and_b32_e32 v17, 3, v16
	v_and_b32_e32 v14, 0x80000000, v14
	s_delay_alu instid0(VALU_DEP_2) | instskip(NEXT) | instid1(VALU_DEP_1)
	v_clz_i32_u32_e32 v18, v17
	v_min_u32_e32 v18, 32, v18
	s_delay_alu instid0(VALU_DEP_1) | instskip(SKIP_1) | instid1(VALU_DEP_2)
	v_subrev_nc_u32_e32 v19, 29, v18
	v_sub_nc_u32_e32 v18, 30, v18
	v_lshlrev_b32_e32 v19, v19, v16
	v_bfe_u32 v16, v16, 2, 5
	s_delay_alu instid0(VALU_DEP_2) | instskip(NEXT) | instid1(VALU_DEP_2)
	v_and_b32_e32 v19, 3, v19
	v_cmp_eq_u32_e32 vcc_lo, 0, v16
	s_delay_alu instid0(VALU_DEP_2) | instskip(NEXT) | instid1(VALU_DEP_1)
	v_dual_cndmask_b32 v16, v16, v18 :: v_dual_cndmask_b32 v17, v17, v19
	v_lshl_add_u32 v16, v16, 23, 0x37800000
	s_delay_alu instid0(VALU_DEP_2) | instskip(NEXT) | instid1(VALU_DEP_1)
	v_lshlrev_b32_e32 v17, 21, v17
	v_or3_b32 v16, v14, v16, v17
.LBB6_7806:                             ;   in Loop: Header=BB6_7792 Depth=4
	s_or_b32 exec_lo, exec_lo, s34
	s_delay_alu instid0(VALU_DEP_1) | instskip(SKIP_2) | instid1(VALU_DEP_2)
	v_mul_f32_e32 v14, v15, v16
	v_mov_b32_e32 v16, 0x80
	s_mov_b32 s34, exec_lo
	v_and_b32_e32 v15, 0x7f800000, v14
	s_delay_alu instid0(VALU_DEP_1)
	v_cmpx_ne_u32_e32 0x7f800000, v15
	s_cbranch_execz .LBB6_7814
; %bb.7807:                             ;   in Loop: Header=BB6_7792 Depth=4
	v_mov_b32_e32 v16, 0
	s_mov_b32 s35, exec_lo
	v_cmpx_ne_u32_e32 0, v14
	s_cbranch_execz .LBB6_7813
; %bb.7808:                             ;   in Loop: Header=BB6_7792 Depth=4
	v_bfe_u32 v15, v14, 23, 8
	s_delay_alu instid0(VALU_DEP_1) | instskip(SKIP_1) | instid1(VALU_DEP_2)
	v_sub_nc_u32_e32 v17, 0x70, v15
	v_cmp_gt_u32_e32 vcc_lo, 0x71, v15
	v_dual_cndmask_b32 v17, 0, v17 :: v_dual_and_b32 v16, 0x7fffff, v14
	s_delay_alu instid0(VALU_DEP_1) | instskip(SKIP_2) | instid1(VALU_DEP_4)
	v_or_b32_e32 v18, 0x800000, v16
	v_cmp_eq_u32_e32 vcc_lo, 0, v15
	v_add_nc_u32_e32 v15, 0xffffff91, v15
	v_cndmask_b32_e64 v17, v17, 0x6f, vcc_lo
	s_delay_alu instid0(VALU_DEP_4) | instskip(NEXT) | instid1(VALU_DEP_3)
	v_cndmask_b32_e32 v16, v18, v16, vcc_lo
	v_cndmask_b32_e64 v15, v15, 0xffffff92, vcc_lo
	s_delay_alu instid0(VALU_DEP_3) | instskip(NEXT) | instid1(VALU_DEP_3)
	v_lshl_add_u32 v18, 0x200000, v17, -1
	v_lshrrev_b32_e32 v19, v17, v16
	v_lshlrev_b32_e64 v21, v17, 0x100000
	s_delay_alu instid0(VALU_DEP_4) | instskip(NEXT) | instid1(VALU_DEP_4)
	v_add_nc_u32_e32 v17, v17, v15
	v_and_b32_e32 v16, v18, v16
	s_delay_alu instid0(VALU_DEP_4) | instskip(NEXT) | instid1(VALU_DEP_2)
	v_bfe_u32 v20, v19, 21, 1
	v_cmp_eq_u32_e64 s13, v16, v21
	s_delay_alu instid0(VALU_DEP_2) | instskip(NEXT) | instid1(VALU_DEP_1)
	v_add_nc_u32_e32 v18, -1, v20
	v_cndmask_b32_e64 v16, 0, v18, s13
	v_lshrrev_b32_e32 v18, 23, v19
	s_mov_b32 s13, exec_lo
	s_delay_alu instid0(VALU_DEP_2) | instskip(NEXT) | instid1(VALU_DEP_2)
	v_add_nc_u32_e32 v16, v16, v19
	v_xor_b32_e32 v18, 1, v18
	s_delay_alu instid0(VALU_DEP_2) | instskip(NEXT) | instid1(VALU_DEP_1)
	v_and_b32_e32 v15, 0x1fffff, v16
	v_add_nc_u32_e32 v16, v15, v19
                                        ; implicit-def: $vgpr15
	s_delay_alu instid0(VALU_DEP_3)
	v_cmpx_ne_u32_e64 v17, v18
	s_xor_b32 s13, exec_lo, s13
; %bb.7809:                             ;   in Loop: Header=BB6_7792 Depth=4
	s_delay_alu instid0(VALU_DEP_2) | instskip(SKIP_2) | instid1(VALU_DEP_2)
	v_cmp_lt_u32_e32 vcc_lo, 0xffffff, v16
	v_sub_nc_u32_e32 v15, v17, v18
	v_cndmask_b32_e64 v17, 0, 1, vcc_lo
	v_add_co_ci_u32_e32 v15, vcc_lo, 0, v15, vcc_lo
	s_delay_alu instid0(VALU_DEP_2)
	v_lshrrev_b32_e32 v16, v17, v16
; %bb.7810:                             ;   in Loop: Header=BB6_7792 Depth=4
	s_and_not1_saveexec_b32 s13, s13
; %bb.7811:                             ;   in Loop: Header=BB6_7792 Depth=4
	s_delay_alu instid0(VALU_DEP_1)
	v_bfe_u32 v15, v16, 23, 1
; %bb.7812:                             ;   in Loop: Header=BB6_7792 Depth=4
	s_or_b32 exec_lo, exec_lo, s13
	v_lshrrev_b32_e32 v16, 21, v16
	s_delay_alu instid0(VALU_DEP_2) | instskip(SKIP_2) | instid1(VALU_DEP_4)
	v_cmp_gt_i32_e32 vcc_lo, 32, v15
	v_lshrrev_b32_e32 v14, 24, v14
	v_min_i32_e32 v17, 31, v15
	v_cndmask_b32_e32 v16, 3, v16, vcc_lo
	s_delay_alu instid0(VALU_DEP_3) | instskip(NEXT) | instid1(VALU_DEP_3)
	v_and_b32_e32 v14, 0x80, v14
	v_lshlrev_b32_e32 v17, 2, v17
	s_delay_alu instid0(VALU_DEP_3) | instskip(SKIP_1) | instid1(VALU_DEP_2)
	v_and_b32_e32 v18, 3, v16
	v_or_b32_e32 v15, v15, v16
	v_or3_b32 v14, v17, v14, v18
	s_delay_alu instid0(VALU_DEP_2) | instskip(NEXT) | instid1(VALU_DEP_2)
	v_cmp_ne_u32_e32 vcc_lo, 0, v15
	v_cndmask_b32_e32 v16, 0, v14, vcc_lo
.LBB6_7813:                             ;   in Loop: Header=BB6_7792 Depth=4
	s_or_b32 exec_lo, exec_lo, s35
.LBB6_7814:                             ;   in Loop: Header=BB6_7792 Depth=4
	s_delay_alu instid0(SALU_CYCLE_1) | instskip(SKIP_4) | instid1(VALU_DEP_1)
	s_or_b32 exec_lo, exec_lo, s34
	flat_load_u8 v14, v[10:11] slc dlc
	v_and_b32_e32 v17, 0xff, v16
	s_mov_b32 s13, 0
	s_mov_b32 s35, exec_lo
                                        ; implicit-def: $sgpr34
	v_cmpx_lt_i16_e32 0x7f, v17
	s_xor_b32 s35, exec_lo, s35
	s_cbranch_execnz .LBB6_7835
; %bb.7815:                             ;   in Loop: Header=BB6_7792 Depth=4
	s_or_saveexec_b32 s35, s35
	v_mov_b32_e32 v15, s34
	s_xor_b32 exec_lo, exec_lo, s35
	s_cbranch_execnz .LBB6_7838
.LBB6_7816:                             ;   in Loop: Header=BB6_7792 Depth=4
	s_or_b32 exec_lo, exec_lo, s35
	s_and_saveexec_b32 s34, s13
	s_cbranch_execz .LBB6_7818
.LBB6_7817:                             ;   in Loop: Header=BB6_7792 Depth=4
	v_and_b32_e32 v15, 3, v16
	v_lshrrev_b16 v19, 2, v16
	s_delay_alu instid0(VALU_DEP_2) | instskip(NEXT) | instid1(VALU_DEP_2)
	v_clz_i32_u32_e32 v17, v15
	v_and_b32_e32 v19, 31, v19
	s_delay_alu instid0(VALU_DEP_2) | instskip(NEXT) | instid1(VALU_DEP_2)
	v_min_u32_e32 v17, 32, v17
	v_cmp_eq_u32_e32 vcc_lo, 0, v19
	s_delay_alu instid0(VALU_DEP_2) | instskip(SKIP_1) | instid1(VALU_DEP_1)
	v_subrev_nc_u32_e32 v18, 29, v17
	v_sub_nc_u32_e32 v17, 30, v17
	v_dual_cndmask_b32 v17, v19, v17 :: v_dual_lshlrev_b32 v18, v18, v16
	s_delay_alu instid0(VALU_DEP_1) | instskip(SKIP_1) | instid1(VALU_DEP_3)
	v_and_b32_e32 v18, 3, v18
	v_lshlrev_b32_e32 v16, 24, v16
	v_lshl_add_u32 v17, v17, 23, 0x37800000
	s_delay_alu instid0(VALU_DEP_2) | instskip(NEXT) | instid1(VALU_DEP_1)
	v_dual_cndmask_b32 v15, v15, v18 :: v_dual_and_b32 v16, 0x80000000, v16
	v_lshlrev_b32_e32 v15, 21, v15
	s_delay_alu instid0(VALU_DEP_1)
	v_or3_b32 v15, v16, v17, v15
.LBB6_7818:                             ;   in Loop: Header=BB6_7792 Depth=4
	s_or_b32 exec_lo, exec_lo, s34
	s_waitcnt vmcnt(0) lgkmcnt(0)
	v_and_b32_e32 v17, 0xff, v14
	s_mov_b32 s13, 0
	s_mov_b32 s35, exec_lo
                                        ; implicit-def: $sgpr34
	s_delay_alu instid0(VALU_DEP_1)
	v_cmpx_lt_i16_e32 0x7f, v17
	s_xor_b32 s35, exec_lo, s35
	s_cbranch_execnz .LBB6_7839
; %bb.7819:                             ;   in Loop: Header=BB6_7792 Depth=4
	s_or_saveexec_b32 s35, s35
	v_mov_b32_e32 v16, s34
	s_xor_b32 exec_lo, exec_lo, s35
	s_cbranch_execnz .LBB6_7842
.LBB6_7820:                             ;   in Loop: Header=BB6_7792 Depth=4
	s_or_b32 exec_lo, exec_lo, s35
	s_and_saveexec_b32 s34, s13
	s_cbranch_execz .LBB6_7822
.LBB6_7821:                             ;   in Loop: Header=BB6_7792 Depth=4
	v_lshrrev_b16 v19, 2, v14
	s_delay_alu instid0(VALU_DEP_1) | instskip(NEXT) | instid1(VALU_DEP_1)
	v_and_b32_e32 v19, 31, v19
	v_cmp_eq_u32_e32 vcc_lo, 0, v19
	v_and_b32_e32 v16, 3, v14
	s_delay_alu instid0(VALU_DEP_1) | instskip(NEXT) | instid1(VALU_DEP_1)
	v_clz_i32_u32_e32 v17, v16
	v_min_u32_e32 v17, 32, v17
	s_delay_alu instid0(VALU_DEP_1) | instskip(SKIP_1) | instid1(VALU_DEP_1)
	v_subrev_nc_u32_e32 v18, 29, v17
	v_sub_nc_u32_e32 v17, 30, v17
	v_dual_cndmask_b32 v17, v19, v17 :: v_dual_lshlrev_b32 v18, v18, v14
	v_lshlrev_b32_e32 v14, 24, v14
	s_delay_alu instid0(VALU_DEP_2) | instskip(NEXT) | instid1(VALU_DEP_3)
	v_and_b32_e32 v18, 3, v18
	v_lshl_add_u32 v17, v17, 23, 0x37800000
	s_delay_alu instid0(VALU_DEP_3) | instskip(NEXT) | instid1(VALU_DEP_3)
	v_and_b32_e32 v14, 0x80000000, v14
	v_cndmask_b32_e32 v16, v16, v18, vcc_lo
	s_delay_alu instid0(VALU_DEP_1) | instskip(NEXT) | instid1(VALU_DEP_1)
	v_lshlrev_b32_e32 v16, 21, v16
	v_or3_b32 v16, v14, v17, v16
.LBB6_7822:                             ;   in Loop: Header=BB6_7792 Depth=4
	s_or_b32 exec_lo, exec_lo, s34
	s_delay_alu instid0(VALU_DEP_1) | instskip(NEXT) | instid1(VALU_DEP_1)
	v_add_f32_e32 v14, v15, v16
	v_and_b32_e32 v15, 0x7f800000, v14
	s_delay_alu instid0(VALU_DEP_1)
	v_cmp_ne_u32_e32 vcc_lo, 0x7f800000, v15
	v_mov_b32_e32 v15, 0x80
	s_and_saveexec_b32 s34, vcc_lo
	s_cbranch_execz .LBB6_7830
; %bb.7823:                             ;   in Loop: Header=BB6_7792 Depth=4
	v_mov_b32_e32 v15, 0
	s_mov_b32 s35, exec_lo
	v_cmpx_ne_u32_e32 0, v14
	s_cbranch_execz .LBB6_7829
; %bb.7824:                             ;   in Loop: Header=BB6_7792 Depth=4
	v_bfe_u32 v15, v14, 23, 8
	s_delay_alu instid0(VALU_DEP_1) | instskip(SKIP_1) | instid1(VALU_DEP_2)
	v_sub_nc_u32_e32 v17, 0x70, v15
	v_cmp_gt_u32_e32 vcc_lo, 0x71, v15
	v_dual_cndmask_b32 v17, 0, v17 :: v_dual_and_b32 v16, 0x7fffff, v14
	s_delay_alu instid0(VALU_DEP_1) | instskip(SKIP_2) | instid1(VALU_DEP_4)
	v_or_b32_e32 v18, 0x800000, v16
	v_cmp_eq_u32_e32 vcc_lo, 0, v15
	v_add_nc_u32_e32 v15, 0xffffff91, v15
	v_cndmask_b32_e64 v17, v17, 0x6f, vcc_lo
	s_delay_alu instid0(VALU_DEP_4) | instskip(NEXT) | instid1(VALU_DEP_3)
	v_cndmask_b32_e32 v16, v18, v16, vcc_lo
	v_cndmask_b32_e64 v15, v15, 0xffffff92, vcc_lo
	s_delay_alu instid0(VALU_DEP_3) | instskip(NEXT) | instid1(VALU_DEP_3)
	v_lshl_add_u32 v18, 0x200000, v17, -1
	v_lshrrev_b32_e32 v19, v17, v16
	v_lshlrev_b32_e64 v21, v17, 0x100000
	s_delay_alu instid0(VALU_DEP_4) | instskip(NEXT) | instid1(VALU_DEP_4)
	v_add_nc_u32_e32 v17, v17, v15
	v_and_b32_e32 v16, v18, v16
	s_delay_alu instid0(VALU_DEP_4) | instskip(NEXT) | instid1(VALU_DEP_2)
	v_bfe_u32 v20, v19, 21, 1
	v_cmp_eq_u32_e64 s13, v16, v21
	s_delay_alu instid0(VALU_DEP_2) | instskip(NEXT) | instid1(VALU_DEP_1)
	v_add_nc_u32_e32 v18, -1, v20
	v_cndmask_b32_e64 v16, 0, v18, s13
	v_lshrrev_b32_e32 v18, 23, v19
	s_mov_b32 s13, exec_lo
	s_delay_alu instid0(VALU_DEP_2) | instskip(NEXT) | instid1(VALU_DEP_2)
	v_add_nc_u32_e32 v16, v16, v19
	v_xor_b32_e32 v18, 1, v18
	s_delay_alu instid0(VALU_DEP_2) | instskip(NEXT) | instid1(VALU_DEP_1)
	v_and_b32_e32 v15, 0x1fffff, v16
	v_add_nc_u32_e32 v16, v15, v19
                                        ; implicit-def: $vgpr15
	s_delay_alu instid0(VALU_DEP_3)
	v_cmpx_ne_u32_e64 v17, v18
	s_xor_b32 s13, exec_lo, s13
; %bb.7825:                             ;   in Loop: Header=BB6_7792 Depth=4
	s_delay_alu instid0(VALU_DEP_2) | instskip(SKIP_2) | instid1(VALU_DEP_2)
	v_cmp_lt_u32_e32 vcc_lo, 0xffffff, v16
	v_sub_nc_u32_e32 v15, v17, v18
	v_cndmask_b32_e64 v17, 0, 1, vcc_lo
	v_add_co_ci_u32_e32 v15, vcc_lo, 0, v15, vcc_lo
	s_delay_alu instid0(VALU_DEP_2)
	v_lshrrev_b32_e32 v16, v17, v16
; %bb.7826:                             ;   in Loop: Header=BB6_7792 Depth=4
	s_and_not1_saveexec_b32 s13, s13
; %bb.7827:                             ;   in Loop: Header=BB6_7792 Depth=4
	s_delay_alu instid0(VALU_DEP_1)
	v_bfe_u32 v15, v16, 23, 1
; %bb.7828:                             ;   in Loop: Header=BB6_7792 Depth=4
	s_or_b32 exec_lo, exec_lo, s13
	v_lshrrev_b32_e32 v16, 21, v16
	s_delay_alu instid0(VALU_DEP_2) | instskip(SKIP_2) | instid1(VALU_DEP_2)
	v_cmp_gt_i32_e32 vcc_lo, 32, v15
	v_min_i32_e32 v17, 31, v15
	v_lshrrev_b32_e32 v14, 24, v14
	v_dual_cndmask_b32 v16, 3, v16 :: v_dual_lshlrev_b32 v17, 2, v17
	s_delay_alu instid0(VALU_DEP_2) | instskip(NEXT) | instid1(VALU_DEP_2)
	v_and_b32_e32 v14, 0x80, v14
	v_or_b32_e32 v15, v15, v16
	s_delay_alu instid0(VALU_DEP_1) | instskip(SKIP_1) | instid1(VALU_DEP_1)
	v_cmp_ne_u32_e32 vcc_lo, 0, v15
	v_and_b32_e32 v18, 3, v16
	v_or3_b32 v14, v17, v14, v18
	s_delay_alu instid0(VALU_DEP_1)
	v_cndmask_b32_e32 v15, 0, v14, vcc_lo
.LBB6_7829:                             ;   in Loop: Header=BB6_7792 Depth=4
	s_or_b32 exec_lo, exec_lo, s35
.LBB6_7830:                             ;   in Loop: Header=BB6_7792 Depth=4
	s_delay_alu instid0(SALU_CYCLE_1)
	s_or_b32 exec_lo, exec_lo, s34
	v_mov_b32_e32 v14, v186
	flat_store_b8 v[12:13], v15 glc slc dlc
	v_mov_b32_e32 v15, v187
	v_sub_nc_u32_e32 v2, v2, v171
	v_add_co_u32 v8, vcc_lo, v8, v14
	s_delay_alu instid0(VALU_DEP_3) | instskip(SKIP_4) | instid1(VALU_DEP_1)
	v_add_co_ci_u32_e32 v9, vcc_lo, v9, v15, vcc_lo
	v_add_co_u32 v10, vcc_lo, v10, v14
	v_add_co_ci_u32_e32 v11, vcc_lo, v11, v15, vcc_lo
	v_cmp_gt_i32_e32 vcc_lo, 1, v2
	v_add_co_u32 v12, s13, v12, v14
	v_add_co_ci_u32_e64 v13, s13, v13, v15, s13
	s_or_b32 s31, vcc_lo, s31
	s_delay_alu instid0(SALU_CYCLE_1)
	s_and_not1_b32 exec_lo, exec_lo, s31
	s_cbranch_execnz .LBB6_7792
	s_branch .LBB6_7843
.LBB6_7831:                             ;   in Loop: Header=BB6_7792 Depth=4
	s_mov_b32 s13, -1
	s_mov_b32 s36, exec_lo
                                        ; implicit-def: $sgpr34
	v_cmpx_eq_u16_e32 0x80, v14
; %bb.7832:                             ;   in Loop: Header=BB6_7792 Depth=4
	s_mov_b32 s34, 0x7f800001
	s_xor_b32 s13, exec_lo, -1
; %bb.7833:                             ;   in Loop: Header=BB6_7792 Depth=4
	s_or_b32 exec_lo, exec_lo, s36
	s_delay_alu instid0(SALU_CYCLE_1)
	s_and_b32 s13, s13, exec_lo
	s_or_saveexec_b32 s35, s35
	v_mov_b32_e32 v16, s34
	s_xor_b32 exec_lo, exec_lo, s35
	s_cbranch_execz .LBB6_7804
.LBB6_7834:                             ;   in Loop: Header=BB6_7792 Depth=4
	v_cmp_ne_u16_e32 vcc_lo, 0, v14
	v_mov_b32_e32 v16, 0
	s_and_not1_b32 s13, s13, exec_lo
	s_and_b32 vcc_lo, vcc_lo, exec_lo
	s_delay_alu instid0(SALU_CYCLE_1)
	s_or_b32 s13, s13, vcc_lo
	s_or_b32 exec_lo, exec_lo, s35
	s_and_saveexec_b32 s34, s13
	s_cbranch_execnz .LBB6_7805
	s_branch .LBB6_7806
.LBB6_7835:                             ;   in Loop: Header=BB6_7792 Depth=4
	s_mov_b32 s13, -1
	s_mov_b32 s36, exec_lo
                                        ; implicit-def: $sgpr34
	v_cmpx_eq_u16_e32 0x80, v17
; %bb.7836:                             ;   in Loop: Header=BB6_7792 Depth=4
	s_mov_b32 s34, 0x7f800001
	s_xor_b32 s13, exec_lo, -1
; %bb.7837:                             ;   in Loop: Header=BB6_7792 Depth=4
	s_or_b32 exec_lo, exec_lo, s36
	s_delay_alu instid0(SALU_CYCLE_1)
	s_and_b32 s13, s13, exec_lo
                                        ; implicit-def: $vgpr17
	s_or_saveexec_b32 s35, s35
	v_mov_b32_e32 v15, s34
	s_xor_b32 exec_lo, exec_lo, s35
	s_cbranch_execz .LBB6_7816
.LBB6_7838:                             ;   in Loop: Header=BB6_7792 Depth=4
	v_cmp_ne_u16_e32 vcc_lo, 0, v17
	v_mov_b32_e32 v15, 0
	s_and_not1_b32 s13, s13, exec_lo
	s_and_b32 vcc_lo, vcc_lo, exec_lo
	s_delay_alu instid0(SALU_CYCLE_1)
	s_or_b32 s13, s13, vcc_lo
	s_or_b32 exec_lo, exec_lo, s35
	s_and_saveexec_b32 s34, s13
	s_cbranch_execnz .LBB6_7817
	s_branch .LBB6_7818
.LBB6_7839:                             ;   in Loop: Header=BB6_7792 Depth=4
	s_mov_b32 s13, -1
	s_mov_b32 s36, exec_lo
                                        ; implicit-def: $sgpr34
	v_cmpx_eq_u16_e32 0x80, v17
; %bb.7840:                             ;   in Loop: Header=BB6_7792 Depth=4
	s_mov_b32 s34, 0x7f800001
	s_xor_b32 s13, exec_lo, -1
; %bb.7841:                             ;   in Loop: Header=BB6_7792 Depth=4
	s_or_b32 exec_lo, exec_lo, s36
	s_delay_alu instid0(SALU_CYCLE_1)
	s_and_b32 s13, s13, exec_lo
                                        ; implicit-def: $vgpr17
	s_or_saveexec_b32 s35, s35
	v_mov_b32_e32 v16, s34
	s_xor_b32 exec_lo, exec_lo, s35
	s_cbranch_execz .LBB6_7820
.LBB6_7842:                             ;   in Loop: Header=BB6_7792 Depth=4
	v_cmp_ne_u16_e32 vcc_lo, 0, v17
	v_mov_b32_e32 v16, 0
	s_and_not1_b32 s13, s13, exec_lo
	s_and_b32 vcc_lo, vcc_lo, exec_lo
	s_delay_alu instid0(SALU_CYCLE_1)
	s_or_b32 s13, s13, vcc_lo
	s_or_b32 exec_lo, exec_lo, s35
	s_and_saveexec_b32 s34, s13
	s_cbranch_execnz .LBB6_7821
	s_branch .LBB6_7822
.LBB6_7843:                             ;   in Loop: Header=BB6_3175 Depth=3
	s_or_b32 exec_lo, exec_lo, s30
.LBB6_7844:                             ;   in Loop: Header=BB6_3175 Depth=3
	s_delay_alu instid0(SALU_CYCLE_1)
	s_or_b32 exec_lo, exec_lo, s14
.LBB6_7845:                             ;   in Loop: Header=BB6_3175 Depth=3
	s_and_saveexec_b32 s13, s3
	s_cbranch_execz .LBB6_7867
; %bb.7846:                             ;   in Loop: Header=BB6_3175 Depth=3
	s_and_saveexec_b32 s14, s4
	s_delay_alu instid0(SALU_CYCLE_1)
	s_xor_b32 s14, exec_lo, s14
	s_cbranch_execz .LBB6_7864
; %bb.7847:                             ;   in Loop: Header=BB6_3175 Depth=3
	s_and_saveexec_b32 s30, s1
	s_cbranch_execz .LBB6_7863
; %bb.7848:                             ;   in Loop: Header=BB6_3175 Depth=3
	s_mov_b32 s34, exec_lo
	s_mov_b32 s31, exec_lo
	v_mbcnt_lo_u32_b32 v2, s34, 0
	s_waitcnt vmcnt(0) lgkmcnt(0)
	s_waitcnt_vscnt null, 0x0
	buffer_gl1_inv
	buffer_gl0_inv
	v_cmpx_eq_u32_e32 0, v2
	s_cbranch_execz .LBB6_7850
; %bb.7849:                             ;   in Loop: Header=BB6_3175 Depth=3
	s_bcnt1_i32_b32 vcc_lo, s34
	s_delay_alu instid0(SALU_CYCLE_1)
	v_mov_b32_e32 v2, vcc_lo
	ds_add_u64 v0, v[2:3]
	s_cbranch_execz .LBB6_7850
; %bb.18673:
	s_getpc_b64 s[48:49]
.Lpost_getpc363:
	s_add_u32 s48, s48, (.LBB6_18253-.Lpost_getpc363)&4294967295
	s_addc_u32 s49, s49, (.LBB6_18253-.Lpost_getpc363)>>32
	s_setpc_b64 s[48:49]
.LBB6_7850:                             ;   in Loop: Header=BB6_3175 Depth=3
	s_or_b32 exec_lo, exec_lo, s31
	s_cbranch_execz .LBB6_7851
; %bb.18675:
	s_getpc_b64 s[48:49]
.Lpost_getpc364:
	s_add_u32 s48, s48, (.LBB6_18229-.Lpost_getpc364)&4294967295
	s_addc_u32 s49, s49, (.LBB6_18229-.Lpost_getpc364)>>32
	s_setpc_b64 s[48:49]
.LBB6_7851:                             ;   in Loop: Header=BB6_3175 Depth=3
	ds_load_b64 v[8:9], v0
	v_dual_mov_b32 v10, v116 :: v_dual_mov_b32 v11, v117
	s_mov_b32 s31, exec_lo
	s_delay_alu instid0(VALU_DEP_1) | instskip(NEXT) | instid1(VALU_DEP_2)
	v_add_co_u32 v10, vcc_lo, v10, v114
	v_add_co_ci_u32_e32 v11, vcc_lo, 0, v11, vcc_lo
	s_delay_alu instid0(VALU_DEP_1)
	v_dual_mov_b32 v117, v11 :: v_dual_mov_b32 v116, v10
	s_waitcnt lgkmcnt(0)
	v_cmpx_lt_u64_e64 v[8:9], v[10:11]
	s_cbranch_execz .LBB6_7862
; %bb.7852:                             ;   in Loop: Header=BB6_3175 Depth=3
	s_mov_b32 s34, 0
	s_mov_b32 s37, 0
                                        ; implicit-def: $sgpr35
                                        ; implicit-def: $sgpr36
	s_branch .LBB6_7854
.LBB6_7853:                             ;   in Loop: Header=BB6_7854 Depth=4
	s_or_b32 exec_lo, exec_lo, s39
	s_delay_alu instid0(SALU_CYCLE_1) | instskip(NEXT) | instid1(SALU_CYCLE_1)
	s_and_b32 vcc_lo, exec_lo, vcc_lo
	s_or_b32 s34, vcc_lo, s34
	s_and_not1_b32 vcc_lo, s35, exec_lo
	s_and_b32 s35, s36, exec_lo
	s_delay_alu instid0(SALU_CYCLE_1)
	s_or_b32 s35, vcc_lo, s35
	s_and_not1_b32 exec_lo, exec_lo, s34
	s_cbranch_execz .LBB6_7860
.LBB6_7854:                             ;   Parent Loop BB6_51 Depth=1
                                        ;     Parent Loop BB6_3173 Depth=2
                                        ;       Parent Loop BB6_3175 Depth=3
                                        ; =>      This Inner Loop Header: Depth=4
	s_add_i32 s37, s37, 1
                                        ; implicit-def: $sgpr39
	s_delay_alu instid0(SALU_CYCLE_1) | instskip(SKIP_1) | instid1(SALU_CYCLE_1)
	s_cmpk_lg_i32 s37, 0x2710
	s_cselect_b32 s38, -1, 0
	s_and_b32 vcc_lo, exec_lo, s38
	s_cbranch_vccz .LBB6_7858
.LBB6_7855:                             ;   in Loop: Header=BB6_7854 Depth=4
	s_and_not1_b32 s36, s36, exec_lo
	s_and_b32 s39, s39, exec_lo
	s_mov_b32 vcc_lo, -1
	s_or_b32 s36, s36, s39
	s_and_saveexec_b32 s39, s38
	s_cbranch_execz .LBB6_7853
; %bb.7856:                             ;   in Loop: Header=BB6_7854 Depth=4
	s_sleep 1
	s_cbranch_execz .LBB6_7857
; %bb.18677:
	s_getpc_b64 s[48:49]
.Lpost_getpc365:
	s_add_u32 s48, s48, (.LBB6_18311-.Lpost_getpc365)&4294967295
	s_addc_u32 s49, s49, (.LBB6_18311-.Lpost_getpc365)>>32
	s_setpc_b64 s[48:49]
.LBB6_7857:                             ;   in Loop: Header=BB6_7854 Depth=4
	ds_load_b64 v[8:9], v0
	s_and_not1_b32 s36, s36, exec_lo
	s_waitcnt lgkmcnt(0)
	v_cmp_ge_u64_e32 vcc_lo, v[8:9], v[116:117]
	s_or_not1_b32 vcc_lo, vcc_lo, exec_lo
	s_branch .LBB6_7853
.LBB6_7858:                             ;   in Loop: Header=BB6_7854 Depth=4
	s_cbranch_execz .LBB6_7859
; %bb.18679:
	s_getpc_b64 s[48:49]
.Lpost_getpc366:
	s_add_u32 s48, s48, (.LBB6_18325-.Lpost_getpc366)&4294967295
	s_addc_u32 s49, s49, (.LBB6_18325-.Lpost_getpc366)>>32
	s_setpc_b64 s[48:49]
.LBB6_7859:                             ;   in Loop: Header=BB6_7854 Depth=4
	ds_load_b64 v[8:9], v0
	s_and_not1_b32 s38, s38, exec_lo
	s_mov_b32 s37, 0
	s_mov_b32 s39, -1
	s_waitcnt lgkmcnt(0)
	flat_load_b32 v2, v[8:9] glc
	s_waitcnt vmcnt(0) lgkmcnt(0)
	buffer_gl1_inv
	buffer_gl0_inv
	v_cmp_eq_u32_e32 vcc_lo, 0, v2
	s_and_b32 vcc_lo, vcc_lo, exec_lo
	s_delay_alu instid0(SALU_CYCLE_1)
	s_or_b32 s38, s38, vcc_lo
	s_branch .LBB6_7855
.LBB6_7860:                             ;   in Loop: Header=BB6_3175 Depth=3
	s_or_b32 exec_lo, exec_lo, s34
	s_and_saveexec_b32 vcc_lo, s35
	s_delay_alu instid0(SALU_CYCLE_1)
	s_xor_b32 vcc_lo, exec_lo, vcc_lo
	s_cbranch_execz .LBB6_7862
; %bb.7861:                             ;   in Loop: Header=BB6_3175 Depth=3
	v_mov_b32_e32 v2, 1
	ds_store_b32 v0, v2
	s_cbranch_execz .LBB6_7862
; %bb.18681:
	s_getpc_b64 s[48:49]
.Lpost_getpc367:
	s_add_u32 s48, s48, (.LBB6_18461-.Lpost_getpc367)&4294967295
	s_addc_u32 s49, s49, (.LBB6_18461-.Lpost_getpc367)>>32
	s_setpc_b64 s[48:49]
.LBB6_7862:                             ;   in Loop: Header=BB6_3175 Depth=3
	s_or_b32 exec_lo, exec_lo, s31
	;;#ASMSTART
	s_wakeup
	;;#ASMEND
.LBB6_7863:                             ;   in Loop: Header=BB6_3175 Depth=3
	s_or_b32 exec_lo, exec_lo, s30
.LBB6_7864:                             ;   in Loop: Header=BB6_3175 Depth=3
	s_and_not1_saveexec_b32 s14, s14
	s_cbranch_execz .LBB6_7866
; %bb.7865:                             ;   in Loop: Header=BB6_3175 Depth=3
	s_waitcnt vmcnt(0) lgkmcnt(0)
	s_waitcnt_vscnt null, 0x0
	buffer_gl1_inv
	buffer_gl0_inv
	s_barrier
.LBB6_7866:                             ;   in Loop: Header=BB6_3175 Depth=3
	s_or_b32 exec_lo, exec_lo, s14
.LBB6_7867:                             ;   in Loop: Header=BB6_3175 Depth=3
	s_delay_alu instid0(SALU_CYCLE_1) | instskip(SKIP_1) | instid1(SALU_CYCLE_1)
	s_or_b32 exec_lo, exec_lo, s13
                                        ; implicit-def: $vgpr2
	s_and_saveexec_b32 s13, s7
	s_xor_b32 s14, exec_lo, s13
	s_cbranch_execz .LBB6_7871
; %bb.7868:                             ;   in Loop: Header=BB6_3175 Depth=3
	v_and_b32_e32 v2, 16, v30
	v_cmp_lt_i32_e32 vcc_lo, 0, v69
	s_delay_alu instid0(VALU_DEP_2) | instskip(SKIP_1) | instid1(VALU_DEP_2)
	v_cmp_ne_u32_e64 s13, 0, v2
	v_and_b32_e32 v2, 16, v30
	s_and_b32 vcc_lo, s13, vcc_lo
	s_delay_alu instid0(SALU_CYCLE_1)
	s_and_saveexec_b32 s13, vcc_lo
	s_cbranch_execz .LBB6_7870
; %bb.7869:                             ;   in Loop: Header=BB6_3175 Depth=3
	v_mov_b32_e32 v2, 1
	s_waitcnt vmcnt(0) lgkmcnt(0)
	s_waitcnt_vscnt null, 0x0
	buffer_gl1_inv
	buffer_gl0_inv
.LBB6_7870:                             ;   in Loop: Header=BB6_3175 Depth=3
	s_or_b32 exec_lo, exec_lo, s13
.LBB6_7871:                             ;   in Loop: Header=BB6_3175 Depth=3
	s_and_not1_saveexec_b32 s13, s14
	s_cbranch_execz .LBB6_7893
; %bb.7872:                             ;   in Loop: Header=BB6_3175 Depth=3
	s_and_saveexec_b32 s14, s4
	s_delay_alu instid0(SALU_CYCLE_1)
	s_xor_b32 s14, exec_lo, s14
	s_cbranch_execz .LBB6_7890
; %bb.7873:                             ;   in Loop: Header=BB6_3175 Depth=3
	s_and_saveexec_b32 s30, s1
	s_cbranch_execz .LBB6_7889
; %bb.7874:                             ;   in Loop: Header=BB6_3175 Depth=3
	s_mov_b32 s34, exec_lo
	s_mov_b32 s31, exec_lo
	v_mbcnt_lo_u32_b32 v2, s34, 0
	;;#ASMSTART
	s_waitcnt lgkmcnt(0) vmcnt(0)
	;;#ASMEND
	s_delay_alu instid0(VALU_DEP_1)
	v_cmpx_eq_u32_e32 0, v2
	s_cbranch_execz .LBB6_7876
; %bb.7875:                             ;   in Loop: Header=BB6_3175 Depth=3
	s_bcnt1_i32_b32 vcc_lo, s34
	s_delay_alu instid0(SALU_CYCLE_1)
	v_mov_b32_e32 v2, vcc_lo
	ds_add_u64 v0, v[2:3]
	s_cbranch_execz .LBB6_7876
; %bb.18683:
	s_getpc_b64 s[48:49]
.Lpost_getpc368:
	s_add_u32 s48, s48, (.LBB6_18263-.Lpost_getpc368)&4294967295
	s_addc_u32 s49, s49, (.LBB6_18263-.Lpost_getpc368)>>32
	s_setpc_b64 s[48:49]
.LBB6_7876:                             ;   in Loop: Header=BB6_3175 Depth=3
	s_or_b32 exec_lo, exec_lo, s31
	s_cbranch_execz .LBB6_7877
; %bb.18685:
	s_getpc_b64 s[48:49]
.Lpost_getpc369:
	s_add_u32 s48, s48, (.LBB6_18239-.Lpost_getpc369)&4294967295
	s_addc_u32 s49, s49, (.LBB6_18239-.Lpost_getpc369)>>32
	s_setpc_b64 s[48:49]
.LBB6_7877:                             ;   in Loop: Header=BB6_3175 Depth=3
	ds_load_b64 v[8:9], v0
	v_dual_mov_b32 v10, v116 :: v_dual_mov_b32 v11, v117
	s_mov_b32 s31, exec_lo
	s_delay_alu instid0(VALU_DEP_1) | instskip(NEXT) | instid1(VALU_DEP_2)
	v_add_co_u32 v10, vcc_lo, v10, v114
	v_add_co_ci_u32_e32 v11, vcc_lo, 0, v11, vcc_lo
	s_delay_alu instid0(VALU_DEP_1)
	v_dual_mov_b32 v117, v11 :: v_dual_mov_b32 v116, v10
	s_waitcnt lgkmcnt(0)
	v_cmpx_lt_u64_e64 v[8:9], v[10:11]
	s_cbranch_execz .LBB6_7888
; %bb.7878:                             ;   in Loop: Header=BB6_3175 Depth=3
	s_mov_b32 s34, 0
	s_mov_b32 s37, 0
                                        ; implicit-def: $sgpr35
                                        ; implicit-def: $sgpr36
	s_branch .LBB6_7880
.LBB6_7879:                             ;   in Loop: Header=BB6_7880 Depth=4
	s_or_b32 exec_lo, exec_lo, s39
	s_delay_alu instid0(SALU_CYCLE_1) | instskip(NEXT) | instid1(SALU_CYCLE_1)
	s_and_b32 vcc_lo, exec_lo, vcc_lo
	s_or_b32 s34, vcc_lo, s34
	s_and_not1_b32 vcc_lo, s35, exec_lo
	s_and_b32 s35, s36, exec_lo
	s_delay_alu instid0(SALU_CYCLE_1)
	s_or_b32 s35, vcc_lo, s35
	s_and_not1_b32 exec_lo, exec_lo, s34
	s_cbranch_execz .LBB6_7886
.LBB6_7880:                             ;   Parent Loop BB6_51 Depth=1
                                        ;     Parent Loop BB6_3173 Depth=2
                                        ;       Parent Loop BB6_3175 Depth=3
                                        ; =>      This Inner Loop Header: Depth=4
	s_add_i32 s37, s37, 1
                                        ; implicit-def: $sgpr39
	s_delay_alu instid0(SALU_CYCLE_1) | instskip(SKIP_1) | instid1(SALU_CYCLE_1)
	s_cmpk_lg_i32 s37, 0x2710
	s_cselect_b32 s38, -1, 0
	s_and_b32 vcc_lo, exec_lo, s38
	s_cbranch_vccz .LBB6_7884
.LBB6_7881:                             ;   in Loop: Header=BB6_7880 Depth=4
	s_and_not1_b32 s36, s36, exec_lo
	s_and_b32 s39, s39, exec_lo
	s_mov_b32 vcc_lo, -1
	s_or_b32 s36, s36, s39
	s_and_saveexec_b32 s39, s38
	s_cbranch_execz .LBB6_7879
; %bb.7882:                             ;   in Loop: Header=BB6_7880 Depth=4
	s_sleep 1
	s_cbranch_execz .LBB6_7883
; %bb.18687:
	s_getpc_b64 s[48:49]
.Lpost_getpc370:
	s_add_u32 s48, s48, (.LBB6_18317-.Lpost_getpc370)&4294967295
	s_addc_u32 s49, s49, (.LBB6_18317-.Lpost_getpc370)>>32
	s_setpc_b64 s[48:49]
.LBB6_7883:                             ;   in Loop: Header=BB6_7880 Depth=4
	ds_load_b64 v[8:9], v0
	s_and_not1_b32 s36, s36, exec_lo
	s_waitcnt lgkmcnt(0)
	v_cmp_ge_u64_e32 vcc_lo, v[8:9], v[116:117]
	s_or_not1_b32 vcc_lo, vcc_lo, exec_lo
	s_branch .LBB6_7879
.LBB6_7884:                             ;   in Loop: Header=BB6_7880 Depth=4
	s_cbranch_execz .LBB6_7885
; %bb.18689:
	s_getpc_b64 s[48:49]
.Lpost_getpc371:
	s_add_u32 s48, s48, (.LBB6_18339-.Lpost_getpc371)&4294967295
	s_addc_u32 s49, s49, (.LBB6_18339-.Lpost_getpc371)>>32
	s_setpc_b64 s[48:49]
.LBB6_7885:                             ;   in Loop: Header=BB6_7880 Depth=4
	ds_load_b64 v[8:9], v0
	s_and_not1_b32 s38, s38, exec_lo
	s_mov_b32 s37, 0
	s_mov_b32 s39, -1
	s_waitcnt vmcnt(0) lgkmcnt(0)
	s_waitcnt_vscnt null, 0x0
	flat_load_b32 v2, v[8:9] glc
	s_waitcnt vmcnt(0) lgkmcnt(0)
	buffer_gl1_inv
	buffer_gl0_inv
	v_cmp_eq_u32_e32 vcc_lo, 0, v2
	s_and_b32 vcc_lo, vcc_lo, exec_lo
	s_delay_alu instid0(SALU_CYCLE_1)
	s_or_b32 s38, s38, vcc_lo
	s_branch .LBB6_7881
.LBB6_7886:                             ;   in Loop: Header=BB6_3175 Depth=3
	s_or_b32 exec_lo, exec_lo, s34
	s_and_saveexec_b32 vcc_lo, s35
	s_delay_alu instid0(SALU_CYCLE_1)
	s_xor_b32 vcc_lo, exec_lo, vcc_lo
	s_cbranch_execz .LBB6_7888
; %bb.7887:                             ;   in Loop: Header=BB6_3175 Depth=3
	v_mov_b32_e32 v2, 1
	ds_store_b32 v0, v2
	s_cbranch_execz .LBB6_7888
; %bb.18691:
	s_getpc_b64 s[48:49]
.Lpost_getpc372:
	s_add_u32 s48, s48, (.LBB6_18465-.Lpost_getpc372)&4294967295
	s_addc_u32 s49, s49, (.LBB6_18465-.Lpost_getpc372)>>32
	s_setpc_b64 s[48:49]
.LBB6_7888:                             ;   in Loop: Header=BB6_3175 Depth=3
	s_or_b32 exec_lo, exec_lo, s31
	;;#ASMSTART
	s_wakeup
	;;#ASMEND
.LBB6_7889:                             ;   in Loop: Header=BB6_3175 Depth=3
	s_or_b32 exec_lo, exec_lo, s30
.LBB6_7890:                             ;   in Loop: Header=BB6_3175 Depth=3
	s_and_not1_saveexec_b32 s14, s14
	s_cbranch_execz .LBB6_7892
; %bb.7891:                             ;   in Loop: Header=BB6_3175 Depth=3
	;;#ASMSTART
	s_waitcnt lgkmcnt(0) vmcnt(0)
	;;#ASMEND
	s_waitcnt vmcnt(0) lgkmcnt(0)
	s_waitcnt_vscnt null, 0x0
	s_barrier
.LBB6_7892:                             ;   in Loop: Header=BB6_3175 Depth=3
	s_or_b32 exec_lo, exec_lo, s14
	v_and_b32_e32 v2, 16, v30
.LBB6_7893:                             ;   in Loop: Header=BB6_3175 Depth=3
	s_or_b32 exec_lo, exec_lo, s13
	s_delay_alu instid0(VALU_DEP_1) | instskip(SKIP_1) | instid1(SALU_CYCLE_1)
	v_cmp_ne_u32_e32 vcc_lo, 0, v2
	s_xor_b32 s13, s10, -1
	s_and_b32 s14, vcc_lo, s13
	s_delay_alu instid0(SALU_CYCLE_1)
	s_and_saveexec_b32 s13, s14
	s_cbranch_execz .LBB6_7895
; %bb.7894:                             ;   in Loop: Header=BB6_3175 Depth=3
	v_mov_b32_e32 v2, 1
	s_waitcnt vmcnt(0) lgkmcnt(0)
	s_waitcnt_vscnt null, 0x0
	flat_store_b32 v[112:113], v2
.LBB6_7895:                             ;   in Loop: Header=BB6_3175 Depth=3
	s_or_b32 exec_lo, exec_lo, s13
	v_and_b32_e32 v2, 48, v30
	s_mov_b32 s13, exec_lo
	s_delay_alu instid0(VALU_DEP_1)
	v_cmpx_ne_u32_e32 0, v2
	s_cbranch_execz .LBB6_7897
; %bb.7896:                             ;   in Loop: Header=BB6_3175 Depth=3
	v_add_co_u32 v34, vcc_lo, v34, 2
	v_add_co_ci_u32_e32 v35, vcc_lo, 0, v35, vcc_lo
	s_waitcnt vmcnt(0) lgkmcnt(0)
	s_waitcnt_vscnt null, 0x0
	flat_store_b64 v[32:33], v[34:35]
.LBB6_7897:                             ;   in Loop: Header=BB6_3175 Depth=3
	s_or_b32 exec_lo, exec_lo, s13
	v_add_nc_u32_e32 v148, v68, v148
	v_readlane_b32 s13, v190, 10
	v_readlane_b32 s36, v190, 4
	;; [unrolled: 1-line block ×4, first 2 shown]
	v_cmp_ge_i32_e32 vcc_lo, v148, v147
	s_xor_b32 s13, s13, -1
	v_readlane_b32 s39, v190, 1
	s_mov_b32 s40, 2
	s_mov_b32 s34, s5
	s_or_b32 s13, s13, vcc_lo
	s_mov_b32 s31, s6
	s_and_b32 s14, exec_lo, s13
	v_readlane_b32 s13, v190, 11
	s_or_b32 s17, s14, s17
	v_readlane_b32 s14, v190, 5
	s_mov_b32 s30, s2
	s_mov_b32 s35, s29
	v_mov_b32_e32 v2, s13
	s_mov_b32 s13, 0
	s_and_not1_b32 exec_lo, exec_lo, s17
	s_cbranch_execz .LBB6_7898
; %bb.18693:                            ;   in Loop: Header=BB6_3175 Depth=3
	s_getpc_b64 s[48:49]
.Lpost_getpc373:
	s_add_u32 s48, s48, (.LBB6_3175-.Lpost_getpc373)&4294967295
	s_addc_u32 s49, s49, (.LBB6_3175-.Lpost_getpc373)>>32
	s_setpc_b64 s[48:49]
.LBB6_7898:                             ;   in Loop: Header=BB6_3173 Depth=2
	s_or_b32 exec_lo, exec_lo, s17
.LBB6_7899:                             ;   in Loop: Header=BB6_3173 Depth=2
	s_delay_alu instid0(SALU_CYCLE_1) | instskip(NEXT) | instid1(SALU_CYCLE_1)
	s_or_b32 exec_lo, exec_lo, s16
	s_mov_b32 s2, exec_lo
	v_cmpx_gt_i32_e32 2, v2
	s_cbranch_execz .LBB6_7983
; %bb.7900:                             ;   in Loop: Header=BB6_3173 Depth=2
	v_cmp_eq_u32_e64 s13, 0, v2
	s_mov_b32 s5, 0
.LBB6_7901:                             ;   Parent Loop BB6_51 Depth=1
                                        ;     Parent Loop BB6_3173 Depth=2
                                        ; =>    This Loop Header: Depth=3
                                        ;         Child Loop BB6_7907 Depth 4
                                        ;         Child Loop BB6_7937 Depth 4
	;; [unrolled: 1-line block ×3, first 2 shown]
	v_and_b32_e32 v2, 12, v30
	s_mov_b32 s16, -1
	s_mov_b32 s6, exec_lo
	s_delay_alu instid0(VALU_DEP_1)
	v_cmpx_ne_u32_e32 0, v2
	s_cbranch_execz .LBB6_7915
; %bb.7902:                             ;   in Loop: Header=BB6_7901 Depth=3
	v_dual_mov_b32 v13, v118 :: v_dual_and_b32 v2, 8, v30
	v_mov_b32_e32 v14, v119
	s_delay_alu instid0(VALU_DEP_2) | instskip(SKIP_3) | instid1(VALU_DEP_1)
	v_add_co_u32 v10, vcc_lo, v118, v2
	v_add_co_ci_u32_e32 v11, vcc_lo, 0, v119, vcc_lo
	v_add_co_u32 v8, vcc_lo, v34, 2
	v_add_co_ci_u32_e32 v9, vcc_lo, 0, v35, vcc_lo
	v_cmp_lt_u64_e32 vcc_lo, v[10:11], v[8:9]
	v_mov_b32_e32 v10, 1
	s_and_saveexec_b32 s16, vcc_lo
	s_cbranch_execz .LBB6_7914
; %bb.7903:                             ;   in Loop: Header=BB6_7901 Depth=3
	v_mov_b32_e32 v10, 0
	s_mov_b32 s17, 0
                                        ; implicit-def: $sgpr29
	s_branch .LBB6_7907
.LBB6_7904:                             ;   in Loop: Header=BB6_7907 Depth=4
	s_or_b32 exec_lo, exec_lo, s43
	v_mov_b32_e32 v11, 0
	s_or_not1_b32 s42, s42, exec_lo
.LBB6_7905:                             ;   in Loop: Header=BB6_7907 Depth=4
	s_or_b32 exec_lo, exec_lo, s41
	s_delay_alu instid0(VALU_DEP_1) | instskip(SKIP_2) | instid1(SALU_CYCLE_1)
	v_mov_b32_e32 v10, v11
	s_and_not1_b32 s29, s29, exec_lo
	s_and_b32 vcc_lo, s42, exec_lo
	s_or_b32 s29, s29, vcc_lo
.LBB6_7906:                             ;   in Loop: Header=BB6_7907 Depth=4
	s_or_b32 exec_lo, exec_lo, s40
	s_waitcnt vmcnt(0) lgkmcnt(0)
	v_add_co_u32 v11, vcc_lo, v13, v2
	v_add_co_ci_u32_e32 v12, vcc_lo, 0, v14, vcc_lo
	s_xor_b32 s40, s29, -1
	s_delay_alu instid0(VALU_DEP_1) | instskip(SKIP_1) | instid1(SALU_CYCLE_1)
	v_cmp_ge_u64_e32 vcc_lo, v[11:12], v[8:9]
	s_or_b32 vcc_lo, s40, vcc_lo
	s_and_b32 vcc_lo, exec_lo, vcc_lo
	s_delay_alu instid0(SALU_CYCLE_1) | instskip(NEXT) | instid1(SALU_CYCLE_1)
	s_or_b32 s17, vcc_lo, s17
	s_and_not1_b32 exec_lo, exec_lo, s17
	s_cbranch_execz .LBB6_7913
.LBB6_7907:                             ;   Parent Loop BB6_51 Depth=1
                                        ;     Parent Loop BB6_3173 Depth=2
                                        ;       Parent Loop BB6_7901 Depth=3
                                        ; =>      This Inner Loop Header: Depth=4
	s_sleep 1
	flat_load_b64 v[13:14], v[32:33] glc
	v_and_b32_e32 v11, 64, v30
	s_and_not1_b32 s29, s29, exec_lo
	s_mov_b32 s40, exec_lo
	s_delay_alu instid0(VALU_DEP_1)
	v_cmpx_eq_u32_e32 0, v11
	s_cbranch_execz .LBB6_7906
; %bb.7908:                             ;   in Loop: Header=BB6_7907 Depth=4
	v_add_nc_u32_e32 v11, 1, v10
	s_mov_b32 s42, -1
	s_mov_b32 s41, exec_lo
	v_cmpx_lt_i32_e32 0x270e, v10
	s_cbranch_execz .LBB6_7905
; %bb.7909:                             ;   in Loop: Header=BB6_7907 Depth=4
	s_cbranch_execz .LBB6_7910
; %bb.18695:
	s_getpc_b64 s[48:49]
.Lpost_getpc374:
	s_add_u32 s48, s48, (.LBB6_18047-.Lpost_getpc374)&4294967295
	s_addc_u32 s49, s49, (.LBB6_18047-.Lpost_getpc374)>>32
	s_setpc_b64 s[48:49]
.LBB6_7910:                             ;   in Loop: Header=BB6_7907 Depth=4
	ds_load_b64 v[10:11], v0
	s_mov_b32 s43, exec_lo
	s_waitcnt vmcnt(0) lgkmcnt(0)
	s_waitcnt_vscnt null, 0x0
	flat_load_b32 v10, v[10:11] glc
	s_waitcnt vmcnt(0) lgkmcnt(0)
	buffer_gl1_inv
	buffer_gl0_inv
	v_cmpx_ne_u32_e32 0, v10
	s_cbranch_execz .LBB6_7904
; %bb.7911:                             ;   in Loop: Header=BB6_7907 Depth=4
	ds_store_b32 v0, v10
	s_cbranch_execz .LBB6_7912
; %bb.18697:
	s_getpc_b64 s[48:49]
.Lpost_getpc375:
	s_add_u32 s48, s48, (.LBB6_18097-.Lpost_getpc375)&4294967295
	s_addc_u32 s49, s49, (.LBB6_18097-.Lpost_getpc375)>>32
	s_setpc_b64 s[48:49]
.LBB6_7912:                             ;   in Loop: Header=BB6_7907 Depth=4
	v_or_b32_e32 v30, 64, v30
	s_xor_b32 s42, exec_lo, -1
	s_branch .LBB6_7904
.LBB6_7913:                             ;   in Loop: Header=BB6_7901 Depth=3
	s_or_b32 exec_lo, exec_lo, s17
	v_and_b32_e32 v10, 12, v30
.LBB6_7914:                             ;   in Loop: Header=BB6_7901 Depth=3
	s_or_b32 exec_lo, exec_lo, s16
	s_delay_alu instid0(VALU_DEP_1)
	v_cmp_eq_u32_e32 vcc_lo, 0, v10
	v_dual_mov_b32 v119, v14 :: v_dual_mov_b32 v118, v13
	;;#ASMSTART
	s_wakeup
	;;#ASMEND
	s_or_not1_b32 s16, vcc_lo, exec_lo
.LBB6_7915:                             ;   in Loop: Header=BB6_7901 Depth=3
	s_or_b32 exec_lo, exec_lo, s6
	v_sub_nc_u32_e32 v2, v147, v148
	s_xor_b32 s6, s13, -1
	s_delay_alu instid0(SALU_CYCLE_1) | instskip(NEXT) | instid1(SALU_CYCLE_1)
	s_and_b32 s6, exec_lo, s6
	s_or_b32 s5, s6, s5
	s_delay_alu instid0(VALU_DEP_1) | instskip(SKIP_1) | instid1(SALU_CYCLE_1)
	v_min_i32_e32 v68, v68, v2
	s_xor_b32 s13, s16, -1
	s_and_saveexec_b32 s6, s13
	s_cbranch_execz .LBB6_7928
; %bb.7916:                             ;   in Loop: Header=BB6_7901 Depth=3
	v_and_b32_e32 v2, 0x108, v30
	s_delay_alu instid0(VALU_DEP_1) | instskip(SKIP_2) | instid1(SALU_CYCLE_1)
	v_cmp_ne_u32_e32 vcc_lo, 0x108, v2
	v_and_b32_e32 v2, 7, v34
	s_and_saveexec_b32 s13, vcc_lo
	s_xor_b32 s13, exec_lo, s13
	s_delay_alu instid0(SALU_CYCLE_1)
	s_and_not1_saveexec_b32 s13, s13
	s_cbranch_execz .LBB6_7918
; %bb.7917:                             ;   in Loop: Header=BB6_7901 Depth=3
	v_mad_u64_u32 v[8:9], null, v2, 24, v[6:7]
	v_ashrrev_i32_e32 v69, 31, v68
	flat_store_b64 v[8:9], v[68:69] offset:8
.LBB6_7918:                             ;   in Loop: Header=BB6_7901 Depth=3
	s_or_b32 exec_lo, exec_lo, s13
	v_and_b32_e32 v8, 0x100, v30
	s_mov_b32 s13, -1
	s_delay_alu instid0(VALU_DEP_1)
	v_cmp_ne_u32_e32 vcc_lo, 0, v8
                                        ; implicit-def: $vgpr8_vgpr9
	s_and_saveexec_b32 s16, vcc_lo
	s_cbranch_execnz .LBB6_7921
; %bb.7919:                             ;   in Loop: Header=BB6_7901 Depth=3
	s_or_b32 exec_lo, exec_lo, s16
	s_and_saveexec_b32 s16, s13
	s_cbranch_execnz .LBB6_7924
.LBB6_7920:                             ;   in Loop: Header=BB6_7901 Depth=3
	s_or_b32 exec_lo, exec_lo, s16
	s_cbranch_execz .LBB6_7925
; %bb.18699:
	s_getpc_b64 s[48:49]
.Lpost_getpc376:
	s_add_u32 s48, s48, (.LBB6_18039-.Lpost_getpc376)&4294967295
	s_addc_u32 s49, s49, (.LBB6_18039-.Lpost_getpc376)>>32
	s_setpc_b64 s[48:49]
.LBB6_7921:                             ;   in Loop: Header=BB6_7901 Depth=3
	v_mad_u64_u32 v[10:11], null, v2, 24, v[6:7]
	s_delay_alu instid0(VALU_DEP_1) | instskip(NEXT) | instid1(VALU_DEP_1)
	v_mov_b32_e32 v8, v11
	v_mad_u64_u32 v[11:12], null, v3, 24, v[8:9]
	flat_load_b32 v8, v[10:11]
	s_waitcnt vmcnt(0) lgkmcnt(0)
	v_cmp_ne_u32_e32 vcc_lo, 1, v8
	v_cmp_eq_u32_e64 s13, 1, v8
                                        ; implicit-def: $vgpr8_vgpr9
	s_delay_alu instid0(VALU_DEP_1)
	s_and_saveexec_b32 s17, s13
	s_cbranch_execz .LBB6_7923
; %bb.7922:                             ;   in Loop: Header=BB6_7901 Depth=3
	flat_load_b32 v8, v[10:11] offset:4 glc
	s_waitcnt vmcnt(0) lgkmcnt(0)
	v_ashrrev_i32_e32 v9, 31, v8
.LBB6_7923:                             ;   in Loop: Header=BB6_7901 Depth=3
	s_or_b32 exec_lo, exec_lo, s17
	s_delay_alu instid0(SALU_CYCLE_1)
	s_or_not1_b32 s13, vcc_lo, exec_lo
	s_or_b32 exec_lo, exec_lo, s16
	s_and_saveexec_b32 s16, s13
	s_cbranch_execz .LBB6_7920
.LBB6_7924:                             ;   in Loop: Header=BB6_7901 Depth=3
	v_mov_b32_e32 v12, v97
	v_mul_lo_u32 v11, v2, v102
	s_delay_alu instid0(VALU_DEP_2) | instskip(SKIP_1) | instid1(VALU_DEP_1)
	v_mul_lo_u32 v10, v3, v12
	v_mad_u64_u32 v[8:9], null, v2, v12, 0
	v_add3_u32 v9, v9, v11, v10
	s_or_b32 exec_lo, exec_lo, s16
	s_cbranch_execz .LBB6_7925
; %bb.18701:
	s_getpc_b64 s[48:49]
.Lpost_getpc377:
	s_add_u32 s48, s48, (.LBB6_18039-.Lpost_getpc377)&4294967295
	s_addc_u32 s49, s49, (.LBB6_18039-.Lpost_getpc377)>>32
	s_setpc_b64 s[48:49]
.LBB6_7925:                             ;   in Loop: Header=BB6_7901 Depth=3
	v_mov_b32_e32 v10, v100
	v_dual_mov_b32 v11, v101 :: v_dual_and_b32 v2, 0x2000, v30
	s_mov_b32 s13, exec_lo
	s_delay_alu instid0(VALU_DEP_2) | instskip(NEXT) | instid1(VALU_DEP_2)
	v_add_co_u32 v8, vcc_lo, v10, v8
	v_add_co_ci_u32_e32 v9, vcc_lo, v11, v9, vcc_lo
	ds_store_b64 v0, v[8:9]
	v_cmpx_ne_u32_e32 0, v2
	s_cbranch_execz .LBB6_7927
; %bb.7926:                             ;   in Loop: Header=BB6_7901 Depth=3
	ds_load_b64 v[8:9], v0 offset:584
	s_waitcnt lgkmcnt(0)
	v_add_co_u32 v8, vcc_lo, v8, 1
	v_add_co_ci_u32_e32 v9, vcc_lo, 0, v9, vcc_lo
	ds_store_b64 v0, v[8:9] offset:584
.LBB6_7927:                             ;   in Loop: Header=BB6_7901 Depth=3
	s_or_b32 exec_lo, exec_lo, s13
	v_add_co_u32 v34, vcc_lo, v34, 2
	v_add_co_ci_u32_e32 v35, vcc_lo, 0, v35, vcc_lo
.LBB6_7928:                             ;   in Loop: Header=BB6_7901 Depth=3
	s_or_b32 exec_lo, exec_lo, s6
	s_and_saveexec_b32 s6, s3
	s_cbranch_execz .LBB6_7950
; %bb.7929:                             ;   in Loop: Header=BB6_7901 Depth=3
	s_and_saveexec_b32 s13, s4
	s_delay_alu instid0(SALU_CYCLE_1)
	s_xor_b32 s13, exec_lo, s13
	s_cbranch_execz .LBB6_7947
; %bb.7930:                             ;   in Loop: Header=BB6_7901 Depth=3
	s_and_saveexec_b32 s16, s1
	s_cbranch_execz .LBB6_7946
; %bb.7931:                             ;   in Loop: Header=BB6_7901 Depth=3
	s_mov_b32 s29, exec_lo
	s_mov_b32 s17, exec_lo
	v_mbcnt_lo_u32_b32 v2, s29, 0
	s_waitcnt vmcnt(0) lgkmcnt(0)
	s_waitcnt_vscnt null, 0x0
	buffer_gl1_inv
	buffer_gl0_inv
	v_cmpx_eq_u32_e32 0, v2
	s_cbranch_execz .LBB6_7933
; %bb.7932:                             ;   in Loop: Header=BB6_7901 Depth=3
	s_bcnt1_i32_b32 s29, s29
	s_delay_alu instid0(SALU_CYCLE_1)
	v_mov_b32_e32 v2, s29
	ds_add_u64 v0, v[2:3]
	s_cbranch_execz .LBB6_7933
; %bb.18703:
	s_getpc_b64 s[48:49]
.Lpost_getpc378:
	s_add_u32 s48, s48, (.LBB6_18149-.Lpost_getpc378)&4294967295
	s_addc_u32 s49, s49, (.LBB6_18149-.Lpost_getpc378)>>32
	s_setpc_b64 s[48:49]
.LBB6_7933:                             ;   in Loop: Header=BB6_7901 Depth=3
	s_or_b32 exec_lo, exec_lo, s17
	s_cbranch_execz .LBB6_7934
; %bb.18705:
	s_getpc_b64 s[48:49]
.Lpost_getpc379:
	s_add_u32 s48, s48, (.LBB6_18117-.Lpost_getpc379)&4294967295
	s_addc_u32 s49, s49, (.LBB6_18117-.Lpost_getpc379)>>32
	s_setpc_b64 s[48:49]
.LBB6_7934:                             ;   in Loop: Header=BB6_7901 Depth=3
	ds_load_b64 v[8:9], v0
	v_dual_mov_b32 v10, v116 :: v_dual_mov_b32 v11, v117
	s_mov_b32 s17, exec_lo
	s_delay_alu instid0(VALU_DEP_1) | instskip(NEXT) | instid1(VALU_DEP_2)
	v_add_co_u32 v10, vcc_lo, v10, v114
	v_add_co_ci_u32_e32 v11, vcc_lo, 0, v11, vcc_lo
	s_delay_alu instid0(VALU_DEP_1)
	v_dual_mov_b32 v117, v11 :: v_dual_mov_b32 v116, v10
	s_waitcnt lgkmcnt(0)
	v_cmpx_lt_u64_e64 v[8:9], v[10:11]
	s_cbranch_execz .LBB6_7945
; %bb.7935:                             ;   in Loop: Header=BB6_7901 Depth=3
	s_mov_b32 s29, 0
	s_mov_b32 s42, 0
                                        ; implicit-def: $sgpr40
                                        ; implicit-def: $sgpr41
	s_branch .LBB6_7937
.LBB6_7936:                             ;   in Loop: Header=BB6_7937 Depth=4
	s_or_b32 exec_lo, exec_lo, s44
	s_delay_alu instid0(SALU_CYCLE_1) | instskip(NEXT) | instid1(SALU_CYCLE_1)
	s_and_b32 vcc_lo, exec_lo, vcc_lo
	s_or_b32 s29, vcc_lo, s29
	s_and_not1_b32 vcc_lo, s40, exec_lo
	s_and_b32 s40, s41, exec_lo
	s_delay_alu instid0(SALU_CYCLE_1)
	s_or_b32 s40, vcc_lo, s40
	s_and_not1_b32 exec_lo, exec_lo, s29
	s_cbranch_execz .LBB6_7943
.LBB6_7937:                             ;   Parent Loop BB6_51 Depth=1
                                        ;     Parent Loop BB6_3173 Depth=2
                                        ;       Parent Loop BB6_7901 Depth=3
                                        ; =>      This Inner Loop Header: Depth=4
	s_add_i32 s42, s42, 1
                                        ; implicit-def: $sgpr44
	s_delay_alu instid0(SALU_CYCLE_1) | instskip(SKIP_1) | instid1(SALU_CYCLE_1)
	s_cmpk_lg_i32 s42, 0x2710
	s_cselect_b32 s43, -1, 0
	s_and_b32 vcc_lo, exec_lo, s43
	s_cbranch_vccz .LBB6_7941
.LBB6_7938:                             ;   in Loop: Header=BB6_7937 Depth=4
	s_and_not1_b32 s41, s41, exec_lo
	s_and_b32 s44, s44, exec_lo
	s_mov_b32 vcc_lo, -1
	s_or_b32 s41, s41, s44
	s_and_saveexec_b32 s44, s43
	s_cbranch_execz .LBB6_7936
; %bb.7939:                             ;   in Loop: Header=BB6_7937 Depth=4
	s_sleep 1
	s_cbranch_execz .LBB6_7940
; %bb.18707:
	s_getpc_b64 s[48:49]
.Lpost_getpc380:
	s_add_u32 s48, s48, (.LBB6_18199-.Lpost_getpc380)&4294967295
	s_addc_u32 s49, s49, (.LBB6_18199-.Lpost_getpc380)>>32
	s_setpc_b64 s[48:49]
.LBB6_7940:                             ;   in Loop: Header=BB6_7937 Depth=4
	ds_load_b64 v[8:9], v0
	s_and_not1_b32 s41, s41, exec_lo
	s_waitcnt lgkmcnt(0)
	v_cmp_ge_u64_e32 vcc_lo, v[8:9], v[116:117]
	s_or_not1_b32 vcc_lo, vcc_lo, exec_lo
	s_branch .LBB6_7936
.LBB6_7941:                             ;   in Loop: Header=BB6_7937 Depth=4
	s_cbranch_execz .LBB6_7942
; %bb.18709:
	s_getpc_b64 s[48:49]
.Lpost_getpc381:
	s_add_u32 s48, s48, (.LBB6_18213-.Lpost_getpc381)&4294967295
	s_addc_u32 s49, s49, (.LBB6_18213-.Lpost_getpc381)>>32
	s_setpc_b64 s[48:49]
.LBB6_7942:                             ;   in Loop: Header=BB6_7937 Depth=4
	ds_load_b64 v[8:9], v0
	s_and_not1_b32 s43, s43, exec_lo
	s_mov_b32 s42, 0
	s_mov_b32 s44, -1
	s_waitcnt lgkmcnt(0)
	flat_load_b32 v2, v[8:9] glc
	s_waitcnt vmcnt(0) lgkmcnt(0)
	buffer_gl1_inv
	buffer_gl0_inv
	v_cmp_eq_u32_e32 vcc_lo, 0, v2
	s_and_b32 vcc_lo, vcc_lo, exec_lo
	s_delay_alu instid0(SALU_CYCLE_1)
	s_or_b32 s43, s43, vcc_lo
	s_branch .LBB6_7938
.LBB6_7943:                             ;   in Loop: Header=BB6_7901 Depth=3
	s_or_b32 exec_lo, exec_lo, s29
	s_and_saveexec_b32 s29, s40
	s_delay_alu instid0(SALU_CYCLE_1)
	s_xor_b32 s29, exec_lo, s29
	s_cbranch_execz .LBB6_7945
; %bb.7944:                             ;   in Loop: Header=BB6_7901 Depth=3
	v_mov_b32_e32 v2, 1
	ds_store_b32 v0, v2
	s_cbranch_execz .LBB6_7945
; %bb.18711:
	s_getpc_b64 s[48:49]
.Lpost_getpc382:
	s_add_u32 s48, s48, (.LBB6_18423-.Lpost_getpc382)&4294967295
	s_addc_u32 s49, s49, (.LBB6_18423-.Lpost_getpc382)>>32
	s_setpc_b64 s[48:49]
.LBB6_7945:                             ;   in Loop: Header=BB6_7901 Depth=3
	s_or_b32 exec_lo, exec_lo, s17
	;;#ASMSTART
	s_wakeup
	;;#ASMEND
.LBB6_7946:                             ;   in Loop: Header=BB6_7901 Depth=3
	s_or_b32 exec_lo, exec_lo, s16
.LBB6_7947:                             ;   in Loop: Header=BB6_7901 Depth=3
	s_and_not1_saveexec_b32 s13, s13
	s_cbranch_execz .LBB6_7949
; %bb.7948:                             ;   in Loop: Header=BB6_7901 Depth=3
	s_waitcnt vmcnt(0) lgkmcnt(0)
	s_waitcnt_vscnt null, 0x0
	buffer_gl1_inv
	buffer_gl0_inv
	s_barrier
.LBB6_7949:                             ;   in Loop: Header=BB6_7901 Depth=3
	s_or_b32 exec_lo, exec_lo, s13
.LBB6_7950:                             ;   in Loop: Header=BB6_7901 Depth=3
	s_delay_alu instid0(SALU_CYCLE_1) | instskip(SKIP_2) | instid1(SALU_CYCLE_1)
	s_or_b32 exec_lo, exec_lo, s6
	s_mov_b32 s6, vcc_hi
                                        ; implicit-def: $vgpr2
	s_and_saveexec_b32 s13, vcc_hi
	s_xor_b32 s13, exec_lo, s13
	s_cbranch_execz .LBB6_7972
; %bb.7951:                             ;   in Loop: Header=BB6_7901 Depth=3
	s_and_saveexec_b32 s16, s4
	s_delay_alu instid0(SALU_CYCLE_1)
	s_xor_b32 s16, exec_lo, s16
	s_cbranch_execz .LBB6_7969
; %bb.7952:                             ;   in Loop: Header=BB6_7901 Depth=3
	s_and_saveexec_b32 s17, s1
	s_cbranch_execz .LBB6_7968
; %bb.7953:                             ;   in Loop: Header=BB6_7901 Depth=3
	s_mov_b32 vcc_hi, exec_lo
	s_mov_b32 s29, exec_lo
	v_mbcnt_lo_u32_b32 v2, vcc_hi, 0
	;;#ASMSTART
	s_waitcnt lgkmcnt(0) vmcnt(0)
	;;#ASMEND
	s_delay_alu instid0(VALU_DEP_1)
	v_cmpx_eq_u32_e32 0, v2
	s_cbranch_execz .LBB6_7955
; %bb.7954:                             ;   in Loop: Header=BB6_7901 Depth=3
	s_bcnt1_i32_b32 vcc_lo, vcc_hi
	s_delay_alu instid0(SALU_CYCLE_1)
	v_mov_b32_e32 v2, vcc_lo
	ds_add_u64 v0, v[2:3]
	s_cbranch_execz .LBB6_7955
; %bb.18713:
	s_getpc_b64 s[48:49]
.Lpost_getpc383:
	s_add_u32 s48, s48, (.LBB6_18157-.Lpost_getpc383)&4294967295
	s_addc_u32 s49, s49, (.LBB6_18157-.Lpost_getpc383)>>32
	s_setpc_b64 s[48:49]
.LBB6_7955:                             ;   in Loop: Header=BB6_7901 Depth=3
	s_or_b32 exec_lo, exec_lo, s29
	s_cbranch_execz .LBB6_7956
; %bb.18715:
	s_getpc_b64 s[48:49]
.Lpost_getpc384:
	s_add_u32 s48, s48, (.LBB6_18125-.Lpost_getpc384)&4294967295
	s_addc_u32 s49, s49, (.LBB6_18125-.Lpost_getpc384)>>32
	s_setpc_b64 s[48:49]
.LBB6_7956:                             ;   in Loop: Header=BB6_7901 Depth=3
	ds_load_b64 v[8:9], v0
	v_dual_mov_b32 v10, v116 :: v_dual_mov_b32 v11, v117
	s_mov_b32 s29, exec_lo
	s_delay_alu instid0(VALU_DEP_1) | instskip(NEXT) | instid1(VALU_DEP_2)
	v_add_co_u32 v10, vcc_lo, v10, v114
	v_add_co_ci_u32_e32 v11, vcc_lo, 0, v11, vcc_lo
	s_delay_alu instid0(VALU_DEP_1)
	v_dual_mov_b32 v117, v11 :: v_dual_mov_b32 v116, v10
	s_waitcnt lgkmcnt(0)
	v_cmpx_lt_u64_e64 v[8:9], v[10:11]
	s_cbranch_execz .LBB6_7967
; %bb.7957:                             ;   in Loop: Header=BB6_7901 Depth=3
	s_mov_b32 vcc_hi, 0
	s_mov_b32 s42, 0
                                        ; implicit-def: $sgpr40
                                        ; implicit-def: $sgpr41
	s_branch .LBB6_7959
.LBB6_7958:                             ;   in Loop: Header=BB6_7959 Depth=4
	s_or_b32 exec_lo, exec_lo, s44
	s_delay_alu instid0(SALU_CYCLE_1) | instskip(NEXT) | instid1(SALU_CYCLE_1)
	s_and_b32 vcc_lo, exec_lo, vcc_lo
	s_or_b32 vcc_hi, vcc_lo, vcc_hi
	s_and_not1_b32 vcc_lo, s40, exec_lo
	s_and_b32 s40, s41, exec_lo
	s_delay_alu instid0(SALU_CYCLE_1)
	s_or_b32 s40, vcc_lo, s40
	s_and_not1_b32 exec_lo, exec_lo, vcc_hi
	s_cbranch_execz .LBB6_7965
.LBB6_7959:                             ;   Parent Loop BB6_51 Depth=1
                                        ;     Parent Loop BB6_3173 Depth=2
                                        ;       Parent Loop BB6_7901 Depth=3
                                        ; =>      This Inner Loop Header: Depth=4
	s_add_i32 s42, s42, 1
                                        ; implicit-def: $sgpr44
	s_delay_alu instid0(SALU_CYCLE_1) | instskip(SKIP_1) | instid1(SALU_CYCLE_1)
	s_cmpk_lg_i32 s42, 0x2710
	s_cselect_b32 s43, -1, 0
	s_and_b32 vcc_lo, exec_lo, s43
	s_cbranch_vccz .LBB6_7963
.LBB6_7960:                             ;   in Loop: Header=BB6_7959 Depth=4
	s_and_not1_b32 s41, s41, exec_lo
	s_and_b32 s44, s44, exec_lo
	s_mov_b32 vcc_lo, -1
	s_or_b32 s41, s41, s44
	s_and_saveexec_b32 s44, s43
	s_cbranch_execz .LBB6_7958
; %bb.7961:                             ;   in Loop: Header=BB6_7959 Depth=4
	s_sleep 1
	s_cbranch_execz .LBB6_7962
; %bb.18717:
	s_getpc_b64 s[48:49]
.Lpost_getpc385:
	s_add_u32 s48, s48, (.LBB6_18205-.Lpost_getpc385)&4294967295
	s_addc_u32 s49, s49, (.LBB6_18205-.Lpost_getpc385)>>32
	s_setpc_b64 s[48:49]
.LBB6_7962:                             ;   in Loop: Header=BB6_7959 Depth=4
	ds_load_b64 v[8:9], v0
	s_and_not1_b32 s41, s41, exec_lo
	s_waitcnt lgkmcnt(0)
	v_cmp_ge_u64_e32 vcc_lo, v[8:9], v[116:117]
	s_or_not1_b32 vcc_lo, vcc_lo, exec_lo
	s_branch .LBB6_7958
.LBB6_7963:                             ;   in Loop: Header=BB6_7959 Depth=4
	s_cbranch_execz .LBB6_7964
; %bb.18719:
	s_getpc_b64 s[48:49]
.Lpost_getpc386:
	s_add_u32 s48, s48, (.LBB6_18225-.Lpost_getpc386)&4294967295
	s_addc_u32 s49, s49, (.LBB6_18225-.Lpost_getpc386)>>32
	s_setpc_b64 s[48:49]
.LBB6_7964:                             ;   in Loop: Header=BB6_7959 Depth=4
	ds_load_b64 v[8:9], v0
	s_and_not1_b32 s43, s43, exec_lo
	s_mov_b32 s42, 0
	s_mov_b32 s44, -1
	s_waitcnt vmcnt(0) lgkmcnt(0)
	s_waitcnt_vscnt null, 0x0
	flat_load_b32 v2, v[8:9] glc
	s_waitcnt vmcnt(0) lgkmcnt(0)
	buffer_gl1_inv
	buffer_gl0_inv
	v_cmp_eq_u32_e32 vcc_lo, 0, v2
	s_and_b32 vcc_lo, vcc_lo, exec_lo
	s_delay_alu instid0(SALU_CYCLE_1)
	s_or_b32 s43, s43, vcc_lo
	s_branch .LBB6_7960
.LBB6_7965:                             ;   in Loop: Header=BB6_7901 Depth=3
	s_or_b32 exec_lo, exec_lo, vcc_hi
	s_and_saveexec_b32 vcc_lo, s40
	s_delay_alu instid0(SALU_CYCLE_1)
	s_xor_b32 vcc_lo, exec_lo, vcc_lo
	s_cbranch_execz .LBB6_7967
; %bb.7966:                             ;   in Loop: Header=BB6_7901 Depth=3
	v_mov_b32_e32 v2, 1
	ds_store_b32 v0, v2
	s_cbranch_execz .LBB6_7967
; %bb.18721:
	s_getpc_b64 s[48:49]
.Lpost_getpc387:
	s_add_u32 s48, s48, (.LBB6_18427-.Lpost_getpc387)&4294967295
	s_addc_u32 s49, s49, (.LBB6_18427-.Lpost_getpc387)>>32
	s_setpc_b64 s[48:49]
.LBB6_7967:                             ;   in Loop: Header=BB6_7901 Depth=3
	s_or_b32 exec_lo, exec_lo, s29
	;;#ASMSTART
	s_wakeup
	;;#ASMEND
.LBB6_7968:                             ;   in Loop: Header=BB6_7901 Depth=3
	s_or_b32 exec_lo, exec_lo, s17
.LBB6_7969:                             ;   in Loop: Header=BB6_7901 Depth=3
	s_and_not1_saveexec_b32 s16, s16
	s_cbranch_execz .LBB6_7971
; %bb.7970:                             ;   in Loop: Header=BB6_7901 Depth=3
	;;#ASMSTART
	s_waitcnt lgkmcnt(0) vmcnt(0)
	;;#ASMEND
	s_waitcnt vmcnt(0) lgkmcnt(0)
	s_waitcnt_vscnt null, 0x0
	s_barrier
.LBB6_7971:                             ;   in Loop: Header=BB6_7901 Depth=3
	s_or_b32 exec_lo, exec_lo, s16
	v_and_b32_e32 v2, 16, v30
.LBB6_7972:                             ;   in Loop: Header=BB6_7901 Depth=3
	s_and_not1_saveexec_b32 s16, s13
	s_cbranch_execz .LBB6_7977
; %bb.7973:                             ;   in Loop: Header=BB6_7901 Depth=3
	s_cbranch_execz .LBB6_7974
; %bb.18723:
	s_getpc_b64 s[48:49]
.Lpost_getpc388:
	s_add_u32 s48, s48, (.LBB6_18061-.Lpost_getpc388)&4294967295
	s_addc_u32 s49, s49, (.LBB6_18061-.Lpost_getpc388)>>32
	s_setpc_b64 s[48:49]
.LBB6_7974:                             ;   in Loop: Header=BB6_7901 Depth=3
	ds_load_b32 v2, v0
	v_cmp_lt_i32_e32 vcc_lo, 0, v68
	s_waitcnt lgkmcnt(0)
	v_readfirstlane_b32 s13, v2
	v_and_b32_e32 v2, 16, v30
	s_delay_alu instid0(VALU_DEP_2) | instskip(NEXT) | instid1(VALU_DEP_1)
	s_cmp_eq_u32 s13, 0
	v_cmp_ne_u32_e64 s13, 0, v2
	s_cselect_b32 s17, -1, 0
	v_and_b32_e32 v2, 16, v30
	s_and_b32 s17, vcc_lo, s17
	s_delay_alu instid0(VALU_DEP_2) | instid1(SALU_CYCLE_1)
	s_and_b32 s17, s13, s17
	s_delay_alu instid0(SALU_CYCLE_1)
	s_and_saveexec_b32 s13, s17
	s_cbranch_execz .LBB6_7976
; %bb.7975:                             ;   in Loop: Header=BB6_7901 Depth=3
	v_mov_b32_e32 v2, 1
	s_waitcnt vmcnt(0)
	s_waitcnt_vscnt null, 0x0
	buffer_gl1_inv
	buffer_gl0_inv
.LBB6_7976:                             ;   in Loop: Header=BB6_7901 Depth=3
	s_or_b32 exec_lo, exec_lo, s13
.LBB6_7977:                             ;   in Loop: Header=BB6_7901 Depth=3
	s_delay_alu instid0(SALU_CYCLE_1) | instskip(NEXT) | instid1(VALU_DEP_1)
	s_or_b32 exec_lo, exec_lo, s16
	v_cmp_ne_u32_e32 vcc_lo, 0, v2
	s_xor_b32 s13, s10, -1
	s_delay_alu instid0(SALU_CYCLE_1) | instskip(NEXT) | instid1(SALU_CYCLE_1)
	s_and_b32 s16, vcc_lo, s13
	s_and_saveexec_b32 s13, s16
	s_cbranch_execz .LBB6_7979
; %bb.7978:                             ;   in Loop: Header=BB6_7901 Depth=3
	v_mov_b32_e32 v2, 1
	s_waitcnt vmcnt(0) lgkmcnt(0)
	s_waitcnt_vscnt null, 0x0
	flat_store_b32 v[112:113], v2
.LBB6_7979:                             ;   in Loop: Header=BB6_7901 Depth=3
	s_or_b32 exec_lo, exec_lo, s13
	v_and_b32_e32 v2, 48, v30
	s_mov_b32 s13, exec_lo
	s_delay_alu instid0(VALU_DEP_1)
	v_cmpx_ne_u32_e32 0, v2
	s_cbranch_execz .LBB6_7981
; %bb.7980:                             ;   in Loop: Header=BB6_7901 Depth=3
	v_add_co_u32 v34, vcc_lo, v34, 2
	v_add_co_ci_u32_e32 v35, vcc_lo, 0, v35, vcc_lo
	s_waitcnt vmcnt(0) lgkmcnt(0)
	s_waitcnt_vscnt null, 0x0
	flat_store_b64 v[32:33], v[34:35]
.LBB6_7981:                             ;   in Loop: Header=BB6_7901 Depth=3
	s_or_b32 exec_lo, exec_lo, s13
	v_add_nc_u32_e32 v148, v68, v148
	s_mov_b32 s13, 0
	s_mov_b32 vcc_hi, s6
	s_and_not1_b32 exec_lo, exec_lo, s5
	s_cbranch_execnz .LBB6_7901
; %bb.7982:                             ;   in Loop: Header=BB6_3173 Depth=2
	s_or_b32 exec_lo, exec_lo, s5
.LBB6_7983:                             ;   in Loop: Header=BB6_3173 Depth=2
	s_delay_alu instid0(SALU_CYCLE_1) | instskip(SKIP_1) | instid1(SALU_CYCLE_1)
	s_or_b32 exec_lo, exec_lo, s2
	s_add_i32 s15, s15, 1
	s_cmp_eq_u32 s15, s19
	s_cbranch_scc1 .LBB6_7984
; %bb.18725:                            ;   in Loop: Header=BB6_3173 Depth=2
	s_getpc_b64 s[48:49]
.Lpost_getpc389:
	s_add_u32 s48, s48, (.LBB6_3173-.Lpost_getpc389)&4294967295
	s_addc_u32 s49, s49, (.LBB6_3173-.Lpost_getpc389)>>32
	s_setpc_b64 s[48:49]
.LBB6_7984:                             ;   in Loop: Header=BB6_51 Depth=1
	v_dual_mov_b32 v138, v87 :: v_dual_mov_b32 v137, v86
	v_dual_mov_b32 v139, v97 :: v_dual_mov_b32 v140, v99
	;; [unrolled: 1-line block ×10, first 2 shown]
	v_mov_b32_e32 v183, v98
	v_mov_b32_e32 v43, v162
.LBB6_7985:                             ;   in Loop: Header=BB6_51 Depth=1
	v_mov_b32_e32 v46, 1
; %bb.7986:                             ;   in Loop: Header=BB6_51 Depth=1
	v_mul_lo_u32 v2, v65, s19
	v_mul_lo_u32 v10, v64, s21
	v_mad_u64_u32 v[8:9], null, v64, s19, 0
	s_waitcnt vmcnt(4)
	v_dual_mov_b32 v181, v20 :: v_dual_mov_b32 v180, v19
	s_mov_b32 s16, 0
	v_mov_b32_e32 v147, 0
	s_delay_alu instid0(VALU_DEP_3) | instskip(NEXT) | instid1(VALU_DEP_4)
	v_add3_u32 v9, v9, v10, v2
	v_sub_co_u32 v10, vcc_lo, v66, v8
	s_delay_alu instid0(VALU_DEP_2) | instskip(NEXT) | instid1(VALU_DEP_1)
	v_sub_co_ci_u32_e32 v11, vcc_lo, v67, v9, vcc_lo
	v_cmp_lt_i64_e32 vcc_lo, v[64:65], v[10:11]
	v_cndmask_b32_e32 v10, v10, v64, vcc_lo
	s_delay_alu instid0(VALU_DEP_1) | instskip(NEXT) | instid1(VALU_DEP_1)
	v_max_i32_e32 v71, 0, v10
	v_add_nc_u32_e32 v2, 31, v71
	s_delay_alu instid0(VALU_DEP_1) | instskip(NEXT) | instid1(VALU_DEP_1)
	v_lshrrev_b32_e32 v2, 1, v2
	v_and_b32_e32 v11, 0x3ffffff0, v2
	v_cmp_lt_i32_e32 vcc_lo, 0, v10
	v_mov_b32_e32 v2, 0
	s_delay_alu instid0(VALU_DEP_3) | instskip(SKIP_1) | instid1(SALU_CYCLE_1)
	v_max_i32_e32 v68, s28, v11
	s_and_b32 s2, s38, vcc_lo
	s_and_saveexec_b32 s5, s2
	s_cbranch_execnz .LBB6_7987
; %bb.18727:                            ;   in Loop: Header=BB6_51 Depth=1
	s_getpc_b64 s[48:49]
.Lpost_getpc390:
	s_add_u32 s48, s48, (.LBB6_17309-.Lpost_getpc390)&4294967295
	s_addc_u32 s49, s49, (.LBB6_17309-.Lpost_getpc390)>>32
	s_setpc_b64 s[48:49]
.LBB6_7987:                             ;   in Loop: Header=BB6_51 Depth=1
	s_waitcnt vmcnt(1)
	v_add_co_u32 v148, vcc_lo, v8, v164
	v_writelane_b32 v190, s5, 6
	v_dual_mov_b32 v116, v164 :: v_dual_mov_b32 v147, 0
	s_waitcnt vmcnt(0)
	v_add_co_ci_u32_e32 v149, vcc_lo, v9, v167, vcc_lo
	s_mov_b32 s40, 1
	s_mov_b32 s17, -1
.LBB6_7988:                             ;   Parent Loop BB6_51 Depth=1
                                        ; =>  This Loop Header: Depth=2
                                        ;       Child Loop BB6_7997 Depth 3
                                        ;       Child Loop BB6_8027 Depth 3
	;; [unrolled: 1-line block ×5, first 2 shown]
                                        ;         Child Loop BB6_11109 Depth 4
                                        ;       Child Loop BB6_11312 Depth 3
                                        ;       Child Loop BB6_12608 Depth 3
                                        ;         Child Loop BB6_12647 Depth 4
                                        ;       Child Loop BB6_12675 Depth 3
                                        ;       Child Loop BB6_15250 Depth 3
                                        ;       Child Loop BB6_15906 Depth 3
                                        ;       Child Loop BB6_17202 Depth 3
                                        ;       Child Loop BB6_17264 Depth 3
                                        ;       Child Loop BB6_17290 Depth 3
	s_and_saveexec_b32 s2, s0
	s_cbranch_execz .LBB6_7991
; %bb.7989:                             ;   in Loop: Header=BB6_7988 Depth=2
	s_cbranch_execz .LBB6_7990
; %bb.18729:
	s_getpc_b64 s[48:49]
.Lpost_getpc391:
	s_add_u32 s48, s48, (.LBB6_18029-.Lpost_getpc391)&4294967295
	s_addc_u32 s49, s49, (.LBB6_18029-.Lpost_getpc391)>>32
	s_setpc_b64 s[48:49]
.LBB6_7990:                             ;   in Loop: Header=BB6_7988 Depth=2
	ds_load_2addr_b64 v[8:11], v0 offset1:1
	ds_load_b64 v[12:13], v0
	v_ashrrev_i32_e32 v2, 31, v147
	s_waitcnt lgkmcnt(1)
	v_add_co_u32 v8, vcc_lo, v8, v148
	v_add_co_ci_u32_e32 v9, vcc_lo, v9, v149, vcc_lo
	v_add_co_u32 v10, vcc_lo, v10, v148
	v_add_co_ci_u32_e32 v11, vcc_lo, v11, v149, vcc_lo
	s_waitcnt lgkmcnt(0)
	v_add_co_u32 v14, vcc_lo, v12, v148
	v_add_co_ci_u32_e32 v15, vcc_lo, v13, v149, vcc_lo
	v_add_co_u32 v8, vcc_lo, v8, v147
	v_add_co_ci_u32_e32 v9, vcc_lo, v9, v2, vcc_lo
	s_delay_alu instid0(VALU_DEP_4) | instskip(NEXT) | instid1(VALU_DEP_4)
	v_add_co_u32 v14, vcc_lo, v14, v147
	v_add_co_ci_u32_e32 v15, vcc_lo, v15, v2, vcc_lo
	v_cmp_ne_u64_e32 vcc_lo, 0, v[12:13]
	v_add_co_u32 v10, s13, v10, v147
	s_delay_alu instid0(VALU_DEP_1) | instskip(NEXT) | instid1(VALU_DEP_4)
	v_add_co_ci_u32_e64 v11, s13, v11, v2, s13
	v_dual_cndmask_b32 v13, 0, v15 :: v_dual_cndmask_b32 v12, 0, v14
	ds_store_b64 v0, v[8:9]
	ds_store_b64 v0, v[10:11]
	;; [unrolled: 1-line block ×3, first 2 shown]
.LBB6_7991:                             ;   in Loop: Header=BB6_7988 Depth=2
	s_or_b32 exec_lo, exec_lo, s2
	v_and_b32_e32 v2, 12, v30
	s_mov_b32 s15, -1
	s_mov_b32 s2, exec_lo
	s_delay_alu instid0(VALU_DEP_1)
	v_cmpx_ne_u32_e32 0, v2
	s_cbranch_execz .LBB6_8005
; %bb.7992:                             ;   in Loop: Header=BB6_7988 Depth=2
	v_dual_mov_b32 v13, v118 :: v_dual_and_b32 v2, 8, v30
	v_mov_b32_e32 v14, v119
	s_mov_b32 s5, s40
	s_mov_b32 s6, s17
	s_delay_alu instid0(VALU_DEP_2) | instskip(SKIP_4) | instid1(VALU_DEP_1)
	v_add_co_u32 v10, vcc_lo, v118, v2
	v_add_co_ci_u32_e32 v11, vcc_lo, 0, v119, vcc_lo
	v_add_co_u32 v8, vcc_lo, v34, 2
	v_add_co_ci_u32_e32 v9, vcc_lo, 0, v35, vcc_lo
	s_mov_b32 s13, s16
	v_cmp_lt_u64_e32 vcc_lo, v[10:11], v[8:9]
	v_mov_b32_e32 v10, 1
	s_and_saveexec_b32 s15, vcc_lo
	s_cbranch_execz .LBB6_8004
; %bb.7993:                             ;   in Loop: Header=BB6_7988 Depth=2
	v_mov_b32_e32 v10, 0
	s_mov_b32 s16, 0
                                        ; implicit-def: $sgpr17
	s_branch .LBB6_7997
.LBB6_7994:                             ;   in Loop: Header=BB6_7997 Depth=3
	s_or_b32 exec_lo, exec_lo, s42
	v_mov_b32_e32 v11, 0
	s_or_not1_b32 s41, s41, exec_lo
.LBB6_7995:                             ;   in Loop: Header=BB6_7997 Depth=3
	s_or_b32 exec_lo, exec_lo, s40
	s_delay_alu instid0(VALU_DEP_1) | instskip(SKIP_2) | instid1(SALU_CYCLE_1)
	v_mov_b32_e32 v10, v11
	s_and_not1_b32 s17, s17, exec_lo
	s_and_b32 vcc_lo, s41, exec_lo
	s_or_b32 s17, s17, vcc_lo
.LBB6_7996:                             ;   in Loop: Header=BB6_7997 Depth=3
	s_or_b32 exec_lo, exec_lo, s29
	s_waitcnt vmcnt(0) lgkmcnt(0)
	v_add_co_u32 v11, vcc_lo, v13, v2
	v_add_co_ci_u32_e32 v12, vcc_lo, 0, v14, vcc_lo
	s_xor_b32 s29, s17, -1
	s_delay_alu instid0(VALU_DEP_1) | instskip(SKIP_1) | instid1(SALU_CYCLE_1)
	v_cmp_ge_u64_e32 vcc_lo, v[11:12], v[8:9]
	s_or_b32 s29, s29, vcc_lo
	s_and_b32 s29, exec_lo, s29
	s_delay_alu instid0(SALU_CYCLE_1) | instskip(NEXT) | instid1(SALU_CYCLE_1)
	s_or_b32 s16, s29, s16
	s_and_not1_b32 exec_lo, exec_lo, s16
	s_cbranch_execz .LBB6_8003
.LBB6_7997:                             ;   Parent Loop BB6_51 Depth=1
                                        ;     Parent Loop BB6_7988 Depth=2
                                        ; =>    This Inner Loop Header: Depth=3
	s_sleep 1
	flat_load_b64 v[13:14], v[32:33] glc
	v_and_b32_e32 v11, 64, v30
	s_and_not1_b32 s17, s17, exec_lo
	s_mov_b32 s29, exec_lo
	s_delay_alu instid0(VALU_DEP_1)
	v_cmpx_eq_u32_e32 0, v11
	s_cbranch_execz .LBB6_7996
; %bb.7998:                             ;   in Loop: Header=BB6_7997 Depth=3
	v_add_nc_u32_e32 v11, 1, v10
	s_mov_b32 s41, -1
	s_mov_b32 s40, exec_lo
	v_cmpx_lt_i32_e32 0x270e, v10
	s_cbranch_execz .LBB6_7995
; %bb.7999:                             ;   in Loop: Header=BB6_7997 Depth=3
	s_cbranch_execz .LBB6_8000
; %bb.18731:
	s_getpc_b64 s[48:49]
.Lpost_getpc392:
	s_add_u32 s48, s48, (.LBB6_18055-.Lpost_getpc392)&4294967295
	s_addc_u32 s49, s49, (.LBB6_18055-.Lpost_getpc392)>>32
	s_setpc_b64 s[48:49]
.LBB6_8000:                             ;   in Loop: Header=BB6_7997 Depth=3
	ds_load_b64 v[10:11], v0
	s_mov_b32 s42, exec_lo
	s_waitcnt vmcnt(0) lgkmcnt(0)
	s_waitcnt_vscnt null, 0x0
	flat_load_b32 v10, v[10:11] glc
	s_waitcnt vmcnt(0) lgkmcnt(0)
	buffer_gl1_inv
	buffer_gl0_inv
	v_cmpx_ne_u32_e32 0, v10
	s_cbranch_execz .LBB6_7994
; %bb.8001:                             ;   in Loop: Header=BB6_7997 Depth=3
	ds_store_b32 v0, v10
	s_cbranch_execz .LBB6_8002
; %bb.18733:
	s_getpc_b64 s[48:49]
.Lpost_getpc393:
	s_add_u32 s48, s48, (.LBB6_18109-.Lpost_getpc393)&4294967295
	s_addc_u32 s49, s49, (.LBB6_18109-.Lpost_getpc393)>>32
	s_setpc_b64 s[48:49]
.LBB6_8002:                             ;   in Loop: Header=BB6_7997 Depth=3
	v_or_b32_e32 v30, 64, v30
	s_xor_b32 s41, exec_lo, -1
	s_branch .LBB6_7994
.LBB6_8003:                             ;   in Loop: Header=BB6_7988 Depth=2
	s_or_b32 exec_lo, exec_lo, s16
	v_and_b32_e32 v10, 12, v30
.LBB6_8004:                             ;   in Loop: Header=BB6_7988 Depth=2
	s_or_b32 exec_lo, exec_lo, s15
	s_delay_alu instid0(VALU_DEP_1)
	v_cmp_eq_u32_e32 vcc_lo, 0, v10
	v_dual_mov_b32 v119, v14 :: v_dual_mov_b32 v118, v13
	s_mov_b32 s16, s13
	s_mov_b32 s17, s6
	s_or_not1_b32 s15, vcc_lo, exec_lo
	s_mov_b32 s40, s5
	;;#ASMSTART
	s_wakeup
	;;#ASMEND
.LBB6_8005:                             ;   in Loop: Header=BB6_7988 Depth=2
	s_or_b32 exec_lo, exec_lo, s2
	v_sub_nc_u32_e32 v2, v71, v147
	s_xor_b32 s2, s15, -1
	s_delay_alu instid0(VALU_DEP_1)
	v_min_i32_e32 v68, v68, v2
	s_and_saveexec_b32 s15, s2
	s_cbranch_execz .LBB6_8018
; %bb.8006:                             ;   in Loop: Header=BB6_7988 Depth=2
	v_and_b32_e32 v2, 0x108, v30
	s_mov_b32 s5, s40
	s_mov_b32 s6, s17
	s_mov_b32 s2, s16
	s_delay_alu instid0(VALU_DEP_1) | instskip(SKIP_2) | instid1(SALU_CYCLE_1)
	v_cmp_ne_u32_e32 vcc_lo, 0x108, v2
	v_and_b32_e32 v2, 7, v34
	s_and_saveexec_b32 s13, vcc_lo
	s_xor_b32 s13, exec_lo, s13
	s_delay_alu instid0(SALU_CYCLE_1)
	s_and_not1_saveexec_b32 s13, s13
	s_cbranch_execz .LBB6_8008
; %bb.8007:                             ;   in Loop: Header=BB6_7988 Depth=2
	v_mad_u64_u32 v[8:9], null, v2, 24, v[6:7]
	v_ashrrev_i32_e32 v69, 31, v68
	flat_store_b64 v[8:9], v[68:69] offset:8
.LBB6_8008:                             ;   in Loop: Header=BB6_7988 Depth=2
	s_or_b32 exec_lo, exec_lo, s13
	v_and_b32_e32 v8, 0x100, v30
	s_mov_b32 s13, -1
	s_delay_alu instid0(VALU_DEP_1)
	v_cmp_ne_u32_e32 vcc_lo, 0, v8
                                        ; implicit-def: $vgpr8_vgpr9
	s_and_saveexec_b32 s16, vcc_lo
	s_cbranch_execnz .LBB6_8011
; %bb.8009:                             ;   in Loop: Header=BB6_7988 Depth=2
	s_or_b32 exec_lo, exec_lo, s16
	s_and_saveexec_b32 s16, s13
	s_cbranch_execnz .LBB6_8014
.LBB6_8010:                             ;   in Loop: Header=BB6_7988 Depth=2
	s_or_b32 exec_lo, exec_lo, s16
	s_cbranch_execz .LBB6_8015
; %bb.18735:
	s_getpc_b64 s[48:49]
.Lpost_getpc394:
	s_add_u32 s48, s48, (.LBB6_18049-.Lpost_getpc394)&4294967295
	s_addc_u32 s49, s49, (.LBB6_18049-.Lpost_getpc394)>>32
	s_setpc_b64 s[48:49]
.LBB6_8011:                             ;   in Loop: Header=BB6_7988 Depth=2
	v_mad_u64_u32 v[10:11], null, v2, 24, v[6:7]
	s_delay_alu instid0(VALU_DEP_1) | instskip(NEXT) | instid1(VALU_DEP_1)
	v_mov_b32_e32 v8, v11
	v_mad_u64_u32 v[11:12], null, v3, 24, v[8:9]
	flat_load_b32 v8, v[10:11]
	s_waitcnt vmcnt(0) lgkmcnt(0)
	v_cmp_ne_u32_e32 vcc_lo, 1, v8
	v_cmp_eq_u32_e64 s13, 1, v8
                                        ; implicit-def: $vgpr8_vgpr9
	s_delay_alu instid0(VALU_DEP_1)
	s_and_saveexec_b32 s17, s13
	s_cbranch_execz .LBB6_8013
; %bb.8012:                             ;   in Loop: Header=BB6_7988 Depth=2
	flat_load_b32 v8, v[10:11] offset:4 glc
	s_waitcnt vmcnt(0) lgkmcnt(0)
	v_ashrrev_i32_e32 v9, 31, v8
.LBB6_8013:                             ;   in Loop: Header=BB6_7988 Depth=2
	s_or_b32 exec_lo, exec_lo, s17
	s_delay_alu instid0(SALU_CYCLE_1)
	s_or_not1_b32 s13, vcc_lo, exec_lo
	s_or_b32 exec_lo, exec_lo, s16
	s_and_saveexec_b32 s16, s13
	s_cbranch_execz .LBB6_8010
.LBB6_8014:                             ;   in Loop: Header=BB6_7988 Depth=2
	v_mov_b32_e32 v12, v139
	v_mul_lo_u32 v11, v2, v143
	s_delay_alu instid0(VALU_DEP_2) | instskip(SKIP_1) | instid1(VALU_DEP_1)
	v_mul_lo_u32 v10, v3, v12
	v_mad_u64_u32 v[8:9], null, v2, v12, 0
	v_add3_u32 v9, v9, v11, v10
	s_or_b32 exec_lo, exec_lo, s16
	s_cbranch_execz .LBB6_8015
; %bb.18737:
	s_getpc_b64 s[48:49]
.Lpost_getpc395:
	s_add_u32 s48, s48, (.LBB6_18049-.Lpost_getpc395)&4294967295
	s_addc_u32 s49, s49, (.LBB6_18049-.Lpost_getpc395)>>32
	s_setpc_b64 s[48:49]
.LBB6_8015:                             ;   in Loop: Header=BB6_7988 Depth=2
	v_mov_b32_e32 v10, v141
	v_dual_mov_b32 v11, v142 :: v_dual_and_b32 v2, 0x2000, v30
	s_mov_b32 s13, exec_lo
	s_delay_alu instid0(VALU_DEP_2) | instskip(NEXT) | instid1(VALU_DEP_2)
	v_add_co_u32 v8, vcc_lo, v10, v8
	v_add_co_ci_u32_e32 v9, vcc_lo, v11, v9, vcc_lo
	ds_store_b64 v0, v[8:9]
	v_cmpx_ne_u32_e32 0, v2
	s_cbranch_execz .LBB6_8017
; %bb.8016:                             ;   in Loop: Header=BB6_7988 Depth=2
	ds_load_b64 v[8:9], v0 offset:584
	s_waitcnt lgkmcnt(0)
	v_add_co_u32 v8, vcc_lo, v8, 1
	v_add_co_ci_u32_e32 v9, vcc_lo, 0, v9, vcc_lo
	ds_store_b64 v0, v[8:9] offset:584
.LBB6_8017:                             ;   in Loop: Header=BB6_7988 Depth=2
	s_or_b32 exec_lo, exec_lo, s13
	v_add_co_u32 v34, vcc_lo, v34, 2
	v_add_co_ci_u32_e32 v35, vcc_lo, 0, v35, vcc_lo
	s_mov_b32 s16, s2
	s_mov_b32 s17, s6
	;; [unrolled: 1-line block ×3, first 2 shown]
.LBB6_8018:                             ;   in Loop: Header=BB6_7988 Depth=2
	v_writelane_b32 v190, s17, 7
	v_dual_mov_b32 v117, v167 :: v_dual_mov_b32 v86, v118
	v_dual_mov_b32 v100, v127 :: v_dual_mov_b32 v99, v146
	v_writelane_b32 v190, s40, 8
	v_mov_b32_e32 v97, v114
	v_mov_b32_e32 v87, v119
	v_writelane_b32 v190, s16, 9
	v_writelane_b32 v190, s14, 5
	;; [unrolled: 1-line block ×6, first 2 shown]
	s_or_b32 exec_lo, exec_lo, s15
	s_and_saveexec_b32 s13, s3
	s_mov_b32 s29, s35
	s_mov_b32 s2, s30
	;; [unrolled: 1-line block ×4, first 2 shown]
	s_cbranch_execz .LBB6_8040
; %bb.8019:                             ;   in Loop: Header=BB6_7988 Depth=2
	s_and_saveexec_b32 s14, s4
	s_delay_alu instid0(SALU_CYCLE_1)
	s_xor_b32 s14, exec_lo, s14
	s_cbranch_execz .LBB6_8037
; %bb.8020:                             ;   in Loop: Header=BB6_7988 Depth=2
	s_and_saveexec_b32 s15, s1
	s_cbranch_execz .LBB6_8036
; %bb.8021:                             ;   in Loop: Header=BB6_7988 Depth=2
	s_mov_b32 s17, exec_lo
	s_mov_b32 s16, exec_lo
	v_mbcnt_lo_u32_b32 v2, s17, 0
	s_waitcnt lgkmcnt(0)
	s_waitcnt_vscnt null, 0x0
	buffer_gl1_inv
	buffer_gl0_inv
	v_cmpx_eq_u32_e32 0, v2
	s_cbranch_execz .LBB6_8023
; %bb.8022:                             ;   in Loop: Header=BB6_7988 Depth=2
	s_bcnt1_i32_b32 s17, s17
	s_delay_alu instid0(SALU_CYCLE_1)
	v_mov_b32_e32 v2, s17
	ds_add_u64 v0, v[2:3]
	s_cbranch_execz .LBB6_8023
; %bb.18739:
	s_getpc_b64 s[48:49]
.Lpost_getpc396:
	s_add_u32 s48, s48, (.LBB6_18163-.Lpost_getpc396)&4294967295
	s_addc_u32 s49, s49, (.LBB6_18163-.Lpost_getpc396)>>32
	s_setpc_b64 s[48:49]
.LBB6_8023:                             ;   in Loop: Header=BB6_7988 Depth=2
	s_or_b32 exec_lo, exec_lo, s16
	s_cbranch_execz .LBB6_8024
; %bb.18741:
	s_getpc_b64 s[48:49]
.Lpost_getpc397:
	s_add_u32 s48, s48, (.LBB6_18139-.Lpost_getpc397)&4294967295
	s_addc_u32 s49, s49, (.LBB6_18139-.Lpost_getpc397)>>32
	s_setpc_b64 s[48:49]
.LBB6_8024:                             ;   in Loop: Header=BB6_7988 Depth=2
	ds_load_b64 v[8:9], v0
	v_dual_mov_b32 v10, v154 :: v_dual_mov_b32 v11, v155
	s_mov_b32 s16, exec_lo
	s_delay_alu instid0(VALU_DEP_1) | instskip(NEXT) | instid1(VALU_DEP_2)
	v_add_co_u32 v10, vcc_lo, v10, v97
	v_add_co_ci_u32_e32 v11, vcc_lo, 0, v11, vcc_lo
	s_delay_alu instid0(VALU_DEP_1)
	v_dual_mov_b32 v155, v11 :: v_dual_mov_b32 v154, v10
	s_waitcnt lgkmcnt(0)
	v_cmpx_lt_u64_e64 v[8:9], v[10:11]
	s_cbranch_execz .LBB6_8035
; %bb.8025:                             ;   in Loop: Header=BB6_7988 Depth=2
	s_mov_b32 s17, 0
	s_mov_b32 s34, 0
                                        ; implicit-def: $sgpr30
                                        ; implicit-def: $sgpr31
	s_branch .LBB6_8027
.LBB6_8026:                             ;   in Loop: Header=BB6_8027 Depth=3
	s_or_b32 exec_lo, exec_lo, s36
	s_delay_alu instid0(SALU_CYCLE_1) | instskip(NEXT) | instid1(SALU_CYCLE_1)
	s_and_b32 vcc_lo, exec_lo, vcc_lo
	s_or_b32 s17, vcc_lo, s17
	s_and_not1_b32 vcc_lo, s30, exec_lo
	s_and_b32 s30, s31, exec_lo
	s_delay_alu instid0(SALU_CYCLE_1)
	s_or_b32 s30, vcc_lo, s30
	s_and_not1_b32 exec_lo, exec_lo, s17
	s_cbranch_execz .LBB6_8033
.LBB6_8027:                             ;   Parent Loop BB6_51 Depth=1
                                        ;     Parent Loop BB6_7988 Depth=2
                                        ; =>    This Inner Loop Header: Depth=3
	s_add_i32 s34, s34, 1
                                        ; implicit-def: $sgpr36
	s_delay_alu instid0(SALU_CYCLE_1) | instskip(SKIP_1) | instid1(SALU_CYCLE_1)
	s_cmpk_lg_i32 s34, 0x2710
	s_cselect_b32 s35, -1, 0
	s_and_b32 vcc_lo, exec_lo, s35
	s_cbranch_vccz .LBB6_8031
.LBB6_8028:                             ;   in Loop: Header=BB6_8027 Depth=3
	s_and_not1_b32 s31, s31, exec_lo
	s_and_b32 s36, s36, exec_lo
	s_mov_b32 vcc_lo, -1
	s_or_b32 s31, s31, s36
	s_and_saveexec_b32 s36, s35
	s_cbranch_execz .LBB6_8026
; %bb.8029:                             ;   in Loop: Header=BB6_8027 Depth=3
	s_sleep 1
	s_cbranch_execz .LBB6_8030
; %bb.18743:
	s_getpc_b64 s[48:49]
.Lpost_getpc398:
	s_add_u32 s48, s48, (.LBB6_18217-.Lpost_getpc398)&4294967295
	s_addc_u32 s49, s49, (.LBB6_18217-.Lpost_getpc398)>>32
	s_setpc_b64 s[48:49]
.LBB6_8030:                             ;   in Loop: Header=BB6_8027 Depth=3
	ds_load_b64 v[8:9], v0
	s_and_not1_b32 s31, s31, exec_lo
	s_waitcnt lgkmcnt(0)
	v_cmp_ge_u64_e32 vcc_lo, v[8:9], v[154:155]
	s_or_not1_b32 vcc_lo, vcc_lo, exec_lo
	s_branch .LBB6_8026
.LBB6_8031:                             ;   in Loop: Header=BB6_8027 Depth=3
	s_cbranch_execz .LBB6_8032
; %bb.18745:
	s_getpc_b64 s[48:49]
.Lpost_getpc399:
	s_add_u32 s48, s48, (.LBB6_18231-.Lpost_getpc399)&4294967295
	s_addc_u32 s49, s49, (.LBB6_18231-.Lpost_getpc399)>>32
	s_setpc_b64 s[48:49]
.LBB6_8032:                             ;   in Loop: Header=BB6_8027 Depth=3
	ds_load_b64 v[8:9], v0
	s_and_not1_b32 s35, s35, exec_lo
	s_mov_b32 s34, 0
	s_mov_b32 s36, -1
	s_waitcnt lgkmcnt(0)
	flat_load_b32 v2, v[8:9] glc
	s_waitcnt vmcnt(0) lgkmcnt(0)
	buffer_gl1_inv
	buffer_gl0_inv
	v_cmp_eq_u32_e32 vcc_lo, 0, v2
	s_and_b32 vcc_lo, vcc_lo, exec_lo
	s_delay_alu instid0(SALU_CYCLE_1)
	s_or_b32 s35, s35, vcc_lo
	s_branch .LBB6_8028
.LBB6_8033:                             ;   in Loop: Header=BB6_7988 Depth=2
	s_or_b32 exec_lo, exec_lo, s17
	s_and_saveexec_b32 s17, s30
	s_delay_alu instid0(SALU_CYCLE_1)
	s_xor_b32 s17, exec_lo, s17
	s_cbranch_execz .LBB6_8035
; %bb.8034:                             ;   in Loop: Header=BB6_7988 Depth=2
	ds_store_b32 v0, v46
	s_cbranch_execz .LBB6_8035
; %bb.18747:
	s_getpc_b64 s[48:49]
.Lpost_getpc400:
	s_add_u32 s48, s48, (.LBB6_18433-.Lpost_getpc400)&4294967295
	s_addc_u32 s49, s49, (.LBB6_18433-.Lpost_getpc400)>>32
	s_setpc_b64 s[48:49]
.LBB6_8035:                             ;   in Loop: Header=BB6_7988 Depth=2
	s_or_b32 exec_lo, exec_lo, s16
	;;#ASMSTART
	s_wakeup
	;;#ASMEND
.LBB6_8036:                             ;   in Loop: Header=BB6_7988 Depth=2
	s_or_b32 exec_lo, exec_lo, s15
.LBB6_8037:                             ;   in Loop: Header=BB6_7988 Depth=2
	s_and_not1_saveexec_b32 s14, s14
	s_cbranch_execz .LBB6_8039
; %bb.8038:                             ;   in Loop: Header=BB6_7988 Depth=2
	s_waitcnt lgkmcnt(0)
	s_waitcnt_vscnt null, 0x0
	buffer_gl1_inv
	buffer_gl0_inv
	s_barrier
.LBB6_8039:                             ;   in Loop: Header=BB6_7988 Depth=2
	s_or_b32 exec_lo, exec_lo, s14
.LBB6_8040:                             ;   in Loop: Header=BB6_7988 Depth=2
	s_delay_alu instid0(SALU_CYCLE_1)
	s_or_b32 exec_lo, exec_lo, s13
	s_cbranch_execz .LBB6_8041
; %bb.18749:
	s_getpc_b64 s[48:49]
.Lpost_getpc401:
	s_add_u32 s48, s48, (.LBB6_18035-.Lpost_getpc401)&4294967295
	s_addc_u32 s49, s49, (.LBB6_18035-.Lpost_getpc401)>>32
	s_setpc_b64 s[48:49]
.LBB6_8041:                             ;   in Loop: Header=BB6_7988 Depth=2
	ds_load_b32 v8, v0
	v_and_b32_e32 v2, 0x4000, v30
	s_xor_b32 s13, s2, -1
	s_delay_alu instid0(VALU_DEP_1) | instskip(SKIP_1) | instid1(SALU_CYCLE_1)
	v_cmp_ne_u32_e32 vcc_lo, 0, v2
	s_and_b32 s14, s13, vcc_lo
	s_and_saveexec_b32 s13, s14
	s_cbranch_execz .LBB6_8063
; %bb.8042:                             ;   in Loop: Header=BB6_7988 Depth=2
	s_and_saveexec_b32 s14, s4
	s_delay_alu instid0(SALU_CYCLE_1)
	s_xor_b32 s14, exec_lo, s14
	s_cbranch_execz .LBB6_8060
; %bb.8043:                             ;   in Loop: Header=BB6_7988 Depth=2
	s_and_saveexec_b32 s15, s1
	s_cbranch_execz .LBB6_8059
; %bb.8044:                             ;   in Loop: Header=BB6_7988 Depth=2
	s_mov_b32 s17, exec_lo
	s_mov_b32 s16, exec_lo
	v_mbcnt_lo_u32_b32 v2, s17, 0
	s_waitcnt lgkmcnt(0)
	s_waitcnt_vscnt null, 0x0
	buffer_gl1_inv
	buffer_gl0_inv
	v_cmpx_eq_u32_e32 0, v2
	s_cbranch_execz .LBB6_8046
; %bb.8045:                             ;   in Loop: Header=BB6_7988 Depth=2
	s_bcnt1_i32_b32 s17, s17
	s_delay_alu instid0(SALU_CYCLE_1)
	v_mov_b32_e32 v2, s17
	ds_add_u64 v0, v[2:3]
	s_cbranch_execz .LBB6_8046
; %bb.18751:
	s_getpc_b64 s[48:49]
.Lpost_getpc402:
	s_add_u32 s48, s48, (.LBB6_18209-.Lpost_getpc402)&4294967295
	s_addc_u32 s49, s49, (.LBB6_18209-.Lpost_getpc402)>>32
	s_setpc_b64 s[48:49]
.LBB6_8046:                             ;   in Loop: Header=BB6_7988 Depth=2
	s_or_b32 exec_lo, exec_lo, s16
	s_cbranch_execz .LBB6_8047
; %bb.18753:
	s_getpc_b64 s[48:49]
.Lpost_getpc403:
	s_add_u32 s48, s48, (.LBB6_18177-.Lpost_getpc403)&4294967295
	s_addc_u32 s49, s49, (.LBB6_18177-.Lpost_getpc403)>>32
	s_setpc_b64 s[48:49]
.LBB6_8047:                             ;   in Loop: Header=BB6_7988 Depth=2
	ds_load_b64 v[9:10], v0
	v_dual_mov_b32 v11, v154 :: v_dual_mov_b32 v12, v155
	s_mov_b32 s16, exec_lo
	s_delay_alu instid0(VALU_DEP_1) | instskip(NEXT) | instid1(VALU_DEP_2)
	v_add_co_u32 v11, vcc_lo, v11, v97
	v_add_co_ci_u32_e32 v12, vcc_lo, 0, v12, vcc_lo
	s_delay_alu instid0(VALU_DEP_1)
	v_dual_mov_b32 v155, v12 :: v_dual_mov_b32 v154, v11
	s_waitcnt lgkmcnt(0)
	v_cmpx_lt_u64_e64 v[9:10], v[11:12]
	s_cbranch_execz .LBB6_8058
; %bb.8048:                             ;   in Loop: Header=BB6_7988 Depth=2
	s_mov_b32 s17, 0
	s_mov_b32 s34, 0
                                        ; implicit-def: $sgpr30
                                        ; implicit-def: $sgpr31
	s_branch .LBB6_8050
.LBB6_8049:                             ;   in Loop: Header=BB6_8050 Depth=3
	s_or_b32 exec_lo, exec_lo, s36
	s_delay_alu instid0(SALU_CYCLE_1) | instskip(NEXT) | instid1(SALU_CYCLE_1)
	s_and_b32 vcc_lo, exec_lo, vcc_lo
	s_or_b32 s17, vcc_lo, s17
	s_and_not1_b32 vcc_lo, s30, exec_lo
	s_and_b32 s30, s31, exec_lo
	s_delay_alu instid0(SALU_CYCLE_1)
	s_or_b32 s30, vcc_lo, s30
	s_and_not1_b32 exec_lo, exec_lo, s17
	s_cbranch_execz .LBB6_8056
.LBB6_8050:                             ;   Parent Loop BB6_51 Depth=1
                                        ;     Parent Loop BB6_7988 Depth=2
                                        ; =>    This Inner Loop Header: Depth=3
	s_add_i32 s34, s34, 1
                                        ; implicit-def: $sgpr36
	s_delay_alu instid0(SALU_CYCLE_1) | instskip(SKIP_1) | instid1(SALU_CYCLE_1)
	s_cmpk_lg_i32 s34, 0x2710
	s_cselect_b32 s35, -1, 0
	s_and_b32 vcc_lo, exec_lo, s35
	s_cbranch_vccz .LBB6_8054
.LBB6_8051:                             ;   in Loop: Header=BB6_8050 Depth=3
	s_and_not1_b32 s31, s31, exec_lo
	s_and_b32 s36, s36, exec_lo
	s_mov_b32 vcc_lo, -1
	s_or_b32 s31, s31, s36
	s_and_saveexec_b32 s36, s35
	s_cbranch_execz .LBB6_8049
; %bb.8052:                             ;   in Loop: Header=BB6_8050 Depth=3
	s_sleep 1
	s_cbranch_execz .LBB6_8053
; %bb.18755:
	s_getpc_b64 s[48:49]
.Lpost_getpc404:
	s_add_u32 s48, s48, (.LBB6_18267-.Lpost_getpc404)&4294967295
	s_addc_u32 s49, s49, (.LBB6_18267-.Lpost_getpc404)>>32
	s_setpc_b64 s[48:49]
.LBB6_8053:                             ;   in Loop: Header=BB6_8050 Depth=3
	ds_load_b64 v[9:10], v0
	s_and_not1_b32 s31, s31, exec_lo
	s_waitcnt lgkmcnt(0)
	v_cmp_ge_u64_e32 vcc_lo, v[9:10], v[154:155]
	s_or_not1_b32 vcc_lo, vcc_lo, exec_lo
	s_branch .LBB6_8049
.LBB6_8054:                             ;   in Loop: Header=BB6_8050 Depth=3
	s_cbranch_execz .LBB6_8055
; %bb.18757:
	s_getpc_b64 s[48:49]
.Lpost_getpc405:
	s_add_u32 s48, s48, (.LBB6_18283-.Lpost_getpc405)&4294967295
	s_addc_u32 s49, s49, (.LBB6_18283-.Lpost_getpc405)>>32
	s_setpc_b64 s[48:49]
.LBB6_8055:                             ;   in Loop: Header=BB6_8050 Depth=3
	ds_load_b64 v[9:10], v0
	s_and_not1_b32 s35, s35, exec_lo
	s_mov_b32 s34, 0
	s_mov_b32 s36, -1
	s_waitcnt lgkmcnt(0)
	flat_load_b32 v2, v[9:10] glc
	s_waitcnt vmcnt(0) lgkmcnt(0)
	buffer_gl1_inv
	buffer_gl0_inv
	v_cmp_eq_u32_e32 vcc_lo, 0, v2
	s_and_b32 vcc_lo, vcc_lo, exec_lo
	s_delay_alu instid0(SALU_CYCLE_1)
	s_or_b32 s35, s35, vcc_lo
	s_branch .LBB6_8051
.LBB6_8056:                             ;   in Loop: Header=BB6_7988 Depth=2
	s_or_b32 exec_lo, exec_lo, s17
	s_and_saveexec_b32 s17, s30
	s_delay_alu instid0(SALU_CYCLE_1)
	s_xor_b32 s17, exec_lo, s17
	s_cbranch_execz .LBB6_8058
; %bb.8057:                             ;   in Loop: Header=BB6_7988 Depth=2
	ds_store_b32 v0, v46
	s_cbranch_execz .LBB6_8058
; %bb.18759:
	s_getpc_b64 s[48:49]
.Lpost_getpc406:
	s_add_u32 s48, s48, (.LBB6_18457-.Lpost_getpc406)&4294967295
	s_addc_u32 s49, s49, (.LBB6_18457-.Lpost_getpc406)>>32
	s_setpc_b64 s[48:49]
.LBB6_8058:                             ;   in Loop: Header=BB6_7988 Depth=2
	s_or_b32 exec_lo, exec_lo, s16
	;;#ASMSTART
	s_wakeup
	;;#ASMEND
.LBB6_8059:                             ;   in Loop: Header=BB6_7988 Depth=2
	s_or_b32 exec_lo, exec_lo, s15
.LBB6_8060:                             ;   in Loop: Header=BB6_7988 Depth=2
	s_and_not1_saveexec_b32 s14, s14
	s_cbranch_execz .LBB6_8062
; %bb.8061:                             ;   in Loop: Header=BB6_7988 Depth=2
	s_waitcnt lgkmcnt(0)
	s_waitcnt_vscnt null, 0x0
	buffer_gl1_inv
	buffer_gl0_inv
	s_barrier
.LBB6_8062:                             ;   in Loop: Header=BB6_7988 Depth=2
	s_or_b32 exec_lo, exec_lo, s14
.LBB6_8063:                             ;   in Loop: Header=BB6_7988 Depth=2
	s_delay_alu instid0(SALU_CYCLE_1)
	s_or_b32 exec_lo, exec_lo, s13
	s_cbranch_execz .LBB6_8064
; %bb.18761:
	s_getpc_b64 s[48:49]
.Lpost_getpc407:
	s_add_u32 s48, s48, (.LBB6_18069-.Lpost_getpc407)&4294967295
	s_addc_u32 s49, s49, (.LBB6_18069-.Lpost_getpc407)>>32
	s_setpc_b64 s[48:49]
.LBB6_8064:                             ;   in Loop: Header=BB6_7988 Depth=2
	ds_load_b64 v[9:10], v0
	v_mov_b32_e32 v150, 0
	s_waitcnt lgkmcnt(0)
	v_cmp_eq_u64_e32 vcc_lo, 0, v[9:10]
	s_or_b32 s13, vcc_lo, vcc_lo
	s_delay_alu instid0(SALU_CYCLE_1)
	s_and_b32 vcc_lo, exec_lo, s13
	s_cbranch_vccz .LBB6_8065
; %bb.18763:                            ;   in Loop: Header=BB6_7988 Depth=2
	s_getpc_b64 s[48:49]
.Lpost_getpc408:
	s_add_u32 s48, s48, (.LBB6_17255-.Lpost_getpc408)&4294967295
	s_addc_u32 s49, s49, (.LBB6_17255-.Lpost_getpc408)>>32
	s_setpc_b64 s[48:49]
.LBB6_8065:                             ;   in Loop: Header=BB6_7988 Depth=2
	v_cmp_eq_u32_e32 vcc_lo, 0, v8
	s_cbranch_execz .LBB6_8066
; %bb.18765:
	s_getpc_b64 s[48:49]
.Lpost_getpc409:
	s_add_u32 s48, s48, (.LBB6_18129-.Lpost_getpc409)&4294967295
	s_addc_u32 s49, s49, (.LBB6_18129-.Lpost_getpc409)>>32
	s_setpc_b64 s[48:49]
.LBB6_8066:                             ;   in Loop: Header=BB6_7988 Depth=2
	ds_load_b64 v[8:9], v0
	v_cndmask_b32_e32 v150, 0, v68, vcc_lo
	s_waitcnt lgkmcnt(0)
	v_cmp_ne_u64_e64 s13, 0, v[8:9]
	s_delay_alu instid0(VALU_DEP_1)
	s_and_b32 vcc_lo, exec_lo, s13
	s_cbranch_vccz .LBB6_10645
; %bb.8067:                             ;   in Loop: Header=BB6_7988 Depth=2
	s_mov_b32 s13, -1
	s_and_saveexec_b32 s14, s12
	s_cbranch_execz .LBB6_8069
; %bb.8068:                             ;   in Loop: Header=BB6_7988 Depth=2
	ds_load_b32 v2, v0 offset:720
	s_waitcnt lgkmcnt(0)
	v_and_b32_e32 v2, 15, v2
	s_delay_alu instid0(VALU_DEP_1)
	v_cmp_eq_u32_e32 vcc_lo, 0, v2
	s_or_not1_b32 s13, vcc_lo, exec_lo
.LBB6_8069:                             ;   in Loop: Header=BB6_7988 Depth=2
	s_or_b32 exec_lo, exec_lo, s14
	s_and_saveexec_b32 s14, s12
	s_cbranch_execz .LBB6_8071
; %bb.8070:                             ;   in Loop: Header=BB6_7988 Depth=2
	ds_load_b32 v2, v0 offset:784
	s_waitcnt lgkmcnt(0)
	v_and_b32_e32 v2, 15, v2
	s_delay_alu instid0(VALU_DEP_1) | instskip(SKIP_3) | instid1(SALU_CYCLE_1)
	v_cmp_eq_u32_e32 vcc_lo, 0, v2
	s_and_b32 s15, s13, vcc_lo
	s_and_not1_b32 s13, s13, exec_lo
	s_and_b32 s15, s15, exec_lo
	s_or_b32 s13, s13, s15
.LBB6_8071:                             ;   in Loop: Header=BB6_7988 Depth=2
	s_or_b32 exec_lo, exec_lo, s14
	s_xor_b32 s13, s13, -1
	v_dual_mov_b32 v18, 0 :: v_dual_mov_b32 v19, v150
	v_cndmask_b32_e64 v2, 0, 1, s13
	;;#ASMSTART
	;;#ASMEND
	s_delay_alu instid0(VALU_DEP_1)
	v_cmp_ne_u32_e32 vcc_lo, 0, v2
	v_mov_b32_e32 v20, v0
	v_mov_b32_e32 v8, v156
	s_mov_b32 s13, -1
	s_cbranch_vccz .LBB6_8072
; %bb.18767:                            ;   in Loop: Header=BB6_7988 Depth=2
	s_getpc_b64 s[48:49]
.Lpost_getpc410:
	s_add_u32 s48, s48, (.LBB6_11308-.Lpost_getpc410)&4294967295
	s_addc_u32 s49, s49, (.LBB6_11308-.Lpost_getpc410)>>32
	s_setpc_b64 s[48:49]
.LBB6_8072:                             ;   in Loop: Header=BB6_7988 Depth=2
	v_ashrrev_i32_e32 v2, 31, v150
	s_mov_b32 s14, exec_lo
	s_delay_alu instid0(VALU_DEP_1) | instskip(NEXT) | instid1(VALU_DEP_1)
	v_lshrrev_b32_e32 v2, 21, v2
	v_add_nc_u32_e32 v2, v150, v2
	s_delay_alu instid0(VALU_DEP_1) | instskip(NEXT) | instid1(VALU_DEP_1)
	v_ashrrev_i32_e32 v151, 11, v2
	v_sub_nc_u32_e32 v2, v151, v156
	s_delay_alu instid0(VALU_DEP_1)
	v_cmpx_lt_i32_e32 0, v2
	s_cbranch_execz .LBB6_10647
; %bb.8073:                             ;   in Loop: Header=BB6_7988 Depth=2
	s_cbranch_execz .LBB6_8074
; %bb.18769:
	s_getpc_b64 s[48:49]
.Lpost_getpc411:
	s_add_u32 s48, s48, (.LBB6_18309-.Lpost_getpc411)&4294967295
	s_addc_u32 s49, s49, (.LBB6_18309-.Lpost_getpc411)>>32
	s_setpc_b64 s[48:49]
.LBB6_8074:                             ;   in Loop: Header=BB6_7988 Depth=2
	ds_load_b64 v[12:13], v0
	ds_load_b128 v[8:11], v0
	s_waitcnt lgkmcnt(1)
	v_mov_b32_e32 v13, v188
	v_readfirstlane_b32 s13, v12
	s_waitcnt lgkmcnt(0)
	s_delay_alu instid0(VALU_DEP_2) | instskip(SKIP_1) | instid1(VALU_DEP_3)
	v_add_co_u32 v69, vcc_lo, v8, v13
	v_mov_b32_e32 v8, v189
	s_and_b32 s15, s13, 3
	s_delay_alu instid0(SALU_CYCLE_1) | instskip(NEXT) | instid1(VALU_DEP_1)
	s_clz_i32_u32 s16, s15
	v_add_co_ci_u32_e32 v70, vcc_lo, v9, v8, vcc_lo
	s_min_u32 s16, s16, 32
	v_add_co_u32 v80, vcc_lo, v10, v13
	s_sub_i32 s17, s16, 29
	v_add_co_ci_u32_e32 v81, vcc_lo, v11, v8, vcc_lo
	s_lshl_b32 s17, s13, s17
	s_bfe_u32 vcc_lo, s13, 0x50002
	s_sub_i32 s16, 30, s16
	s_and_b32 s17, s17, 3
	s_cmp_eq_u32 vcc_lo, 0
	v_dual_mov_b32 v83, v70 :: v_dual_and_b32 v160, 0xff, v12
	s_cselect_b32 s16, s16, vcc_lo
	s_cselect_b32 s15, s17, s15
	s_lshl_b32 s13, s13, 24
	s_lshl_b32 s17, s15, 21
	;; [unrolled: 1-line block ×3, first 2 shown]
	s_and_b32 s13, s13, 0x80000000
	s_add_i32 s15, s15, 0x37800000
	v_mov_b32_e32 v82, v69
	v_dual_mov_b32 v85, v81 :: v_dual_mov_b32 v84, v80
	s_or_b32 s13, s13, s15
	s_mov_b32 s15, 0
	s_or_b32 s16, s13, s17
	s_branch .LBB6_8078
.LBB6_8075:                             ;   in Loop: Header=BB6_8078 Depth=3
	s_or_b32 exec_lo, exec_lo, s13
	s_delay_alu instid0(VALU_DEP_1) | instskip(NEXT) | instid1(VALU_DEP_2)
	v_lshrrev_b32_e32 v48, 21, v48
	v_cmp_gt_i32_e32 vcc_lo, 32, v11
	v_min_i32_e32 v49, 31, v11
	v_lshrrev_b32_e32 v39, 24, v39
	s_delay_alu instid0(VALU_DEP_2) | instskip(NEXT) | instid1(VALU_DEP_2)
	v_dual_cndmask_b32 v48, 3, v48 :: v_dual_lshlrev_b32 v49, 2, v49
	v_and_b32_e32 v39, 0x80, v39
	s_delay_alu instid0(VALU_DEP_2) | instskip(NEXT) | instid1(VALU_DEP_3)
	v_or_b32_e32 v11, v11, v48
	v_and_b32_e32 v49, 0xfc, v49
	s_delay_alu instid0(VALU_DEP_2) | instskip(SKIP_1) | instid1(VALU_DEP_1)
	v_cmp_ne_u32_e32 vcc_lo, 0, v11
	v_and_b32_e32 v50, 3, v48
	v_or3_b32 v39, v39, v49, v50
	s_delay_alu instid0(VALU_DEP_1) | instskip(NEXT) | instid1(VALU_DEP_1)
	v_lshlrev_b32_e32 v39, 8, v39
	v_cndmask_b32_e32 v11, 0, v39, vcc_lo
.LBB6_8076:                             ;   in Loop: Header=BB6_8078 Depth=3
	s_or_b32 exec_lo, exec_lo, s30
.LBB6_8077:                             ;   in Loop: Header=BB6_8078 Depth=3
	s_delay_alu instid0(SALU_CYCLE_1)
	s_or_b32 exec_lo, exec_lo, s17
	v_or_b32_e32 v13, v13, v63
	v_and_b32_e32 v39, 0xff, v76
	v_lshlrev_b32_e32 v49, 8, v78
	v_and_b32_e32 v50, 0xff, v59
	v_lshlrev_b32_e32 v51, 8, v60
	;; [unrolled: 2-line block ×3, first 2 shown]
	v_lshlrev_b32_e32 v13, 16, v13
	v_lshlrev_b32_e32 v39, 16, v39
	v_perm_b32 v49, v49, v88, 0xc0c0500
	v_lshlrev_b32_e32 v14, 24, v14
	v_lshlrev_b32_e32 v50, 16, v50
	v_perm_b32 v51, v51, v62, 0xc0c0500
	v_or3_b32 v13, v74, v48, v13
	v_or3_b32 v12, v12, v39, v49
	v_and_b32_e32 v48, 0xff, v120
	v_lshlrev_b32_e32 v49, 8, v121
	v_or3_b32 v14, v14, v50, v51
	v_and_b32_e32 v50, 0xff, v94
	v_lshlrev_b32_e32 v51, 8, v95
	v_lshlrev_b32_e32 v16, 24, v16
	;; [unrolled: 1-line block ×3, first 2 shown]
	v_perm_b32 v49, v49, v124, 0xc0c0500
	v_lshlrev_b32_e32 v18, 24, v18
	v_lshlrev_b32_e32 v50, 16, v50
	v_perm_b32 v51, v51, v105, 0xc0c0500
	v_or_b32_e32 v15, v15, v103
	v_or_b32_e32 v17, v17, v107
	v_or3_b32 v16, v16, v48, v49
	v_or_b32_e32 v21, v21, v58
	v_or3_b32 v18, v18, v50, v51
	v_and_b32_e32 v49, 0xff, v178
	v_lshlrev_b32_e32 v50, 8, v163
	v_and_b32_e32 v53, 0xff, v96
	v_lshlrev_b32_e32 v15, 16, v15
	;; [unrolled: 2-line block ×3, first 2 shown]
	v_or_b32_e32 v19, v19, v90
	v_and_b32_e32 v48, 0xff, v41
	v_lshlrev_b32_e32 v21, 16, v21
	v_lshlrev_b32_e32 v20, 24, v20
	;; [unrolled: 1-line block ×3, first 2 shown]
	v_perm_b32 v50, v50, v161, 0xc0c0500
	v_or3_b32 v15, v133, v53, v15
	v_or3_b32 v17, v110, v39, v17
	v_and_b32_e32 v39, 0xff, v91
	v_lshlrev_b32_e32 v19, 16, v19
	v_and_b32_e32 v51, 0xff, v89
	v_lshlrev_b32_e32 v53, 8, v77
	v_or_b32_e32 v23, v23, v123
	v_or3_b32 v21, v45, v48, v21
	v_or3_b32 v20, v20, v49, v50
	v_or_b32_e32 v9, v9, v132
	v_and_b32_e32 v48, 0xff, v40
	v_lshlrev_b32_e32 v50, 8, v42
	v_and_b32_e32 v27, 0xff, v27
	v_lshlrev_b32_e32 v26, 8, v26
	v_or_b32_e32 v11, v11, v38
	v_lshlrev_b32_e32 v22, 24, v22
	v_lshlrev_b32_e32 v51, 16, v51
	v_perm_b32 v53, v53, v72, 0xc0c0500
	v_or3_b32 v19, v92, v39, v19
	v_and_b32_e32 v39, 0xff, v106
	v_lshlrev_b32_e32 v23, 16, v23
	v_and_b32_e32 v49, 0xff, v129
	v_lshlrev_b32_e32 v9, 16, v9
	v_lshlrev_b32_e32 v8, 24, v8
	;; [unrolled: 1-line block ×3, first 2 shown]
	v_perm_b32 v50, v50, v144, 0xc0c0500
	v_lshlrev_b32_e32 v10, 24, v10
	v_lshlrev_b32_e32 v27, 16, v27
	v_perm_b32 v26, v26, v52, 0xc0c0500
	v_and_b32_e32 v36, 0xff, v36
	v_lshlrev_b32_e32 v11, 16, v11
	v_or3_b32 v22, v22, v51, v53
	v_or3_b32 v23, v108, v39, v23
	;; [unrolled: 1-line block ×6, first 2 shown]
	s_clause 0x3
	global_store_b128 v[82:83], v[20:23], off glc slc dlc
	global_store_b128 v[82:83], v[16:19], off offset:512 glc slc dlc
	global_store_b128 v[82:83], v[12:15], off offset:1024 glc slc dlc
	;; [unrolled: 1-line block ×3, first 2 shown]
	s_clause 0x3
	global_store_b128 v[84:85], v[20:23], off glc slc dlc
	global_store_b128 v[84:85], v[16:19], off offset:512 glc slc dlc
	global_store_b128 v[84:85], v[12:15], off offset:1024 glc slc dlc
	;; [unrolled: 1-line block ×3, first 2 shown]
	v_mov_b32_e32 v9, v43
	v_mov_b32_e32 v8, v183
	v_sub_nc_u32_e32 v2, v2, v97
	s_delay_alu instid0(VALU_DEP_2) | instskip(NEXT) | instid1(VALU_DEP_4)
	v_add_co_u32 v69, vcc_lo, v69, v8
	v_add_co_ci_u32_e32 v70, vcc_lo, v70, v9, vcc_lo
	v_add_co_u32 v80, vcc_lo, v80, v8
	v_add_co_ci_u32_e32 v81, vcc_lo, v81, v9, vcc_lo
	;; [unrolled: 2-line block ×3, first 2 shown]
	v_cmp_gt_i32_e32 vcc_lo, 1, v2
	v_add_co_u32 v84, s13, v84, v8
	s_delay_alu instid0(VALU_DEP_1) | instskip(SKIP_1) | instid1(SALU_CYCLE_1)
	v_add_co_ci_u32_e64 v85, s13, v85, v9, s13
	s_or_b32 s15, vcc_lo, s15
	s_and_not1_b32 exec_lo, exec_lo, s15
	s_cbranch_execz .LBB6_10646
.LBB6_8078:                             ;   Parent Loop BB6_51 Depth=1
                                        ;     Parent Loop BB6_7988 Depth=2
                                        ; =>    This Inner Loop Header: Depth=3
	v_cmp_gt_i16_e64 vcc_lo, 0x80, v160
	s_delay_alu instid0(VALU_DEP_1)
	s_and_b32 vcc_lo, exec_lo, vcc_lo
	s_cbranch_vccnz .LBB6_8082
; %bb.8079:                             ;   in Loop: Header=BB6_8078 Depth=3
	v_cmp_eq_u16_e64 vcc_lo, 0x80, v160
	s_mov_b32 s13, -1
                                        ; implicit-def: $sgpr17
	s_delay_alu instid0(VALU_DEP_1)
	s_and_b32 vcc_lo, exec_lo, vcc_lo
	s_cbranch_vccz .LBB6_8081
; %bb.8080:                             ;   in Loop: Header=BB6_8078 Depth=3
	s_mov_b32 s13, 0
	s_mov_b32 s17, 0x7f800001
.LBB6_8081:                             ;   in Loop: Header=BB6_8078 Depth=3
	s_mov_b32 vcc_lo, 0
	s_branch .LBB6_8083
.LBB6_8082:                             ;   in Loop: Header=BB6_8078 Depth=3
	s_mov_b32 vcc_lo, -1
	s_mov_b32 s13, 0
                                        ; implicit-def: $sgpr17
.LBB6_8083:                             ;   in Loop: Header=BB6_8078 Depth=3
	s_and_b32 vcc_lo, exec_lo, vcc_lo
	s_cbranch_vccz .LBB6_8085
; %bb.8084:                             ;   in Loop: Header=BB6_8078 Depth=3
	v_cmp_ne_u16_e64 s13, 0, v160
	s_mov_b32 s17, 0
.LBB6_8085:                             ;   in Loop: Header=BB6_8078 Depth=3
	s_delay_alu instid0(VALU_DEP_1)
	s_and_not1_b32 vcc_lo, exec_lo, s13
	s_cbranch_vccnz .LBB6_8087
; %bb.8086:                             ;   in Loop: Header=BB6_8078 Depth=3
	s_mov_b32 s17, s16
.LBB6_8087:                             ;   in Loop: Header=BB6_8078 Depth=3
	global_load_b128 v[8:11], v[69:70], off slc dlc
	s_mov_b32 s13, 0
	s_mov_b32 s31, exec_lo
                                        ; implicit-def: $sgpr30
	s_waitcnt vmcnt(0)
	v_and_b32_e32 v13, 0xff, v8
	s_delay_alu instid0(VALU_DEP_1)
	v_cmpx_lt_i16_e32 0x7f, v13
	s_xor_b32 s31, exec_lo, s31
	s_cbranch_execnz .LBB6_9877
; %bb.8088:                             ;   in Loop: Header=BB6_8078 Depth=3
	s_or_saveexec_b32 s31, s31
	v_mov_b32_e32 v12, s30
	s_xor_b32 exec_lo, exec_lo, s31
	s_cbranch_execnz .LBB6_9880
.LBB6_8089:                             ;   in Loop: Header=BB6_8078 Depth=3
	s_or_b32 exec_lo, exec_lo, s31
	s_and_saveexec_b32 s30, s13
	s_cbranch_execz .LBB6_8091
.LBB6_8090:                             ;   in Loop: Header=BB6_8078 Depth=3
	v_bfe_u32 v15, v8, 2, 5
	v_lshlrev_b32_e32 v16, 24, v8
	s_delay_alu instid0(VALU_DEP_2) | instskip(SKIP_1) | instid1(VALU_DEP_1)
	v_cmp_eq_u32_e32 vcc_lo, 0, v15
	v_and_b32_e32 v12, 3, v8
	v_clz_i32_u32_e32 v13, v12
	s_delay_alu instid0(VALU_DEP_1) | instskip(NEXT) | instid1(VALU_DEP_1)
	v_min_u32_e32 v13, 32, v13
	v_subrev_nc_u32_e32 v14, 29, v13
	v_sub_nc_u32_e32 v13, 30, v13
	s_delay_alu instid0(VALU_DEP_1) | instskip(NEXT) | instid1(VALU_DEP_1)
	v_dual_cndmask_b32 v13, v15, v13 :: v_dual_lshlrev_b32 v14, v14, v8
	v_and_b32_e32 v14, 3, v14
	s_delay_alu instid0(VALU_DEP_2) | instskip(NEXT) | instid1(VALU_DEP_2)
	v_lshl_add_u32 v13, v13, 23, 0x37800000
	v_cndmask_b32_e32 v12, v12, v14, vcc_lo
	v_and_b32_e32 v14, 0x80000000, v16
	s_delay_alu instid0(VALU_DEP_2) | instskip(NEXT) | instid1(VALU_DEP_1)
	v_lshlrev_b32_e32 v12, 21, v12
	v_or3_b32 v12, v14, v13, v12
.LBB6_8091:                             ;   in Loop: Header=BB6_8078 Depth=3
	s_or_b32 exec_lo, exec_lo, s30
	s_delay_alu instid0(VALU_DEP_1) | instskip(SKIP_1) | instid1(VALU_DEP_1)
	v_dual_mul_f32 v12, s17, v12 :: v_dual_mov_b32 v161, 0x80
	s_mov_b32 s30, exec_lo
	v_and_b32_e32 v13, 0x7f800000, v12
	s_delay_alu instid0(VALU_DEP_1)
	v_cmpx_ne_u32_e32 0x7f800000, v13
	s_cbranch_execz .LBB6_8099
; %bb.8092:                             ;   in Loop: Header=BB6_8078 Depth=3
	v_mov_b32_e32 v161, 0
	s_mov_b32 s31, exec_lo
	v_cmpx_ne_u32_e32 0, v12
	s_cbranch_execz .LBB6_8098
; %bb.8093:                             ;   in Loop: Header=BB6_8078 Depth=3
	v_bfe_u32 v13, v12, 23, 8
	s_delay_alu instid0(VALU_DEP_1) | instskip(SKIP_1) | instid1(VALU_DEP_2)
	v_sub_nc_u32_e32 v15, 0x70, v13
	v_cmp_gt_u32_e32 vcc_lo, 0x71, v13
	v_dual_cndmask_b32 v15, 0, v15 :: v_dual_and_b32 v14, 0x7fffff, v12
	s_delay_alu instid0(VALU_DEP_1) | instskip(SKIP_2) | instid1(VALU_DEP_4)
	v_or_b32_e32 v16, 0x800000, v14
	v_cmp_eq_u32_e32 vcc_lo, 0, v13
	v_add_nc_u32_e32 v13, 0xffffff91, v13
	v_cndmask_b32_e64 v15, v15, 0x6f, vcc_lo
	s_delay_alu instid0(VALU_DEP_4) | instskip(NEXT) | instid1(VALU_DEP_3)
	v_cndmask_b32_e32 v14, v16, v14, vcc_lo
	v_cndmask_b32_e64 v13, v13, 0xffffff92, vcc_lo
	s_delay_alu instid0(VALU_DEP_3) | instskip(NEXT) | instid1(VALU_DEP_3)
	v_lshl_add_u32 v16, 0x200000, v15, -1
	v_lshrrev_b32_e32 v17, v15, v14
	v_lshlrev_b32_e64 v19, v15, 0x100000
	s_delay_alu instid0(VALU_DEP_4) | instskip(NEXT) | instid1(VALU_DEP_4)
	v_add_nc_u32_e32 v15, v15, v13
	v_and_b32_e32 v14, v16, v14
	s_delay_alu instid0(VALU_DEP_4) | instskip(NEXT) | instid1(VALU_DEP_2)
	v_bfe_u32 v18, v17, 21, 1
	v_cmp_eq_u32_e64 s13, v14, v19
	s_delay_alu instid0(VALU_DEP_2) | instskip(NEXT) | instid1(VALU_DEP_1)
	v_add_nc_u32_e32 v16, -1, v18
	v_cndmask_b32_e64 v14, 0, v16, s13
	v_lshrrev_b32_e32 v16, 23, v17
	s_mov_b32 s13, exec_lo
	s_delay_alu instid0(VALU_DEP_2) | instskip(NEXT) | instid1(VALU_DEP_2)
	v_add_nc_u32_e32 v14, v14, v17
	v_xor_b32_e32 v16, 1, v16
	s_delay_alu instid0(VALU_DEP_2) | instskip(NEXT) | instid1(VALU_DEP_1)
	v_and_b32_e32 v13, 0x1fffff, v14
	v_add_nc_u32_e32 v14, v13, v17
                                        ; implicit-def: $vgpr13
	s_delay_alu instid0(VALU_DEP_3)
	v_cmpx_ne_u32_e64 v15, v16
	s_xor_b32 s13, exec_lo, s13
; %bb.8094:                             ;   in Loop: Header=BB6_8078 Depth=3
	s_delay_alu instid0(VALU_DEP_2) | instskip(SKIP_2) | instid1(VALU_DEP_2)
	v_cmp_lt_u32_e32 vcc_lo, 0xffffff, v14
	v_sub_nc_u32_e32 v13, v15, v16
	v_cndmask_b32_e64 v15, 0, 1, vcc_lo
	v_add_co_ci_u32_e32 v13, vcc_lo, 0, v13, vcc_lo
	s_delay_alu instid0(VALU_DEP_2)
	v_lshrrev_b32_e32 v14, v15, v14
; %bb.8095:                             ;   in Loop: Header=BB6_8078 Depth=3
	s_and_not1_saveexec_b32 s13, s13
; %bb.8096:                             ;   in Loop: Header=BB6_8078 Depth=3
	s_delay_alu instid0(VALU_DEP_1)
	v_bfe_u32 v13, v14, 23, 1
; %bb.8097:                             ;   in Loop: Header=BB6_8078 Depth=3
	s_or_b32 exec_lo, exec_lo, s13
	v_lshrrev_b32_e32 v14, 21, v14
	s_delay_alu instid0(VALU_DEP_2) | instskip(SKIP_2) | instid1(VALU_DEP_2)
	v_cmp_gt_i32_e32 vcc_lo, 32, v13
	v_min_i32_e32 v15, 31, v13
	v_lshrrev_b32_e32 v12, 24, v12
	v_dual_cndmask_b32 v14, 3, v14 :: v_dual_lshlrev_b32 v15, 2, v15
	s_delay_alu instid0(VALU_DEP_2) | instskip(NEXT) | instid1(VALU_DEP_2)
	v_and_b32_e32 v12, 0x80, v12
	v_or_b32_e32 v13, v13, v14
	s_delay_alu instid0(VALU_DEP_1) | instskip(SKIP_1) | instid1(VALU_DEP_1)
	v_cmp_ne_u32_e32 vcc_lo, 0, v13
	v_and_b32_e32 v16, 3, v14
	v_or3_b32 v12, v15, v12, v16
	s_delay_alu instid0(VALU_DEP_1)
	v_cndmask_b32_e32 v161, 0, v12, vcc_lo
.LBB6_8098:                             ;   in Loop: Header=BB6_8078 Depth=3
	s_or_b32 exec_lo, exec_lo, s31
.LBB6_8099:                             ;   in Loop: Header=BB6_8078 Depth=3
	s_delay_alu instid0(SALU_CYCLE_1) | instskip(SKIP_3) | instid1(VALU_DEP_1)
	s_or_b32 exec_lo, exec_lo, s30
	v_lshrrev_b16 v12, 8, v8
	s_mov_b32 s13, 0
	s_mov_b32 s31, exec_lo
                                        ; implicit-def: $sgpr30
	v_cmpx_lt_i16_e32 0x7f, v12
	s_xor_b32 s31, exec_lo, s31
	s_cbranch_execnz .LBB6_9881
; %bb.8100:                             ;   in Loop: Header=BB6_8078 Depth=3
	s_or_saveexec_b32 s31, s31
	v_mov_b32_e32 v13, s30
	s_xor_b32 exec_lo, exec_lo, s31
	s_cbranch_execnz .LBB6_9884
.LBB6_8101:                             ;   in Loop: Header=BB6_8078 Depth=3
	s_or_b32 exec_lo, exec_lo, s31
	s_and_saveexec_b32 s30, s13
	s_cbranch_execz .LBB6_8103
.LBB6_8102:                             ;   in Loop: Header=BB6_8078 Depth=3
	v_and_b32_e32 v13, 0xffff, v12
	v_lshlrev_b32_e32 v12, 24, v12
	s_delay_alu instid0(VALU_DEP_2) | instskip(NEXT) | instid1(VALU_DEP_2)
	v_and_b32_e32 v14, 3, v13
	v_and_b32_e32 v12, 0x80000000, v12
	s_delay_alu instid0(VALU_DEP_2) | instskip(NEXT) | instid1(VALU_DEP_1)
	v_clz_i32_u32_e32 v15, v14
	v_min_u32_e32 v15, 32, v15
	s_delay_alu instid0(VALU_DEP_1) | instskip(SKIP_1) | instid1(VALU_DEP_2)
	v_subrev_nc_u32_e32 v16, 29, v15
	v_sub_nc_u32_e32 v15, 30, v15
	v_lshlrev_b32_e32 v16, v16, v13
	v_bfe_u32 v13, v13, 2, 5
	s_delay_alu instid0(VALU_DEP_2) | instskip(NEXT) | instid1(VALU_DEP_2)
	v_and_b32_e32 v16, 3, v16
	v_cmp_eq_u32_e32 vcc_lo, 0, v13
	s_delay_alu instid0(VALU_DEP_2) | instskip(NEXT) | instid1(VALU_DEP_1)
	v_dual_cndmask_b32 v13, v13, v15 :: v_dual_cndmask_b32 v14, v14, v16
	v_lshl_add_u32 v13, v13, 23, 0x37800000
	s_delay_alu instid0(VALU_DEP_2) | instskip(NEXT) | instid1(VALU_DEP_1)
	v_lshlrev_b32_e32 v14, 21, v14
	v_or3_b32 v13, v12, v13, v14
.LBB6_8103:                             ;   in Loop: Header=BB6_8078 Depth=3
	s_or_b32 exec_lo, exec_lo, s30
	s_delay_alu instid0(VALU_DEP_1) | instskip(SKIP_1) | instid1(VALU_DEP_1)
	v_dual_mul_f32 v12, s17, v13 :: v_dual_mov_b32 v163, 0x80
	s_mov_b32 s30, exec_lo
	v_and_b32_e32 v13, 0x7f800000, v12
	s_delay_alu instid0(VALU_DEP_1)
	v_cmpx_ne_u32_e32 0x7f800000, v13
	s_cbranch_execz .LBB6_8111
; %bb.8104:                             ;   in Loop: Header=BB6_8078 Depth=3
	v_mov_b32_e32 v163, 0
	s_mov_b32 s31, exec_lo
	v_cmpx_ne_u32_e32 0, v12
	s_cbranch_execz .LBB6_8110
; %bb.8105:                             ;   in Loop: Header=BB6_8078 Depth=3
	v_bfe_u32 v13, v12, 23, 8
	s_delay_alu instid0(VALU_DEP_1) | instskip(SKIP_1) | instid1(VALU_DEP_2)
	v_sub_nc_u32_e32 v15, 0x70, v13
	v_cmp_gt_u32_e32 vcc_lo, 0x71, v13
	v_dual_cndmask_b32 v15, 0, v15 :: v_dual_and_b32 v14, 0x7fffff, v12
	s_delay_alu instid0(VALU_DEP_1) | instskip(SKIP_2) | instid1(VALU_DEP_4)
	v_or_b32_e32 v16, 0x800000, v14
	v_cmp_eq_u32_e32 vcc_lo, 0, v13
	v_add_nc_u32_e32 v13, 0xffffff91, v13
	v_cndmask_b32_e64 v15, v15, 0x6f, vcc_lo
	s_delay_alu instid0(VALU_DEP_4) | instskip(NEXT) | instid1(VALU_DEP_3)
	v_cndmask_b32_e32 v14, v16, v14, vcc_lo
	v_cndmask_b32_e64 v13, v13, 0xffffff92, vcc_lo
	s_delay_alu instid0(VALU_DEP_3) | instskip(NEXT) | instid1(VALU_DEP_3)
	v_lshl_add_u32 v16, 0x200000, v15, -1
	v_lshrrev_b32_e32 v17, v15, v14
	v_lshlrev_b32_e64 v19, v15, 0x100000
	s_delay_alu instid0(VALU_DEP_4) | instskip(NEXT) | instid1(VALU_DEP_4)
	v_add_nc_u32_e32 v15, v15, v13
	v_and_b32_e32 v14, v16, v14
	s_delay_alu instid0(VALU_DEP_4) | instskip(NEXT) | instid1(VALU_DEP_2)
	v_bfe_u32 v18, v17, 21, 1
	v_cmp_eq_u32_e64 s13, v14, v19
	s_delay_alu instid0(VALU_DEP_2) | instskip(NEXT) | instid1(VALU_DEP_1)
	v_add_nc_u32_e32 v16, -1, v18
	v_cndmask_b32_e64 v14, 0, v16, s13
	v_lshrrev_b32_e32 v16, 23, v17
	s_mov_b32 s13, exec_lo
	s_delay_alu instid0(VALU_DEP_2) | instskip(NEXT) | instid1(VALU_DEP_2)
	v_add_nc_u32_e32 v14, v14, v17
	v_xor_b32_e32 v16, 1, v16
	s_delay_alu instid0(VALU_DEP_2) | instskip(NEXT) | instid1(VALU_DEP_1)
	v_and_b32_e32 v13, 0x1fffff, v14
	v_add_nc_u32_e32 v14, v13, v17
                                        ; implicit-def: $vgpr13
	s_delay_alu instid0(VALU_DEP_3)
	v_cmpx_ne_u32_e64 v15, v16
	s_xor_b32 s13, exec_lo, s13
; %bb.8106:                             ;   in Loop: Header=BB6_8078 Depth=3
	s_delay_alu instid0(VALU_DEP_2) | instskip(SKIP_2) | instid1(VALU_DEP_2)
	v_cmp_lt_u32_e32 vcc_lo, 0xffffff, v14
	v_sub_nc_u32_e32 v13, v15, v16
	v_cndmask_b32_e64 v15, 0, 1, vcc_lo
	v_add_co_ci_u32_e32 v13, vcc_lo, 0, v13, vcc_lo
	s_delay_alu instid0(VALU_DEP_2)
	v_lshrrev_b32_e32 v14, v15, v14
; %bb.8107:                             ;   in Loop: Header=BB6_8078 Depth=3
	s_and_not1_saveexec_b32 s13, s13
; %bb.8108:                             ;   in Loop: Header=BB6_8078 Depth=3
	s_delay_alu instid0(VALU_DEP_1)
	v_bfe_u32 v13, v14, 23, 1
; %bb.8109:                             ;   in Loop: Header=BB6_8078 Depth=3
	s_or_b32 exec_lo, exec_lo, s13
	v_lshrrev_b32_e32 v14, 21, v14
	s_delay_alu instid0(VALU_DEP_2) | instskip(SKIP_2) | instid1(VALU_DEP_2)
	v_cmp_gt_i32_e32 vcc_lo, 32, v13
	v_min_i32_e32 v15, 31, v13
	v_lshrrev_b32_e32 v12, 24, v12
	v_dual_cndmask_b32 v14, 3, v14 :: v_dual_lshlrev_b32 v15, 2, v15
	s_delay_alu instid0(VALU_DEP_2) | instskip(NEXT) | instid1(VALU_DEP_2)
	v_and_b32_e32 v12, 0x80, v12
	v_or_b32_e32 v13, v13, v14
	s_delay_alu instid0(VALU_DEP_1) | instskip(SKIP_1) | instid1(VALU_DEP_1)
	v_cmp_ne_u32_e32 vcc_lo, 0, v13
	v_and_b32_e32 v16, 3, v14
	v_or3_b32 v12, v15, v12, v16
	s_delay_alu instid0(VALU_DEP_1)
	v_cndmask_b32_e32 v163, 0, v12, vcc_lo
.LBB6_8110:                             ;   in Loop: Header=BB6_8078 Depth=3
	s_or_b32 exec_lo, exec_lo, s31
.LBB6_8111:                             ;   in Loop: Header=BB6_8078 Depth=3
	s_delay_alu instid0(SALU_CYCLE_1) | instskip(SKIP_3) | instid1(VALU_DEP_1)
	s_or_b32 exec_lo, exec_lo, s30
	v_lshrrev_b32_e32 v12, 16, v8
	s_mov_b32 s13, 0
	s_mov_b32 s31, exec_lo
                                        ; implicit-def: $sgpr30
	v_and_b32_e32 v14, 0xff, v12
	s_delay_alu instid0(VALU_DEP_1)
	v_cmpx_lt_i16_e32 0x7f, v14
	s_xor_b32 s31, exec_lo, s31
	s_cbranch_execnz .LBB6_9885
; %bb.8112:                             ;   in Loop: Header=BB6_8078 Depth=3
	s_or_saveexec_b32 s31, s31
	v_mov_b32_e32 v13, s30
	s_xor_b32 exec_lo, exec_lo, s31
	s_cbranch_execnz .LBB6_9888
.LBB6_8113:                             ;   in Loop: Header=BB6_8078 Depth=3
	s_or_b32 exec_lo, exec_lo, s31
	s_and_saveexec_b32 s30, s13
	s_cbranch_execz .LBB6_8115
.LBB6_8114:                             ;   in Loop: Header=BB6_8078 Depth=3
	v_bfe_u32 v13, v8, 16, 2
	v_lshlrev_b32_e32 v16, 8, v8
	s_delay_alu instid0(VALU_DEP_2) | instskip(NEXT) | instid1(VALU_DEP_1)
	v_clz_i32_u32_e32 v14, v13
	v_min_u32_e32 v14, 32, v14
	s_delay_alu instid0(VALU_DEP_1) | instskip(SKIP_1) | instid1(VALU_DEP_2)
	v_subrev_nc_u32_e32 v15, 29, v14
	v_sub_nc_u32_e32 v14, 30, v14
	v_lshlrev_b32_e32 v12, v15, v12
	v_bfe_u32 v15, v8, 18, 5
	s_delay_alu instid0(VALU_DEP_2) | instskip(NEXT) | instid1(VALU_DEP_2)
	v_and_b32_e32 v12, 3, v12
	v_cmp_eq_u32_e32 vcc_lo, 0, v15
	v_cndmask_b32_e32 v14, v15, v14, vcc_lo
	s_delay_alu instid0(VALU_DEP_3) | instskip(SKIP_1) | instid1(VALU_DEP_3)
	v_cndmask_b32_e32 v12, v13, v12, vcc_lo
	v_and_b32_e32 v13, 0x80000000, v16
	v_lshl_add_u32 v14, v14, 23, 0x37800000
	s_delay_alu instid0(VALU_DEP_3) | instskip(NEXT) | instid1(VALU_DEP_1)
	v_lshlrev_b32_e32 v12, 21, v12
	v_or3_b32 v13, v13, v14, v12
.LBB6_8115:                             ;   in Loop: Header=BB6_8078 Depth=3
	s_or_b32 exec_lo, exec_lo, s30
	s_delay_alu instid0(VALU_DEP_1) | instskip(SKIP_2) | instid1(VALU_DEP_2)
	v_mul_f32_e32 v12, s17, v13
	v_mov_b32_e32 v178, 0x80
	s_mov_b32 s30, exec_lo
	v_and_b32_e32 v13, 0x7f800000, v12
	s_delay_alu instid0(VALU_DEP_1)
	v_cmpx_ne_u32_e32 0x7f800000, v13
	s_cbranch_execz .LBB6_8123
; %bb.8116:                             ;   in Loop: Header=BB6_8078 Depth=3
	v_mov_b32_e32 v178, 0
	s_mov_b32 s31, exec_lo
	v_cmpx_ne_u32_e32 0, v12
	s_cbranch_execz .LBB6_8122
; %bb.8117:                             ;   in Loop: Header=BB6_8078 Depth=3
	v_bfe_u32 v13, v12, 23, 8
	s_delay_alu instid0(VALU_DEP_1) | instskip(SKIP_1) | instid1(VALU_DEP_2)
	v_sub_nc_u32_e32 v15, 0x70, v13
	v_cmp_gt_u32_e32 vcc_lo, 0x71, v13
	v_dual_cndmask_b32 v15, 0, v15 :: v_dual_and_b32 v14, 0x7fffff, v12
	s_delay_alu instid0(VALU_DEP_1) | instskip(SKIP_2) | instid1(VALU_DEP_4)
	v_or_b32_e32 v16, 0x800000, v14
	v_cmp_eq_u32_e32 vcc_lo, 0, v13
	v_add_nc_u32_e32 v13, 0xffffff91, v13
	v_cndmask_b32_e64 v15, v15, 0x6f, vcc_lo
	s_delay_alu instid0(VALU_DEP_4) | instskip(NEXT) | instid1(VALU_DEP_3)
	v_cndmask_b32_e32 v14, v16, v14, vcc_lo
	v_cndmask_b32_e64 v13, v13, 0xffffff92, vcc_lo
	s_delay_alu instid0(VALU_DEP_3) | instskip(NEXT) | instid1(VALU_DEP_3)
	v_lshl_add_u32 v16, 0x200000, v15, -1
	v_lshrrev_b32_e32 v17, v15, v14
	v_lshlrev_b32_e64 v19, v15, 0x100000
	s_delay_alu instid0(VALU_DEP_4) | instskip(NEXT) | instid1(VALU_DEP_4)
	v_add_nc_u32_e32 v15, v15, v13
	v_and_b32_e32 v14, v16, v14
	s_delay_alu instid0(VALU_DEP_4) | instskip(NEXT) | instid1(VALU_DEP_2)
	v_bfe_u32 v18, v17, 21, 1
	v_cmp_eq_u32_e64 s13, v14, v19
	s_delay_alu instid0(VALU_DEP_2) | instskip(NEXT) | instid1(VALU_DEP_1)
	v_add_nc_u32_e32 v16, -1, v18
	v_cndmask_b32_e64 v14, 0, v16, s13
	v_lshrrev_b32_e32 v16, 23, v17
	s_mov_b32 s13, exec_lo
	s_delay_alu instid0(VALU_DEP_2) | instskip(NEXT) | instid1(VALU_DEP_2)
	v_add_nc_u32_e32 v14, v14, v17
	v_xor_b32_e32 v16, 1, v16
	s_delay_alu instid0(VALU_DEP_2) | instskip(NEXT) | instid1(VALU_DEP_1)
	v_and_b32_e32 v13, 0x1fffff, v14
	v_add_nc_u32_e32 v14, v13, v17
                                        ; implicit-def: $vgpr13
	s_delay_alu instid0(VALU_DEP_3)
	v_cmpx_ne_u32_e64 v15, v16
	s_xor_b32 s13, exec_lo, s13
; %bb.8118:                             ;   in Loop: Header=BB6_8078 Depth=3
	s_delay_alu instid0(VALU_DEP_2) | instskip(SKIP_2) | instid1(VALU_DEP_2)
	v_cmp_lt_u32_e32 vcc_lo, 0xffffff, v14
	v_sub_nc_u32_e32 v13, v15, v16
	v_cndmask_b32_e64 v15, 0, 1, vcc_lo
	v_add_co_ci_u32_e32 v13, vcc_lo, 0, v13, vcc_lo
	s_delay_alu instid0(VALU_DEP_2)
	v_lshrrev_b32_e32 v14, v15, v14
; %bb.8119:                             ;   in Loop: Header=BB6_8078 Depth=3
	s_and_not1_saveexec_b32 s13, s13
; %bb.8120:                             ;   in Loop: Header=BB6_8078 Depth=3
	s_delay_alu instid0(VALU_DEP_1)
	v_bfe_u32 v13, v14, 23, 1
; %bb.8121:                             ;   in Loop: Header=BB6_8078 Depth=3
	s_or_b32 exec_lo, exec_lo, s13
	v_lshrrev_b32_e32 v14, 21, v14
	s_delay_alu instid0(VALU_DEP_2) | instskip(SKIP_2) | instid1(VALU_DEP_4)
	v_cmp_gt_i32_e32 vcc_lo, 32, v13
	v_lshrrev_b32_e32 v12, 24, v12
	v_min_i32_e32 v15, 31, v13
	v_cndmask_b32_e32 v14, 3, v14, vcc_lo
	s_delay_alu instid0(VALU_DEP_3) | instskip(NEXT) | instid1(VALU_DEP_3)
	v_and_b32_e32 v12, 0x80, v12
	v_lshlrev_b32_e32 v15, 2, v15
	s_delay_alu instid0(VALU_DEP_3) | instskip(SKIP_1) | instid1(VALU_DEP_2)
	v_and_b32_e32 v16, 3, v14
	v_or_b32_e32 v13, v13, v14
	v_or3_b32 v12, v15, v12, v16
	s_delay_alu instid0(VALU_DEP_2) | instskip(NEXT) | instid1(VALU_DEP_2)
	v_cmp_ne_u32_e32 vcc_lo, 0, v13
	v_cndmask_b32_e32 v178, 0, v12, vcc_lo
.LBB6_8122:                             ;   in Loop: Header=BB6_8078 Depth=3
	s_or_b32 exec_lo, exec_lo, s31
.LBB6_8123:                             ;   in Loop: Header=BB6_8078 Depth=3
	s_delay_alu instid0(SALU_CYCLE_1) | instskip(SKIP_3) | instid1(VALU_DEP_1)
	s_or_b32 exec_lo, exec_lo, s30
	v_lshrrev_b32_e32 v12, 24, v8
	s_mov_b32 s13, 0
	s_mov_b32 s31, exec_lo
                                        ; implicit-def: $sgpr30
	v_cmpx_lt_i16_e32 0x7f, v12
	s_xor_b32 s31, exec_lo, s31
	s_cbranch_execnz .LBB6_9889
; %bb.8124:                             ;   in Loop: Header=BB6_8078 Depth=3
	s_or_saveexec_b32 s31, s31
	v_mov_b32_e32 v13, s30
	s_xor_b32 exec_lo, exec_lo, s31
	s_cbranch_execnz .LBB6_9892
.LBB6_8125:                             ;   in Loop: Header=BB6_8078 Depth=3
	s_or_b32 exec_lo, exec_lo, s31
	s_and_saveexec_b32 s30, s13
	s_cbranch_execz .LBB6_8127
.LBB6_8126:                             ;   in Loop: Header=BB6_8078 Depth=3
	v_bfe_u32 v13, v8, 24, 2
	s_delay_alu instid0(VALU_DEP_1) | instskip(NEXT) | instid1(VALU_DEP_1)
	v_clz_i32_u32_e32 v14, v13
	v_min_u32_e32 v14, 32, v14
	s_delay_alu instid0(VALU_DEP_1) | instskip(SKIP_1) | instid1(VALU_DEP_2)
	v_subrev_nc_u32_e32 v15, 29, v14
	v_sub_nc_u32_e32 v14, 30, v14
	v_lshlrev_b32_e32 v12, v15, v12
	v_bfe_u32 v15, v8, 26, 5
	v_and_b32_e32 v8, 0x80000000, v8
	s_delay_alu instid0(VALU_DEP_3) | instskip(NEXT) | instid1(VALU_DEP_3)
	v_and_b32_e32 v12, 3, v12
	v_cmp_eq_u32_e32 vcc_lo, 0, v15
	v_cndmask_b32_e32 v14, v15, v14, vcc_lo
	s_delay_alu instid0(VALU_DEP_3) | instskip(NEXT) | instid1(VALU_DEP_2)
	v_cndmask_b32_e32 v12, v13, v12, vcc_lo
	v_lshl_add_u32 v13, v14, 23, 0x37800000
	s_delay_alu instid0(VALU_DEP_2) | instskip(NEXT) | instid1(VALU_DEP_1)
	v_lshlrev_b32_e32 v12, 21, v12
	v_or3_b32 v13, v8, v13, v12
.LBB6_8127:                             ;   in Loop: Header=BB6_8078 Depth=3
	s_or_b32 exec_lo, exec_lo, s30
	s_delay_alu instid0(VALU_DEP_1) | instskip(SKIP_1) | instid1(VALU_DEP_1)
	v_dual_mul_f32 v8, s17, v13 :: v_dual_mov_b32 v45, 0x80
	s_mov_b32 s30, exec_lo
	v_and_b32_e32 v12, 0x7f800000, v8
	s_delay_alu instid0(VALU_DEP_1)
	v_cmpx_ne_u32_e32 0x7f800000, v12
	s_cbranch_execz .LBB6_8135
; %bb.8128:                             ;   in Loop: Header=BB6_8078 Depth=3
	v_mov_b32_e32 v45, 0
	s_mov_b32 s31, exec_lo
	v_cmpx_ne_u32_e32 0, v8
	s_cbranch_execz .LBB6_8134
; %bb.8129:                             ;   in Loop: Header=BB6_8078 Depth=3
	v_bfe_u32 v12, v8, 23, 8
	s_delay_alu instid0(VALU_DEP_1) | instskip(SKIP_1) | instid1(VALU_DEP_2)
	v_sub_nc_u32_e32 v14, 0x70, v12
	v_cmp_gt_u32_e32 vcc_lo, 0x71, v12
	v_dual_cndmask_b32 v14, 0, v14 :: v_dual_and_b32 v13, 0x7fffff, v8
	s_delay_alu instid0(VALU_DEP_1) | instskip(SKIP_2) | instid1(VALU_DEP_4)
	v_or_b32_e32 v15, 0x800000, v13
	v_cmp_eq_u32_e32 vcc_lo, 0, v12
	v_add_nc_u32_e32 v12, 0xffffff91, v12
	v_cndmask_b32_e64 v14, v14, 0x6f, vcc_lo
	s_delay_alu instid0(VALU_DEP_4) | instskip(NEXT) | instid1(VALU_DEP_3)
	v_cndmask_b32_e32 v13, v15, v13, vcc_lo
	v_cndmask_b32_e64 v12, v12, 0xffffff92, vcc_lo
	s_delay_alu instid0(VALU_DEP_3) | instskip(NEXT) | instid1(VALU_DEP_3)
	v_lshl_add_u32 v15, 0x200000, v14, -1
	v_lshrrev_b32_e32 v16, v14, v13
	v_lshlrev_b32_e64 v18, v14, 0x100000
	s_delay_alu instid0(VALU_DEP_4) | instskip(NEXT) | instid1(VALU_DEP_4)
	v_add_nc_u32_e32 v14, v14, v12
	v_and_b32_e32 v13, v15, v13
	s_delay_alu instid0(VALU_DEP_4) | instskip(NEXT) | instid1(VALU_DEP_2)
	v_bfe_u32 v17, v16, 21, 1
	v_cmp_eq_u32_e64 s13, v13, v18
	s_delay_alu instid0(VALU_DEP_2) | instskip(NEXT) | instid1(VALU_DEP_1)
	v_add_nc_u32_e32 v15, -1, v17
	v_cndmask_b32_e64 v13, 0, v15, s13
	v_lshrrev_b32_e32 v15, 23, v16
	s_mov_b32 s13, exec_lo
	s_delay_alu instid0(VALU_DEP_2) | instskip(NEXT) | instid1(VALU_DEP_2)
	v_add_nc_u32_e32 v13, v13, v16
	v_xor_b32_e32 v15, 1, v15
	s_delay_alu instid0(VALU_DEP_2) | instskip(NEXT) | instid1(VALU_DEP_1)
	v_and_b32_e32 v12, 0x1fffff, v13
	v_add_nc_u32_e32 v13, v12, v16
                                        ; implicit-def: $vgpr12
	s_delay_alu instid0(VALU_DEP_3)
	v_cmpx_ne_u32_e64 v14, v15
	s_xor_b32 s13, exec_lo, s13
; %bb.8130:                             ;   in Loop: Header=BB6_8078 Depth=3
	s_delay_alu instid0(VALU_DEP_2) | instskip(SKIP_2) | instid1(VALU_DEP_2)
	v_cmp_lt_u32_e32 vcc_lo, 0xffffff, v13
	v_sub_nc_u32_e32 v12, v14, v15
	v_cndmask_b32_e64 v14, 0, 1, vcc_lo
	v_add_co_ci_u32_e32 v12, vcc_lo, 0, v12, vcc_lo
	s_delay_alu instid0(VALU_DEP_2)
	v_lshrrev_b32_e32 v13, v14, v13
; %bb.8131:                             ;   in Loop: Header=BB6_8078 Depth=3
	s_and_not1_saveexec_b32 s13, s13
; %bb.8132:                             ;   in Loop: Header=BB6_8078 Depth=3
	s_delay_alu instid0(VALU_DEP_1)
	v_bfe_u32 v12, v13, 23, 1
; %bb.8133:                             ;   in Loop: Header=BB6_8078 Depth=3
	s_or_b32 exec_lo, exec_lo, s13
	v_lshrrev_b32_e32 v13, 21, v13
	s_delay_alu instid0(VALU_DEP_2) | instskip(SKIP_2) | instid1(VALU_DEP_2)
	v_cmp_gt_i32_e32 vcc_lo, 32, v12
	v_lshrrev_b32_e32 v8, 24, v8
	v_min_i32_e32 v14, 31, v12
	v_dual_cndmask_b32 v13, 3, v13 :: v_dual_and_b32 v8, 0x80, v8
	s_delay_alu instid0(VALU_DEP_1) | instskip(SKIP_1) | instid1(VALU_DEP_2)
	v_or_b32_e32 v12, v12, v13
	v_and_b32_e32 v15, 3, v13
	v_cmp_ne_u32_e32 vcc_lo, 0, v12
	v_lshlrev_b32_e32 v14, 2, v14
	s_delay_alu instid0(VALU_DEP_1) | instskip(NEXT) | instid1(VALU_DEP_1)
	v_or3_b32 v8, v14, v8, v15
	v_cndmask_b32_e32 v45, 0, v8, vcc_lo
.LBB6_8134:                             ;   in Loop: Header=BB6_8078 Depth=3
	s_or_b32 exec_lo, exec_lo, s31
.LBB6_8135:                             ;   in Loop: Header=BB6_8078 Depth=3
	s_delay_alu instid0(SALU_CYCLE_1) | instskip(SKIP_3) | instid1(VALU_DEP_1)
	s_or_b32 exec_lo, exec_lo, s30
	v_and_b32_e32 v12, 0xff, v9
	s_mov_b32 s13, 0
	s_mov_b32 s31, exec_lo
                                        ; implicit-def: $sgpr30
	v_cmpx_lt_i16_e32 0x7f, v12
	s_xor_b32 s31, exec_lo, s31
	s_cbranch_execnz .LBB6_9893
; %bb.8136:                             ;   in Loop: Header=BB6_8078 Depth=3
	s_or_saveexec_b32 s31, s31
	v_mov_b32_e32 v8, s30
	s_xor_b32 exec_lo, exec_lo, s31
	s_cbranch_execnz .LBB6_9896
.LBB6_8137:                             ;   in Loop: Header=BB6_8078 Depth=3
	s_or_b32 exec_lo, exec_lo, s31
	s_and_saveexec_b32 s30, s13
	s_cbranch_execz .LBB6_8139
.LBB6_8138:                             ;   in Loop: Header=BB6_8078 Depth=3
	v_and_b32_e32 v8, 3, v9
	v_bfe_u32 v14, v9, 2, 5
	v_lshlrev_b32_e32 v15, 24, v9
	s_delay_alu instid0(VALU_DEP_3) | instskip(NEXT) | instid1(VALU_DEP_3)
	v_clz_i32_u32_e32 v12, v8
	v_cmp_eq_u32_e32 vcc_lo, 0, v14
	s_delay_alu instid0(VALU_DEP_2) | instskip(NEXT) | instid1(VALU_DEP_1)
	v_min_u32_e32 v12, 32, v12
	v_subrev_nc_u32_e32 v13, 29, v12
	v_sub_nc_u32_e32 v12, 30, v12
	s_delay_alu instid0(VALU_DEP_1) | instskip(NEXT) | instid1(VALU_DEP_1)
	v_dual_cndmask_b32 v12, v14, v12 :: v_dual_lshlrev_b32 v13, v13, v9
	v_and_b32_e32 v13, 3, v13
	s_delay_alu instid0(VALU_DEP_2) | instskip(NEXT) | instid1(VALU_DEP_2)
	v_lshl_add_u32 v12, v12, 23, 0x37800000
	v_dual_cndmask_b32 v8, v8, v13 :: v_dual_and_b32 v13, 0x80000000, v15
	s_delay_alu instid0(VALU_DEP_1) | instskip(NEXT) | instid1(VALU_DEP_1)
	v_lshlrev_b32_e32 v8, 21, v8
	v_or3_b32 v8, v13, v12, v8
.LBB6_8139:                             ;   in Loop: Header=BB6_8078 Depth=3
	s_or_b32 exec_lo, exec_lo, s30
	s_delay_alu instid0(VALU_DEP_1) | instskip(SKIP_1) | instid1(VALU_DEP_1)
	v_dual_mul_f32 v8, s17, v8 :: v_dual_mov_b32 v41, 0x80
	s_mov_b32 s30, exec_lo
	v_and_b32_e32 v12, 0x7f800000, v8
	s_delay_alu instid0(VALU_DEP_1)
	v_cmpx_ne_u32_e32 0x7f800000, v12
	s_cbranch_execz .LBB6_8147
; %bb.8140:                             ;   in Loop: Header=BB6_8078 Depth=3
	v_mov_b32_e32 v41, 0
	s_mov_b32 s31, exec_lo
	v_cmpx_ne_u32_e32 0, v8
	s_cbranch_execz .LBB6_8146
; %bb.8141:                             ;   in Loop: Header=BB6_8078 Depth=3
	v_bfe_u32 v12, v8, 23, 8
	s_delay_alu instid0(VALU_DEP_1) | instskip(SKIP_1) | instid1(VALU_DEP_2)
	v_sub_nc_u32_e32 v14, 0x70, v12
	v_cmp_gt_u32_e32 vcc_lo, 0x71, v12
	v_dual_cndmask_b32 v14, 0, v14 :: v_dual_and_b32 v13, 0x7fffff, v8
	s_delay_alu instid0(VALU_DEP_1) | instskip(SKIP_2) | instid1(VALU_DEP_4)
	v_or_b32_e32 v15, 0x800000, v13
	v_cmp_eq_u32_e32 vcc_lo, 0, v12
	v_add_nc_u32_e32 v12, 0xffffff91, v12
	v_cndmask_b32_e64 v14, v14, 0x6f, vcc_lo
	s_delay_alu instid0(VALU_DEP_4) | instskip(NEXT) | instid1(VALU_DEP_3)
	v_cndmask_b32_e32 v13, v15, v13, vcc_lo
	v_cndmask_b32_e64 v12, v12, 0xffffff92, vcc_lo
	s_delay_alu instid0(VALU_DEP_3) | instskip(NEXT) | instid1(VALU_DEP_3)
	v_lshl_add_u32 v15, 0x200000, v14, -1
	v_lshrrev_b32_e32 v16, v14, v13
	v_lshlrev_b32_e64 v18, v14, 0x100000
	s_delay_alu instid0(VALU_DEP_4) | instskip(NEXT) | instid1(VALU_DEP_4)
	v_add_nc_u32_e32 v14, v14, v12
	v_and_b32_e32 v13, v15, v13
	s_delay_alu instid0(VALU_DEP_4) | instskip(NEXT) | instid1(VALU_DEP_2)
	v_bfe_u32 v17, v16, 21, 1
	v_cmp_eq_u32_e64 s13, v13, v18
	s_delay_alu instid0(VALU_DEP_2) | instskip(NEXT) | instid1(VALU_DEP_1)
	v_add_nc_u32_e32 v15, -1, v17
	v_cndmask_b32_e64 v13, 0, v15, s13
	v_lshrrev_b32_e32 v15, 23, v16
	s_mov_b32 s13, exec_lo
	s_delay_alu instid0(VALU_DEP_2) | instskip(NEXT) | instid1(VALU_DEP_2)
	v_add_nc_u32_e32 v13, v13, v16
	v_xor_b32_e32 v15, 1, v15
	s_delay_alu instid0(VALU_DEP_2) | instskip(NEXT) | instid1(VALU_DEP_1)
	v_and_b32_e32 v12, 0x1fffff, v13
	v_add_nc_u32_e32 v13, v12, v16
                                        ; implicit-def: $vgpr12
	s_delay_alu instid0(VALU_DEP_3)
	v_cmpx_ne_u32_e64 v14, v15
	s_xor_b32 s13, exec_lo, s13
; %bb.8142:                             ;   in Loop: Header=BB6_8078 Depth=3
	s_delay_alu instid0(VALU_DEP_2) | instskip(SKIP_2) | instid1(VALU_DEP_2)
	v_cmp_lt_u32_e32 vcc_lo, 0xffffff, v13
	v_sub_nc_u32_e32 v12, v14, v15
	v_cndmask_b32_e64 v14, 0, 1, vcc_lo
	v_add_co_ci_u32_e32 v12, vcc_lo, 0, v12, vcc_lo
	s_delay_alu instid0(VALU_DEP_2)
	v_lshrrev_b32_e32 v13, v14, v13
; %bb.8143:                             ;   in Loop: Header=BB6_8078 Depth=3
	s_and_not1_saveexec_b32 s13, s13
; %bb.8144:                             ;   in Loop: Header=BB6_8078 Depth=3
	s_delay_alu instid0(VALU_DEP_1)
	v_bfe_u32 v12, v13, 23, 1
; %bb.8145:                             ;   in Loop: Header=BB6_8078 Depth=3
	s_or_b32 exec_lo, exec_lo, s13
	v_lshrrev_b32_e32 v13, 21, v13
	s_delay_alu instid0(VALU_DEP_2) | instskip(SKIP_2) | instid1(VALU_DEP_2)
	v_cmp_gt_i32_e32 vcc_lo, 32, v12
	v_min_i32_e32 v14, 31, v12
	v_lshrrev_b32_e32 v8, 24, v8
	v_dual_cndmask_b32 v13, 3, v13 :: v_dual_lshlrev_b32 v14, 2, v14
	s_delay_alu instid0(VALU_DEP_2) | instskip(NEXT) | instid1(VALU_DEP_2)
	v_and_b32_e32 v8, 0x80, v8
	v_or_b32_e32 v12, v12, v13
	v_and_b32_e32 v15, 3, v13
	s_delay_alu instid0(VALU_DEP_2) | instskip(SKIP_1) | instid1(VALU_DEP_1)
	v_cmp_ne_u32_e32 vcc_lo, 0, v12
	v_and_b32_e32 v14, 0xfc, v14
	v_or3_b32 v8, v14, v8, v15
	s_delay_alu instid0(VALU_DEP_1)
	v_cndmask_b32_e32 v41, 0, v8, vcc_lo
.LBB6_8146:                             ;   in Loop: Header=BB6_8078 Depth=3
	s_or_b32 exec_lo, exec_lo, s31
.LBB6_8147:                             ;   in Loop: Header=BB6_8078 Depth=3
	s_delay_alu instid0(SALU_CYCLE_1) | instskip(SKIP_3) | instid1(VALU_DEP_1)
	s_or_b32 exec_lo, exec_lo, s30
	v_lshrrev_b16 v8, 8, v9
	s_mov_b32 s13, 0
	s_mov_b32 s31, exec_lo
                                        ; implicit-def: $sgpr30
	v_cmpx_lt_i16_e32 0x7f, v8
	s_xor_b32 s31, exec_lo, s31
	s_cbranch_execnz .LBB6_9897
; %bb.8148:                             ;   in Loop: Header=BB6_8078 Depth=3
	s_or_saveexec_b32 s31, s31
	v_mov_b32_e32 v12, s30
	s_xor_b32 exec_lo, exec_lo, s31
	s_cbranch_execnz .LBB6_9900
.LBB6_8149:                             ;   in Loop: Header=BB6_8078 Depth=3
	s_or_b32 exec_lo, exec_lo, s31
	s_and_saveexec_b32 s30, s13
	s_cbranch_execz .LBB6_8151
.LBB6_8150:                             ;   in Loop: Header=BB6_8078 Depth=3
	v_and_b32_e32 v12, 0xffff, v8
	v_lshlrev_b32_e32 v8, 24, v8
	s_delay_alu instid0(VALU_DEP_2) | instskip(NEXT) | instid1(VALU_DEP_2)
	v_and_b32_e32 v13, 3, v12
	v_and_b32_e32 v8, 0x80000000, v8
	s_delay_alu instid0(VALU_DEP_2) | instskip(NEXT) | instid1(VALU_DEP_1)
	v_clz_i32_u32_e32 v14, v13
	v_min_u32_e32 v14, 32, v14
	s_delay_alu instid0(VALU_DEP_1) | instskip(SKIP_1) | instid1(VALU_DEP_2)
	v_subrev_nc_u32_e32 v15, 29, v14
	v_sub_nc_u32_e32 v14, 30, v14
	v_lshlrev_b32_e32 v15, v15, v12
	v_bfe_u32 v12, v12, 2, 5
	s_delay_alu instid0(VALU_DEP_2) | instskip(NEXT) | instid1(VALU_DEP_2)
	v_and_b32_e32 v15, 3, v15
	v_cmp_eq_u32_e32 vcc_lo, 0, v12
	s_delay_alu instid0(VALU_DEP_2) | instskip(NEXT) | instid1(VALU_DEP_1)
	v_dual_cndmask_b32 v12, v12, v14 :: v_dual_cndmask_b32 v13, v13, v15
	v_lshl_add_u32 v12, v12, 23, 0x37800000
	s_delay_alu instid0(VALU_DEP_2) | instskip(NEXT) | instid1(VALU_DEP_1)
	v_lshlrev_b32_e32 v13, 21, v13
	v_or3_b32 v12, v8, v12, v13
.LBB6_8151:                             ;   in Loop: Header=BB6_8078 Depth=3
	s_or_b32 exec_lo, exec_lo, s30
	s_delay_alu instid0(VALU_DEP_1) | instskip(SKIP_2) | instid1(VALU_DEP_2)
	v_mul_f32_e32 v8, s17, v12
	v_mov_b32_e32 v136, 0x8000
	s_mov_b32 s30, exec_lo
	v_and_b32_e32 v12, 0x7f800000, v8
	s_delay_alu instid0(VALU_DEP_1)
	v_cmpx_ne_u32_e32 0x7f800000, v12
	s_cbranch_execz .LBB6_8159
; %bb.8152:                             ;   in Loop: Header=BB6_8078 Depth=3
	v_mov_b32_e32 v136, 0
	s_mov_b32 s31, exec_lo
	v_cmpx_ne_u32_e32 0, v8
	s_cbranch_execz .LBB6_8158
; %bb.8153:                             ;   in Loop: Header=BB6_8078 Depth=3
	v_bfe_u32 v12, v8, 23, 8
	s_delay_alu instid0(VALU_DEP_1) | instskip(SKIP_1) | instid1(VALU_DEP_2)
	v_sub_nc_u32_e32 v14, 0x70, v12
	v_cmp_gt_u32_e32 vcc_lo, 0x71, v12
	v_dual_cndmask_b32 v14, 0, v14 :: v_dual_and_b32 v13, 0x7fffff, v8
	s_delay_alu instid0(VALU_DEP_1) | instskip(SKIP_2) | instid1(VALU_DEP_4)
	v_or_b32_e32 v15, 0x800000, v13
	v_cmp_eq_u32_e32 vcc_lo, 0, v12
	v_add_nc_u32_e32 v12, 0xffffff91, v12
	v_cndmask_b32_e64 v14, v14, 0x6f, vcc_lo
	s_delay_alu instid0(VALU_DEP_4) | instskip(NEXT) | instid1(VALU_DEP_3)
	v_cndmask_b32_e32 v13, v15, v13, vcc_lo
	v_cndmask_b32_e64 v12, v12, 0xffffff92, vcc_lo
	s_delay_alu instid0(VALU_DEP_3) | instskip(NEXT) | instid1(VALU_DEP_3)
	v_lshl_add_u32 v15, 0x200000, v14, -1
	v_lshrrev_b32_e32 v16, v14, v13
	v_lshlrev_b32_e64 v18, v14, 0x100000
	s_delay_alu instid0(VALU_DEP_4) | instskip(NEXT) | instid1(VALU_DEP_4)
	v_add_nc_u32_e32 v14, v14, v12
	v_and_b32_e32 v13, v15, v13
	s_delay_alu instid0(VALU_DEP_4) | instskip(NEXT) | instid1(VALU_DEP_2)
	v_bfe_u32 v17, v16, 21, 1
	v_cmp_eq_u32_e64 s13, v13, v18
	s_delay_alu instid0(VALU_DEP_2) | instskip(NEXT) | instid1(VALU_DEP_1)
	v_add_nc_u32_e32 v15, -1, v17
	v_cndmask_b32_e64 v13, 0, v15, s13
	v_lshrrev_b32_e32 v15, 23, v16
	s_mov_b32 s13, exec_lo
	s_delay_alu instid0(VALU_DEP_2) | instskip(NEXT) | instid1(VALU_DEP_2)
	v_add_nc_u32_e32 v13, v13, v16
	v_xor_b32_e32 v15, 1, v15
	s_delay_alu instid0(VALU_DEP_2) | instskip(NEXT) | instid1(VALU_DEP_1)
	v_and_b32_e32 v12, 0x1fffff, v13
	v_add_nc_u32_e32 v13, v12, v16
                                        ; implicit-def: $vgpr12
	s_delay_alu instid0(VALU_DEP_3)
	v_cmpx_ne_u32_e64 v14, v15
	s_xor_b32 s13, exec_lo, s13
; %bb.8154:                             ;   in Loop: Header=BB6_8078 Depth=3
	s_delay_alu instid0(VALU_DEP_2) | instskip(SKIP_2) | instid1(VALU_DEP_2)
	v_cmp_lt_u32_e32 vcc_lo, 0xffffff, v13
	v_sub_nc_u32_e32 v12, v14, v15
	v_cndmask_b32_e64 v14, 0, 1, vcc_lo
	v_add_co_ci_u32_e32 v12, vcc_lo, 0, v12, vcc_lo
	s_delay_alu instid0(VALU_DEP_2)
	v_lshrrev_b32_e32 v13, v14, v13
; %bb.8155:                             ;   in Loop: Header=BB6_8078 Depth=3
	s_and_not1_saveexec_b32 s13, s13
; %bb.8156:                             ;   in Loop: Header=BB6_8078 Depth=3
	s_delay_alu instid0(VALU_DEP_1)
	v_bfe_u32 v12, v13, 23, 1
; %bb.8157:                             ;   in Loop: Header=BB6_8078 Depth=3
	s_or_b32 exec_lo, exec_lo, s13
	v_lshrrev_b32_e32 v13, 21, v13
	s_delay_alu instid0(VALU_DEP_2) | instskip(SKIP_2) | instid1(VALU_DEP_2)
	v_cmp_gt_i32_e32 vcc_lo, 32, v12
	v_min_i32_e32 v14, 31, v12
	v_lshrrev_b32_e32 v8, 24, v8
	v_dual_cndmask_b32 v13, 3, v13 :: v_dual_lshlrev_b32 v14, 2, v14
	s_delay_alu instid0(VALU_DEP_2) | instskip(NEXT) | instid1(VALU_DEP_2)
	v_and_b32_e32 v8, 0x80, v8
	v_or_b32_e32 v12, v12, v13
	s_delay_alu instid0(VALU_DEP_3) | instskip(NEXT) | instid1(VALU_DEP_2)
	v_and_b32_e32 v14, 0xfc, v14
	v_cmp_ne_u32_e32 vcc_lo, 0, v12
	v_and_b32_e32 v15, 3, v13
	s_delay_alu instid0(VALU_DEP_1) | instskip(NEXT) | instid1(VALU_DEP_1)
	v_or3_b32 v8, v8, v14, v15
	v_lshlrev_b32_e32 v8, 8, v8
	s_delay_alu instid0(VALU_DEP_1)
	v_cndmask_b32_e32 v136, 0, v8, vcc_lo
.LBB6_8158:                             ;   in Loop: Header=BB6_8078 Depth=3
	s_or_b32 exec_lo, exec_lo, s31
.LBB6_8159:                             ;   in Loop: Header=BB6_8078 Depth=3
	s_delay_alu instid0(SALU_CYCLE_1) | instskip(SKIP_3) | instid1(VALU_DEP_1)
	s_or_b32 exec_lo, exec_lo, s30
	v_lshrrev_b32_e32 v8, 16, v9
	s_mov_b32 s13, 0
	s_mov_b32 s31, exec_lo
                                        ; implicit-def: $sgpr30
	v_and_b32_e32 v13, 0xff, v8
	s_delay_alu instid0(VALU_DEP_1)
	v_cmpx_lt_i16_e32 0x7f, v13
	s_xor_b32 s31, exec_lo, s31
	s_cbranch_execnz .LBB6_9901
; %bb.8160:                             ;   in Loop: Header=BB6_8078 Depth=3
	s_or_saveexec_b32 s31, s31
	v_mov_b32_e32 v12, s30
	s_xor_b32 exec_lo, exec_lo, s31
	s_cbranch_execnz .LBB6_9904
.LBB6_8161:                             ;   in Loop: Header=BB6_8078 Depth=3
	s_or_b32 exec_lo, exec_lo, s31
	s_and_saveexec_b32 s30, s13
	s_cbranch_execz .LBB6_8163
.LBB6_8162:                             ;   in Loop: Header=BB6_8078 Depth=3
	v_bfe_u32 v12, v9, 16, 2
	s_delay_alu instid0(VALU_DEP_1) | instskip(NEXT) | instid1(VALU_DEP_1)
	v_clz_i32_u32_e32 v13, v12
	v_min_u32_e32 v13, 32, v13
	s_delay_alu instid0(VALU_DEP_1) | instskip(SKIP_1) | instid1(VALU_DEP_2)
	v_subrev_nc_u32_e32 v14, 29, v13
	v_sub_nc_u32_e32 v13, 30, v13
	v_lshlrev_b32_e32 v8, v14, v8
	v_bfe_u32 v14, v9, 18, 5
	s_delay_alu instid0(VALU_DEP_1) | instskip(NEXT) | instid1(VALU_DEP_3)
	v_cmp_eq_u32_e32 vcc_lo, 0, v14
	v_dual_cndmask_b32 v13, v14, v13 :: v_dual_and_b32 v8, 3, v8
	s_delay_alu instid0(VALU_DEP_1) | instskip(NEXT) | instid1(VALU_DEP_2)
	v_dual_cndmask_b32 v8, v12, v8 :: v_dual_lshlrev_b32 v15, 8, v9
	v_lshl_add_u32 v13, v13, 23, 0x37800000
	s_delay_alu instid0(VALU_DEP_2) | instskip(NEXT) | instid1(VALU_DEP_3)
	v_and_b32_e32 v12, 0x80000000, v15
	v_lshlrev_b32_e32 v8, 21, v8
	s_delay_alu instid0(VALU_DEP_1)
	v_or3_b32 v12, v12, v13, v8
.LBB6_8163:                             ;   in Loop: Header=BB6_8078 Depth=3
	s_or_b32 exec_lo, exec_lo, s30
	s_delay_alu instid0(VALU_DEP_1) | instskip(SKIP_2) | instid1(VALU_DEP_2)
	v_mul_f32_e32 v8, s17, v12
	v_mov_b32_e32 v58, 0x80
	s_mov_b32 s30, exec_lo
	v_and_b32_e32 v12, 0x7f800000, v8
	s_delay_alu instid0(VALU_DEP_1)
	v_cmpx_ne_u32_e32 0x7f800000, v12
	s_cbranch_execz .LBB6_8171
; %bb.8164:                             ;   in Loop: Header=BB6_8078 Depth=3
	v_mov_b32_e32 v58, 0
	s_mov_b32 s31, exec_lo
	v_cmpx_ne_u32_e32 0, v8
	s_cbranch_execz .LBB6_8170
; %bb.8165:                             ;   in Loop: Header=BB6_8078 Depth=3
	v_bfe_u32 v12, v8, 23, 8
	s_delay_alu instid0(VALU_DEP_1) | instskip(SKIP_1) | instid1(VALU_DEP_2)
	v_sub_nc_u32_e32 v14, 0x70, v12
	v_cmp_gt_u32_e32 vcc_lo, 0x71, v12
	v_dual_cndmask_b32 v14, 0, v14 :: v_dual_and_b32 v13, 0x7fffff, v8
	s_delay_alu instid0(VALU_DEP_1) | instskip(SKIP_2) | instid1(VALU_DEP_4)
	v_or_b32_e32 v15, 0x800000, v13
	v_cmp_eq_u32_e32 vcc_lo, 0, v12
	v_add_nc_u32_e32 v12, 0xffffff91, v12
	v_cndmask_b32_e64 v14, v14, 0x6f, vcc_lo
	s_delay_alu instid0(VALU_DEP_4) | instskip(NEXT) | instid1(VALU_DEP_3)
	v_cndmask_b32_e32 v13, v15, v13, vcc_lo
	v_cndmask_b32_e64 v12, v12, 0xffffff92, vcc_lo
	s_delay_alu instid0(VALU_DEP_3) | instskip(NEXT) | instid1(VALU_DEP_3)
	v_lshl_add_u32 v15, 0x200000, v14, -1
	v_lshrrev_b32_e32 v16, v14, v13
	v_lshlrev_b32_e64 v18, v14, 0x100000
	s_delay_alu instid0(VALU_DEP_4) | instskip(NEXT) | instid1(VALU_DEP_4)
	v_add_nc_u32_e32 v14, v14, v12
	v_and_b32_e32 v13, v15, v13
	s_delay_alu instid0(VALU_DEP_4) | instskip(NEXT) | instid1(VALU_DEP_2)
	v_bfe_u32 v17, v16, 21, 1
	v_cmp_eq_u32_e64 s13, v13, v18
	s_delay_alu instid0(VALU_DEP_2) | instskip(NEXT) | instid1(VALU_DEP_1)
	v_add_nc_u32_e32 v15, -1, v17
	v_cndmask_b32_e64 v13, 0, v15, s13
	v_lshrrev_b32_e32 v15, 23, v16
	s_mov_b32 s13, exec_lo
	s_delay_alu instid0(VALU_DEP_2) | instskip(NEXT) | instid1(VALU_DEP_2)
	v_add_nc_u32_e32 v13, v13, v16
	v_xor_b32_e32 v15, 1, v15
	s_delay_alu instid0(VALU_DEP_2) | instskip(NEXT) | instid1(VALU_DEP_1)
	v_and_b32_e32 v12, 0x1fffff, v13
	v_add_nc_u32_e32 v13, v12, v16
                                        ; implicit-def: $vgpr12
	s_delay_alu instid0(VALU_DEP_3)
	v_cmpx_ne_u32_e64 v14, v15
	s_xor_b32 s13, exec_lo, s13
; %bb.8166:                             ;   in Loop: Header=BB6_8078 Depth=3
	s_delay_alu instid0(VALU_DEP_2) | instskip(SKIP_2) | instid1(VALU_DEP_2)
	v_cmp_lt_u32_e32 vcc_lo, 0xffffff, v13
	v_sub_nc_u32_e32 v12, v14, v15
	v_cndmask_b32_e64 v14, 0, 1, vcc_lo
	v_add_co_ci_u32_e32 v12, vcc_lo, 0, v12, vcc_lo
	s_delay_alu instid0(VALU_DEP_2)
	v_lshrrev_b32_e32 v13, v14, v13
; %bb.8167:                             ;   in Loop: Header=BB6_8078 Depth=3
	s_and_not1_saveexec_b32 s13, s13
; %bb.8168:                             ;   in Loop: Header=BB6_8078 Depth=3
	s_delay_alu instid0(VALU_DEP_1)
	v_bfe_u32 v12, v13, 23, 1
; %bb.8169:                             ;   in Loop: Header=BB6_8078 Depth=3
	s_or_b32 exec_lo, exec_lo, s13
	v_lshrrev_b32_e32 v13, 21, v13
	s_delay_alu instid0(VALU_DEP_2) | instskip(SKIP_2) | instid1(VALU_DEP_2)
	v_cmp_gt_i32_e32 vcc_lo, 32, v12
	v_min_i32_e32 v14, 31, v12
	v_lshrrev_b32_e32 v8, 24, v8
	v_dual_cndmask_b32 v13, 3, v13 :: v_dual_lshlrev_b32 v14, 2, v14
	s_delay_alu instid0(VALU_DEP_2) | instskip(NEXT) | instid1(VALU_DEP_2)
	v_and_b32_e32 v8, 0x80, v8
	v_or_b32_e32 v12, v12, v13
	s_delay_alu instid0(VALU_DEP_3) | instskip(NEXT) | instid1(VALU_DEP_2)
	v_and_b32_e32 v14, 0xfc, v14
	v_cmp_ne_u32_e32 vcc_lo, 0, v12
	v_and_b32_e32 v15, 3, v13
	s_delay_alu instid0(VALU_DEP_1) | instskip(NEXT) | instid1(VALU_DEP_1)
	v_or3_b32 v8, v14, v8, v15
	v_cndmask_b32_e32 v58, 0, v8, vcc_lo
.LBB6_8170:                             ;   in Loop: Header=BB6_8078 Depth=3
	s_or_b32 exec_lo, exec_lo, s31
.LBB6_8171:                             ;   in Loop: Header=BB6_8078 Depth=3
	s_delay_alu instid0(SALU_CYCLE_1) | instskip(SKIP_3) | instid1(VALU_DEP_1)
	s_or_b32 exec_lo, exec_lo, s30
	v_lshrrev_b32_e32 v8, 24, v9
	s_mov_b32 s13, 0
	s_mov_b32 s31, exec_lo
                                        ; implicit-def: $sgpr30
	v_cmpx_lt_i16_e32 0x7f, v8
	s_xor_b32 s31, exec_lo, s31
	s_cbranch_execnz .LBB6_9905
; %bb.8172:                             ;   in Loop: Header=BB6_8078 Depth=3
	s_or_saveexec_b32 s31, s31
	v_mov_b32_e32 v12, s30
	s_xor_b32 exec_lo, exec_lo, s31
	s_cbranch_execnz .LBB6_9908
.LBB6_8173:                             ;   in Loop: Header=BB6_8078 Depth=3
	s_or_b32 exec_lo, exec_lo, s31
	s_and_saveexec_b32 s30, s13
	s_cbranch_execz .LBB6_8175
.LBB6_8174:                             ;   in Loop: Header=BB6_8078 Depth=3
	v_bfe_u32 v12, v9, 24, 2
	s_delay_alu instid0(VALU_DEP_1) | instskip(NEXT) | instid1(VALU_DEP_1)
	v_clz_i32_u32_e32 v13, v12
	v_min_u32_e32 v13, 32, v13
	s_delay_alu instid0(VALU_DEP_1) | instskip(SKIP_1) | instid1(VALU_DEP_2)
	v_subrev_nc_u32_e32 v14, 29, v13
	v_sub_nc_u32_e32 v13, 30, v13
	v_lshlrev_b32_e32 v8, v14, v8
	v_bfe_u32 v14, v9, 26, 5
	v_and_b32_e32 v9, 0x80000000, v9
	s_delay_alu instid0(VALU_DEP_2) | instskip(NEXT) | instid1(VALU_DEP_4)
	v_cmp_eq_u32_e32 vcc_lo, 0, v14
	v_dual_cndmask_b32 v13, v14, v13 :: v_dual_and_b32 v8, 3, v8
	s_delay_alu instid0(VALU_DEP_1) | instskip(NEXT) | instid1(VALU_DEP_2)
	v_cndmask_b32_e32 v8, v12, v8, vcc_lo
	v_lshl_add_u32 v12, v13, 23, 0x37800000
	s_delay_alu instid0(VALU_DEP_2) | instskip(NEXT) | instid1(VALU_DEP_1)
	v_lshlrev_b32_e32 v8, 21, v8
	v_or3_b32 v12, v9, v12, v8
.LBB6_8175:                             ;   in Loop: Header=BB6_8078 Depth=3
	s_or_b32 exec_lo, exec_lo, s30
	s_delay_alu instid0(VALU_DEP_1) | instskip(SKIP_1) | instid1(VALU_DEP_1)
	v_dual_mul_f32 v8, s17, v12 :: v_dual_mov_b32 v127, 0x8000
	s_mov_b32 s30, exec_lo
	v_and_b32_e32 v9, 0x7f800000, v8
	s_delay_alu instid0(VALU_DEP_1)
	v_cmpx_ne_u32_e32 0x7f800000, v9
	s_cbranch_execz .LBB6_8183
; %bb.8176:                             ;   in Loop: Header=BB6_8078 Depth=3
	v_mov_b32_e32 v127, 0
	s_mov_b32 s31, exec_lo
	v_cmpx_ne_u32_e32 0, v8
	s_cbranch_execz .LBB6_8182
; %bb.8177:                             ;   in Loop: Header=BB6_8078 Depth=3
	v_bfe_u32 v9, v8, 23, 8
	s_delay_alu instid0(VALU_DEP_1) | instskip(SKIP_1) | instid1(VALU_DEP_2)
	v_sub_nc_u32_e32 v13, 0x70, v9
	v_cmp_gt_u32_e32 vcc_lo, 0x71, v9
	v_dual_cndmask_b32 v13, 0, v13 :: v_dual_and_b32 v12, 0x7fffff, v8
	s_delay_alu instid0(VALU_DEP_1) | instskip(SKIP_2) | instid1(VALU_DEP_4)
	v_or_b32_e32 v14, 0x800000, v12
	v_cmp_eq_u32_e32 vcc_lo, 0, v9
	v_add_nc_u32_e32 v9, 0xffffff91, v9
	v_cndmask_b32_e64 v13, v13, 0x6f, vcc_lo
	s_delay_alu instid0(VALU_DEP_4) | instskip(NEXT) | instid1(VALU_DEP_3)
	v_cndmask_b32_e32 v12, v14, v12, vcc_lo
	v_cndmask_b32_e64 v9, v9, 0xffffff92, vcc_lo
	s_delay_alu instid0(VALU_DEP_3) | instskip(NEXT) | instid1(VALU_DEP_3)
	v_lshl_add_u32 v14, 0x200000, v13, -1
	v_lshrrev_b32_e32 v15, v13, v12
	v_lshlrev_b32_e64 v17, v13, 0x100000
	s_delay_alu instid0(VALU_DEP_4) | instskip(NEXT) | instid1(VALU_DEP_4)
	v_add_nc_u32_e32 v13, v13, v9
	v_and_b32_e32 v12, v14, v12
	s_delay_alu instid0(VALU_DEP_4) | instskip(NEXT) | instid1(VALU_DEP_2)
	v_bfe_u32 v16, v15, 21, 1
	v_cmp_eq_u32_e64 s13, v12, v17
	s_delay_alu instid0(VALU_DEP_2) | instskip(NEXT) | instid1(VALU_DEP_1)
	v_add_nc_u32_e32 v14, -1, v16
	v_cndmask_b32_e64 v12, 0, v14, s13
	v_lshrrev_b32_e32 v14, 23, v15
	s_mov_b32 s13, exec_lo
	s_delay_alu instid0(VALU_DEP_2) | instskip(NEXT) | instid1(VALU_DEP_2)
	v_add_nc_u32_e32 v12, v12, v15
	v_xor_b32_e32 v14, 1, v14
	s_delay_alu instid0(VALU_DEP_2) | instskip(NEXT) | instid1(VALU_DEP_1)
	v_and_b32_e32 v9, 0x1fffff, v12
	v_add_nc_u32_e32 v12, v9, v15
                                        ; implicit-def: $vgpr9
	s_delay_alu instid0(VALU_DEP_3)
	v_cmpx_ne_u32_e64 v13, v14
	s_xor_b32 s13, exec_lo, s13
; %bb.8178:                             ;   in Loop: Header=BB6_8078 Depth=3
	s_delay_alu instid0(VALU_DEP_2) | instskip(SKIP_2) | instid1(VALU_DEP_2)
	v_cmp_lt_u32_e32 vcc_lo, 0xffffff, v12
	v_sub_nc_u32_e32 v9, v13, v14
	v_cndmask_b32_e64 v13, 0, 1, vcc_lo
	v_add_co_ci_u32_e32 v9, vcc_lo, 0, v9, vcc_lo
	s_delay_alu instid0(VALU_DEP_2)
	v_lshrrev_b32_e32 v12, v13, v12
; %bb.8179:                             ;   in Loop: Header=BB6_8078 Depth=3
	s_and_not1_saveexec_b32 s13, s13
; %bb.8180:                             ;   in Loop: Header=BB6_8078 Depth=3
	s_delay_alu instid0(VALU_DEP_1)
	v_bfe_u32 v9, v12, 23, 1
; %bb.8181:                             ;   in Loop: Header=BB6_8078 Depth=3
	s_or_b32 exec_lo, exec_lo, s13
	v_lshrrev_b32_e32 v12, 21, v12
	s_delay_alu instid0(VALU_DEP_2) | instskip(SKIP_2) | instid1(VALU_DEP_3)
	v_min_i32_e32 v13, 31, v9
	v_cmp_gt_i32_e32 vcc_lo, 32, v9
	v_lshrrev_b32_e32 v8, 24, v8
	v_dual_cndmask_b32 v12, 3, v12 :: v_dual_lshlrev_b32 v13, 2, v13
	s_delay_alu instid0(VALU_DEP_2) | instskip(NEXT) | instid1(VALU_DEP_2)
	v_and_b32_e32 v8, 0x80, v8
	v_and_b32_e32 v13, 0xfc, v13
	s_delay_alu instid0(VALU_DEP_3) | instskip(SKIP_1) | instid1(VALU_DEP_2)
	v_and_b32_e32 v14, 3, v12
	v_or_b32_e32 v9, v9, v12
	v_or3_b32 v8, v8, v13, v14
	s_delay_alu instid0(VALU_DEP_2) | instskip(NEXT) | instid1(VALU_DEP_2)
	v_cmp_ne_u32_e32 vcc_lo, 0, v9
	v_lshlrev_b32_e32 v8, 8, v8
	s_delay_alu instid0(VALU_DEP_1)
	v_cndmask_b32_e32 v127, 0, v8, vcc_lo
.LBB6_8182:                             ;   in Loop: Header=BB6_8078 Depth=3
	s_or_b32 exec_lo, exec_lo, s31
.LBB6_8183:                             ;   in Loop: Header=BB6_8078 Depth=3
	s_delay_alu instid0(SALU_CYCLE_1) | instskip(SKIP_3) | instid1(VALU_DEP_1)
	s_or_b32 exec_lo, exec_lo, s30
	v_and_b32_e32 v9, 0xff, v10
	s_mov_b32 s13, 0
	s_mov_b32 s31, exec_lo
                                        ; implicit-def: $sgpr30
	v_cmpx_lt_i16_e32 0x7f, v9
	s_xor_b32 s31, exec_lo, s31
	s_cbranch_execnz .LBB6_9909
; %bb.8184:                             ;   in Loop: Header=BB6_8078 Depth=3
	s_or_saveexec_b32 s31, s31
	v_mov_b32_e32 v8, s30
	s_xor_b32 exec_lo, exec_lo, s31
	s_cbranch_execnz .LBB6_9912
.LBB6_8185:                             ;   in Loop: Header=BB6_8078 Depth=3
	s_or_b32 exec_lo, exec_lo, s31
	s_and_saveexec_b32 s30, s13
	s_cbranch_execz .LBB6_8187
.LBB6_8186:                             ;   in Loop: Header=BB6_8078 Depth=3
	v_bfe_u32 v13, v10, 2, 5
	v_lshlrev_b32_e32 v14, 24, v10
	s_delay_alu instid0(VALU_DEP_2) | instskip(SKIP_1) | instid1(VALU_DEP_1)
	v_cmp_eq_u32_e32 vcc_lo, 0, v13
	v_and_b32_e32 v8, 3, v10
	v_clz_i32_u32_e32 v9, v8
	s_delay_alu instid0(VALU_DEP_1) | instskip(NEXT) | instid1(VALU_DEP_1)
	v_min_u32_e32 v9, 32, v9
	v_subrev_nc_u32_e32 v12, 29, v9
	v_sub_nc_u32_e32 v9, 30, v9
	s_delay_alu instid0(VALU_DEP_1) | instskip(NEXT) | instid1(VALU_DEP_1)
	v_dual_cndmask_b32 v9, v13, v9 :: v_dual_lshlrev_b32 v12, v12, v10
	v_and_b32_e32 v12, 3, v12
	s_delay_alu instid0(VALU_DEP_2) | instskip(NEXT) | instid1(VALU_DEP_2)
	v_lshl_add_u32 v9, v9, 23, 0x37800000
	v_cndmask_b32_e32 v8, v8, v12, vcc_lo
	v_and_b32_e32 v12, 0x80000000, v14
	s_delay_alu instid0(VALU_DEP_2) | instskip(NEXT) | instid1(VALU_DEP_1)
	v_lshlrev_b32_e32 v8, 21, v8
	v_or3_b32 v8, v12, v9, v8
.LBB6_8187:                             ;   in Loop: Header=BB6_8078 Depth=3
	s_or_b32 exec_lo, exec_lo, s30
	s_delay_alu instid0(VALU_DEP_1) | instskip(SKIP_2) | instid1(VALU_DEP_2)
	v_mul_f32_e32 v8, s17, v8
	v_mov_b32_e32 v72, 0x80
	s_mov_b32 s30, exec_lo
	v_and_b32_e32 v9, 0x7f800000, v8
	s_delay_alu instid0(VALU_DEP_1)
	v_cmpx_ne_u32_e32 0x7f800000, v9
	s_cbranch_execz .LBB6_8195
; %bb.8188:                             ;   in Loop: Header=BB6_8078 Depth=3
	v_mov_b32_e32 v72, 0
	s_mov_b32 s31, exec_lo
	v_cmpx_ne_u32_e32 0, v8
	s_cbranch_execz .LBB6_8194
; %bb.8189:                             ;   in Loop: Header=BB6_8078 Depth=3
	v_bfe_u32 v9, v8, 23, 8
	s_delay_alu instid0(VALU_DEP_1) | instskip(SKIP_1) | instid1(VALU_DEP_2)
	v_sub_nc_u32_e32 v13, 0x70, v9
	v_cmp_gt_u32_e32 vcc_lo, 0x71, v9
	v_dual_cndmask_b32 v13, 0, v13 :: v_dual_and_b32 v12, 0x7fffff, v8
	s_delay_alu instid0(VALU_DEP_1) | instskip(SKIP_2) | instid1(VALU_DEP_4)
	v_or_b32_e32 v14, 0x800000, v12
	v_cmp_eq_u32_e32 vcc_lo, 0, v9
	v_add_nc_u32_e32 v9, 0xffffff91, v9
	v_cndmask_b32_e64 v13, v13, 0x6f, vcc_lo
	s_delay_alu instid0(VALU_DEP_4) | instskip(NEXT) | instid1(VALU_DEP_3)
	v_cndmask_b32_e32 v12, v14, v12, vcc_lo
	v_cndmask_b32_e64 v9, v9, 0xffffff92, vcc_lo
	s_delay_alu instid0(VALU_DEP_3) | instskip(NEXT) | instid1(VALU_DEP_3)
	v_lshl_add_u32 v14, 0x200000, v13, -1
	v_lshrrev_b32_e32 v15, v13, v12
	v_lshlrev_b32_e64 v17, v13, 0x100000
	s_delay_alu instid0(VALU_DEP_4) | instskip(NEXT) | instid1(VALU_DEP_4)
	v_add_nc_u32_e32 v13, v13, v9
	v_and_b32_e32 v12, v14, v12
	s_delay_alu instid0(VALU_DEP_4) | instskip(NEXT) | instid1(VALU_DEP_2)
	v_bfe_u32 v16, v15, 21, 1
	v_cmp_eq_u32_e64 s13, v12, v17
	s_delay_alu instid0(VALU_DEP_2) | instskip(NEXT) | instid1(VALU_DEP_1)
	v_add_nc_u32_e32 v14, -1, v16
	v_cndmask_b32_e64 v12, 0, v14, s13
	v_lshrrev_b32_e32 v14, 23, v15
	s_mov_b32 s13, exec_lo
	s_delay_alu instid0(VALU_DEP_2) | instskip(NEXT) | instid1(VALU_DEP_2)
	v_add_nc_u32_e32 v12, v12, v15
	v_xor_b32_e32 v14, 1, v14
	s_delay_alu instid0(VALU_DEP_2) | instskip(NEXT) | instid1(VALU_DEP_1)
	v_and_b32_e32 v9, 0x1fffff, v12
	v_add_nc_u32_e32 v12, v9, v15
                                        ; implicit-def: $vgpr9
	s_delay_alu instid0(VALU_DEP_3)
	v_cmpx_ne_u32_e64 v13, v14
	s_xor_b32 s13, exec_lo, s13
; %bb.8190:                             ;   in Loop: Header=BB6_8078 Depth=3
	s_delay_alu instid0(VALU_DEP_2) | instskip(SKIP_2) | instid1(VALU_DEP_2)
	v_cmp_lt_u32_e32 vcc_lo, 0xffffff, v12
	v_sub_nc_u32_e32 v9, v13, v14
	v_cndmask_b32_e64 v13, 0, 1, vcc_lo
	v_add_co_ci_u32_e32 v9, vcc_lo, 0, v9, vcc_lo
	s_delay_alu instid0(VALU_DEP_2)
	v_lshrrev_b32_e32 v12, v13, v12
; %bb.8191:                             ;   in Loop: Header=BB6_8078 Depth=3
	s_and_not1_saveexec_b32 s13, s13
; %bb.8192:                             ;   in Loop: Header=BB6_8078 Depth=3
	s_delay_alu instid0(VALU_DEP_1)
	v_bfe_u32 v9, v12, 23, 1
; %bb.8193:                             ;   in Loop: Header=BB6_8078 Depth=3
	s_or_b32 exec_lo, exec_lo, s13
	v_lshrrev_b32_e32 v12, 21, v12
	s_delay_alu instid0(VALU_DEP_2) | instskip(SKIP_2) | instid1(VALU_DEP_4)
	v_cmp_gt_i32_e32 vcc_lo, 32, v9
	v_lshrrev_b32_e32 v8, 24, v8
	v_min_i32_e32 v13, 31, v9
	v_cndmask_b32_e32 v12, 3, v12, vcc_lo
	s_delay_alu instid0(VALU_DEP_3) | instskip(NEXT) | instid1(VALU_DEP_3)
	v_and_b32_e32 v8, 0x80, v8
	v_lshlrev_b32_e32 v13, 2, v13
	s_delay_alu instid0(VALU_DEP_3) | instskip(SKIP_1) | instid1(VALU_DEP_2)
	v_and_b32_e32 v14, 3, v12
	v_or_b32_e32 v9, v9, v12
	v_or3_b32 v8, v13, v8, v14
	s_delay_alu instid0(VALU_DEP_2) | instskip(NEXT) | instid1(VALU_DEP_2)
	v_cmp_ne_u32_e32 vcc_lo, 0, v9
	v_cndmask_b32_e32 v72, 0, v8, vcc_lo
.LBB6_8194:                             ;   in Loop: Header=BB6_8078 Depth=3
	s_or_b32 exec_lo, exec_lo, s31
.LBB6_8195:                             ;   in Loop: Header=BB6_8078 Depth=3
	s_delay_alu instid0(SALU_CYCLE_1) | instskip(SKIP_3) | instid1(VALU_DEP_1)
	s_or_b32 exec_lo, exec_lo, s30
	v_lshrrev_b16 v8, 8, v10
	s_mov_b32 s13, 0
	s_mov_b32 s31, exec_lo
                                        ; implicit-def: $sgpr30
	v_cmpx_lt_i16_e32 0x7f, v8
	s_xor_b32 s31, exec_lo, s31
	s_cbranch_execnz .LBB6_9913
; %bb.8196:                             ;   in Loop: Header=BB6_8078 Depth=3
	s_or_saveexec_b32 s31, s31
	v_mov_b32_e32 v9, s30
	s_xor_b32 exec_lo, exec_lo, s31
	s_cbranch_execnz .LBB6_9916
.LBB6_8197:                             ;   in Loop: Header=BB6_8078 Depth=3
	s_or_b32 exec_lo, exec_lo, s31
	s_and_saveexec_b32 s30, s13
	s_cbranch_execz .LBB6_8199
.LBB6_8198:                             ;   in Loop: Header=BB6_8078 Depth=3
	v_and_b32_e32 v9, 0xffff, v8
	v_lshlrev_b32_e32 v8, 24, v8
	s_delay_alu instid0(VALU_DEP_2) | instskip(NEXT) | instid1(VALU_DEP_2)
	v_and_b32_e32 v12, 3, v9
	v_and_b32_e32 v8, 0x80000000, v8
	s_delay_alu instid0(VALU_DEP_2) | instskip(NEXT) | instid1(VALU_DEP_1)
	v_clz_i32_u32_e32 v13, v12
	v_min_u32_e32 v13, 32, v13
	s_delay_alu instid0(VALU_DEP_1) | instskip(SKIP_1) | instid1(VALU_DEP_2)
	v_subrev_nc_u32_e32 v14, 29, v13
	v_sub_nc_u32_e32 v13, 30, v13
	v_lshlrev_b32_e32 v14, v14, v9
	v_bfe_u32 v9, v9, 2, 5
	s_delay_alu instid0(VALU_DEP_1) | instskip(NEXT) | instid1(VALU_DEP_3)
	v_cmp_eq_u32_e32 vcc_lo, 0, v9
	v_dual_cndmask_b32 v9, v9, v13 :: v_dual_and_b32 v14, 3, v14
	s_delay_alu instid0(VALU_DEP_1) | instskip(NEXT) | instid1(VALU_DEP_2)
	v_cndmask_b32_e32 v12, v12, v14, vcc_lo
	v_lshl_add_u32 v9, v9, 23, 0x37800000
	s_delay_alu instid0(VALU_DEP_2) | instskip(NEXT) | instid1(VALU_DEP_1)
	v_lshlrev_b32_e32 v12, 21, v12
	v_or3_b32 v9, v8, v9, v12
.LBB6_8199:                             ;   in Loop: Header=BB6_8078 Depth=3
	s_or_b32 exec_lo, exec_lo, s30
	s_delay_alu instid0(VALU_DEP_1) | instskip(SKIP_1) | instid1(VALU_DEP_1)
	v_dual_mul_f32 v8, s17, v9 :: v_dual_mov_b32 v77, 0x80
	s_mov_b32 s30, exec_lo
	v_and_b32_e32 v9, 0x7f800000, v8
	s_delay_alu instid0(VALU_DEP_1)
	v_cmpx_ne_u32_e32 0x7f800000, v9
	s_cbranch_execz .LBB6_8207
; %bb.8200:                             ;   in Loop: Header=BB6_8078 Depth=3
	v_mov_b32_e32 v77, 0
	s_mov_b32 s31, exec_lo
	v_cmpx_ne_u32_e32 0, v8
	s_cbranch_execz .LBB6_8206
; %bb.8201:                             ;   in Loop: Header=BB6_8078 Depth=3
	v_bfe_u32 v9, v8, 23, 8
	s_delay_alu instid0(VALU_DEP_1) | instskip(SKIP_1) | instid1(VALU_DEP_2)
	v_sub_nc_u32_e32 v13, 0x70, v9
	v_cmp_gt_u32_e32 vcc_lo, 0x71, v9
	v_dual_cndmask_b32 v13, 0, v13 :: v_dual_and_b32 v12, 0x7fffff, v8
	s_delay_alu instid0(VALU_DEP_1) | instskip(SKIP_2) | instid1(VALU_DEP_4)
	v_or_b32_e32 v14, 0x800000, v12
	v_cmp_eq_u32_e32 vcc_lo, 0, v9
	v_add_nc_u32_e32 v9, 0xffffff91, v9
	v_cndmask_b32_e64 v13, v13, 0x6f, vcc_lo
	s_delay_alu instid0(VALU_DEP_4) | instskip(NEXT) | instid1(VALU_DEP_3)
	v_cndmask_b32_e32 v12, v14, v12, vcc_lo
	v_cndmask_b32_e64 v9, v9, 0xffffff92, vcc_lo
	s_delay_alu instid0(VALU_DEP_3) | instskip(NEXT) | instid1(VALU_DEP_3)
	v_lshl_add_u32 v14, 0x200000, v13, -1
	v_lshrrev_b32_e32 v15, v13, v12
	v_lshlrev_b32_e64 v17, v13, 0x100000
	s_delay_alu instid0(VALU_DEP_4) | instskip(NEXT) | instid1(VALU_DEP_4)
	v_add_nc_u32_e32 v13, v13, v9
	v_and_b32_e32 v12, v14, v12
	s_delay_alu instid0(VALU_DEP_4) | instskip(NEXT) | instid1(VALU_DEP_2)
	v_bfe_u32 v16, v15, 21, 1
	v_cmp_eq_u32_e64 s13, v12, v17
	s_delay_alu instid0(VALU_DEP_2) | instskip(NEXT) | instid1(VALU_DEP_1)
	v_add_nc_u32_e32 v14, -1, v16
	v_cndmask_b32_e64 v12, 0, v14, s13
	v_lshrrev_b32_e32 v14, 23, v15
	s_mov_b32 s13, exec_lo
	s_delay_alu instid0(VALU_DEP_2) | instskip(NEXT) | instid1(VALU_DEP_2)
	v_add_nc_u32_e32 v12, v12, v15
	v_xor_b32_e32 v14, 1, v14
	s_delay_alu instid0(VALU_DEP_2) | instskip(NEXT) | instid1(VALU_DEP_1)
	v_and_b32_e32 v9, 0x1fffff, v12
	v_add_nc_u32_e32 v12, v9, v15
                                        ; implicit-def: $vgpr9
	s_delay_alu instid0(VALU_DEP_3)
	v_cmpx_ne_u32_e64 v13, v14
	s_xor_b32 s13, exec_lo, s13
; %bb.8202:                             ;   in Loop: Header=BB6_8078 Depth=3
	s_delay_alu instid0(VALU_DEP_2) | instskip(SKIP_2) | instid1(VALU_DEP_2)
	v_cmp_lt_u32_e32 vcc_lo, 0xffffff, v12
	v_sub_nc_u32_e32 v9, v13, v14
	v_cndmask_b32_e64 v13, 0, 1, vcc_lo
	v_add_co_ci_u32_e32 v9, vcc_lo, 0, v9, vcc_lo
	s_delay_alu instid0(VALU_DEP_2)
	v_lshrrev_b32_e32 v12, v13, v12
; %bb.8203:                             ;   in Loop: Header=BB6_8078 Depth=3
	s_and_not1_saveexec_b32 s13, s13
; %bb.8204:                             ;   in Loop: Header=BB6_8078 Depth=3
	s_delay_alu instid0(VALU_DEP_1)
	v_bfe_u32 v9, v12, 23, 1
; %bb.8205:                             ;   in Loop: Header=BB6_8078 Depth=3
	s_or_b32 exec_lo, exec_lo, s13
	v_lshrrev_b32_e32 v12, 21, v12
	s_delay_alu instid0(VALU_DEP_2) | instskip(SKIP_2) | instid1(VALU_DEP_4)
	v_cmp_gt_i32_e32 vcc_lo, 32, v9
	v_lshrrev_b32_e32 v8, 24, v8
	v_min_i32_e32 v13, 31, v9
	v_cndmask_b32_e32 v12, 3, v12, vcc_lo
	s_delay_alu instid0(VALU_DEP_3) | instskip(NEXT) | instid1(VALU_DEP_3)
	v_and_b32_e32 v8, 0x80, v8
	v_lshlrev_b32_e32 v13, 2, v13
	s_delay_alu instid0(VALU_DEP_3) | instskip(SKIP_1) | instid1(VALU_DEP_2)
	v_and_b32_e32 v14, 3, v12
	v_or_b32_e32 v9, v9, v12
	v_or3_b32 v8, v13, v8, v14
	s_delay_alu instid0(VALU_DEP_2) | instskip(NEXT) | instid1(VALU_DEP_2)
	v_cmp_ne_u32_e32 vcc_lo, 0, v9
	v_cndmask_b32_e32 v77, 0, v8, vcc_lo
.LBB6_8206:                             ;   in Loop: Header=BB6_8078 Depth=3
	s_or_b32 exec_lo, exec_lo, s31
.LBB6_8207:                             ;   in Loop: Header=BB6_8078 Depth=3
	s_delay_alu instid0(SALU_CYCLE_1) | instskip(SKIP_3) | instid1(VALU_DEP_1)
	s_or_b32 exec_lo, exec_lo, s30
	v_lshrrev_b32_e32 v8, 16, v10
	s_mov_b32 s13, 0
	s_mov_b32 s31, exec_lo
                                        ; implicit-def: $sgpr30
	v_and_b32_e32 v12, 0xff, v8
	s_delay_alu instid0(VALU_DEP_1)
	v_cmpx_lt_i16_e32 0x7f, v12
	s_xor_b32 s31, exec_lo, s31
	s_cbranch_execnz .LBB6_9917
; %bb.8208:                             ;   in Loop: Header=BB6_8078 Depth=3
	s_or_saveexec_b32 s31, s31
	v_mov_b32_e32 v9, s30
	s_xor_b32 exec_lo, exec_lo, s31
	s_cbranch_execnz .LBB6_9920
.LBB6_8209:                             ;   in Loop: Header=BB6_8078 Depth=3
	s_or_b32 exec_lo, exec_lo, s31
	s_and_saveexec_b32 s30, s13
	s_cbranch_execz .LBB6_8211
.LBB6_8210:                             ;   in Loop: Header=BB6_8078 Depth=3
	v_bfe_u32 v9, v10, 16, 2
	v_lshlrev_b32_e32 v14, 8, v10
	s_delay_alu instid0(VALU_DEP_2) | instskip(NEXT) | instid1(VALU_DEP_1)
	v_clz_i32_u32_e32 v12, v9
	v_min_u32_e32 v12, 32, v12
	s_delay_alu instid0(VALU_DEP_1) | instskip(SKIP_1) | instid1(VALU_DEP_2)
	v_subrev_nc_u32_e32 v13, 29, v12
	v_sub_nc_u32_e32 v12, 30, v12
	v_lshlrev_b32_e32 v8, v13, v8
	v_bfe_u32 v13, v10, 18, 5
	s_delay_alu instid0(VALU_DEP_2) | instskip(NEXT) | instid1(VALU_DEP_2)
	v_and_b32_e32 v8, 3, v8
	v_cmp_eq_u32_e32 vcc_lo, 0, v13
	v_cndmask_b32_e32 v12, v13, v12, vcc_lo
	s_delay_alu instid0(VALU_DEP_3) | instskip(NEXT) | instid1(VALU_DEP_2)
	v_dual_cndmask_b32 v8, v9, v8 :: v_dual_and_b32 v9, 0x80000000, v14
	v_lshl_add_u32 v12, v12, 23, 0x37800000
	s_delay_alu instid0(VALU_DEP_2) | instskip(NEXT) | instid1(VALU_DEP_1)
	v_lshlrev_b32_e32 v8, 21, v8
	v_or3_b32 v9, v9, v12, v8
.LBB6_8211:                             ;   in Loop: Header=BB6_8078 Depth=3
	s_or_b32 exec_lo, exec_lo, s30
	s_delay_alu instid0(VALU_DEP_1) | instskip(SKIP_1) | instid1(VALU_DEP_1)
	v_dual_mul_f32 v8, s17, v9 :: v_dual_mov_b32 v89, 0x80
	s_mov_b32 s30, exec_lo
	v_and_b32_e32 v9, 0x7f800000, v8
	s_delay_alu instid0(VALU_DEP_1)
	v_cmpx_ne_u32_e32 0x7f800000, v9
	s_cbranch_execz .LBB6_8219
; %bb.8212:                             ;   in Loop: Header=BB6_8078 Depth=3
	v_mov_b32_e32 v89, 0
	s_mov_b32 s31, exec_lo
	v_cmpx_ne_u32_e32 0, v8
	s_cbranch_execz .LBB6_8218
; %bb.8213:                             ;   in Loop: Header=BB6_8078 Depth=3
	v_bfe_u32 v9, v8, 23, 8
	s_delay_alu instid0(VALU_DEP_1) | instskip(SKIP_1) | instid1(VALU_DEP_2)
	v_sub_nc_u32_e32 v13, 0x70, v9
	v_cmp_gt_u32_e32 vcc_lo, 0x71, v9
	v_dual_cndmask_b32 v13, 0, v13 :: v_dual_and_b32 v12, 0x7fffff, v8
	s_delay_alu instid0(VALU_DEP_1) | instskip(SKIP_2) | instid1(VALU_DEP_4)
	v_or_b32_e32 v14, 0x800000, v12
	v_cmp_eq_u32_e32 vcc_lo, 0, v9
	v_add_nc_u32_e32 v9, 0xffffff91, v9
	v_cndmask_b32_e64 v13, v13, 0x6f, vcc_lo
	s_delay_alu instid0(VALU_DEP_4) | instskip(NEXT) | instid1(VALU_DEP_3)
	v_cndmask_b32_e32 v12, v14, v12, vcc_lo
	v_cndmask_b32_e64 v9, v9, 0xffffff92, vcc_lo
	s_delay_alu instid0(VALU_DEP_3) | instskip(NEXT) | instid1(VALU_DEP_3)
	v_lshl_add_u32 v14, 0x200000, v13, -1
	v_lshrrev_b32_e32 v15, v13, v12
	v_lshlrev_b32_e64 v17, v13, 0x100000
	s_delay_alu instid0(VALU_DEP_4) | instskip(NEXT) | instid1(VALU_DEP_4)
	v_add_nc_u32_e32 v13, v13, v9
	v_and_b32_e32 v12, v14, v12
	s_delay_alu instid0(VALU_DEP_4) | instskip(NEXT) | instid1(VALU_DEP_2)
	v_bfe_u32 v16, v15, 21, 1
	v_cmp_eq_u32_e64 s13, v12, v17
	s_delay_alu instid0(VALU_DEP_2) | instskip(NEXT) | instid1(VALU_DEP_1)
	v_add_nc_u32_e32 v14, -1, v16
	v_cndmask_b32_e64 v12, 0, v14, s13
	v_lshrrev_b32_e32 v14, 23, v15
	s_mov_b32 s13, exec_lo
	s_delay_alu instid0(VALU_DEP_2) | instskip(NEXT) | instid1(VALU_DEP_2)
	v_add_nc_u32_e32 v12, v12, v15
	v_xor_b32_e32 v14, 1, v14
	s_delay_alu instid0(VALU_DEP_2) | instskip(NEXT) | instid1(VALU_DEP_1)
	v_and_b32_e32 v9, 0x1fffff, v12
	v_add_nc_u32_e32 v12, v9, v15
                                        ; implicit-def: $vgpr9
	s_delay_alu instid0(VALU_DEP_3)
	v_cmpx_ne_u32_e64 v13, v14
	s_xor_b32 s13, exec_lo, s13
; %bb.8214:                             ;   in Loop: Header=BB6_8078 Depth=3
	s_delay_alu instid0(VALU_DEP_2) | instskip(SKIP_2) | instid1(VALU_DEP_2)
	v_cmp_lt_u32_e32 vcc_lo, 0xffffff, v12
	v_sub_nc_u32_e32 v9, v13, v14
	v_cndmask_b32_e64 v13, 0, 1, vcc_lo
	v_add_co_ci_u32_e32 v9, vcc_lo, 0, v9, vcc_lo
	s_delay_alu instid0(VALU_DEP_2)
	v_lshrrev_b32_e32 v12, v13, v12
; %bb.8215:                             ;   in Loop: Header=BB6_8078 Depth=3
	s_and_not1_saveexec_b32 s13, s13
; %bb.8216:                             ;   in Loop: Header=BB6_8078 Depth=3
	s_delay_alu instid0(VALU_DEP_1)
	v_bfe_u32 v9, v12, 23, 1
; %bb.8217:                             ;   in Loop: Header=BB6_8078 Depth=3
	s_or_b32 exec_lo, exec_lo, s13
	v_lshrrev_b32_e32 v12, 21, v12
	s_delay_alu instid0(VALU_DEP_2) | instskip(SKIP_2) | instid1(VALU_DEP_4)
	v_cmp_gt_i32_e32 vcc_lo, 32, v9
	v_lshrrev_b32_e32 v8, 24, v8
	v_min_i32_e32 v13, 31, v9
	v_cndmask_b32_e32 v12, 3, v12, vcc_lo
	s_delay_alu instid0(VALU_DEP_3) | instskip(NEXT) | instid1(VALU_DEP_3)
	v_and_b32_e32 v8, 0x80, v8
	v_lshlrev_b32_e32 v13, 2, v13
	s_delay_alu instid0(VALU_DEP_3) | instskip(SKIP_1) | instid1(VALU_DEP_2)
	v_and_b32_e32 v14, 3, v12
	v_or_b32_e32 v9, v9, v12
	v_or3_b32 v8, v13, v8, v14
	s_delay_alu instid0(VALU_DEP_2) | instskip(NEXT) | instid1(VALU_DEP_2)
	v_cmp_ne_u32_e32 vcc_lo, 0, v9
	v_cndmask_b32_e32 v89, 0, v8, vcc_lo
.LBB6_8218:                             ;   in Loop: Header=BB6_8078 Depth=3
	s_or_b32 exec_lo, exec_lo, s31
.LBB6_8219:                             ;   in Loop: Header=BB6_8078 Depth=3
	s_delay_alu instid0(SALU_CYCLE_1) | instskip(SKIP_3) | instid1(VALU_DEP_1)
	s_or_b32 exec_lo, exec_lo, s30
	v_lshrrev_b32_e32 v8, 24, v10
	s_mov_b32 s13, 0
	s_mov_b32 s31, exec_lo
                                        ; implicit-def: $sgpr30
	v_cmpx_lt_i16_e32 0x7f, v8
	s_xor_b32 s31, exec_lo, s31
	s_cbranch_execnz .LBB6_9921
; %bb.8220:                             ;   in Loop: Header=BB6_8078 Depth=3
	s_or_saveexec_b32 s31, s31
	v_mov_b32_e32 v9, s30
	s_xor_b32 exec_lo, exec_lo, s31
	s_cbranch_execnz .LBB6_9924
.LBB6_8221:                             ;   in Loop: Header=BB6_8078 Depth=3
	s_or_b32 exec_lo, exec_lo, s31
	s_and_saveexec_b32 s30, s13
	s_cbranch_execz .LBB6_8223
.LBB6_8222:                             ;   in Loop: Header=BB6_8078 Depth=3
	v_bfe_u32 v9, v10, 24, 2
	s_delay_alu instid0(VALU_DEP_1) | instskip(NEXT) | instid1(VALU_DEP_1)
	v_clz_i32_u32_e32 v12, v9
	v_min_u32_e32 v12, 32, v12
	s_delay_alu instid0(VALU_DEP_1) | instskip(SKIP_1) | instid1(VALU_DEP_2)
	v_subrev_nc_u32_e32 v13, 29, v12
	v_sub_nc_u32_e32 v12, 30, v12
	v_lshlrev_b32_e32 v8, v13, v8
	v_bfe_u32 v13, v10, 26, 5
	s_delay_alu instid0(VALU_DEP_2) | instskip(NEXT) | instid1(VALU_DEP_2)
	v_and_b32_e32 v8, 3, v8
	v_cmp_eq_u32_e32 vcc_lo, 0, v13
	v_cndmask_b32_e32 v12, v13, v12, vcc_lo
	s_delay_alu instid0(VALU_DEP_3) | instskip(NEXT) | instid1(VALU_DEP_2)
	v_dual_cndmask_b32 v8, v9, v8 :: v_dual_and_b32 v9, 0x80000000, v10
	v_lshl_add_u32 v10, v12, 23, 0x37800000
	s_delay_alu instid0(VALU_DEP_2) | instskip(NEXT) | instid1(VALU_DEP_1)
	v_lshlrev_b32_e32 v8, 21, v8
	v_or3_b32 v9, v9, v10, v8
.LBB6_8223:                             ;   in Loop: Header=BB6_8078 Depth=3
	s_or_b32 exec_lo, exec_lo, s30
	s_delay_alu instid0(VALU_DEP_1) | instskip(SKIP_2) | instid1(VALU_DEP_2)
	v_mul_f32_e32 v8, s17, v9
	v_mov_b32_e32 v108, 0x80
	s_mov_b32 s30, exec_lo
	v_and_b32_e32 v9, 0x7f800000, v8
	s_delay_alu instid0(VALU_DEP_1)
	v_cmpx_ne_u32_e32 0x7f800000, v9
	s_cbranch_execz .LBB6_8231
; %bb.8224:                             ;   in Loop: Header=BB6_8078 Depth=3
	v_mov_b32_e32 v108, 0
	s_mov_b32 s31, exec_lo
	v_cmpx_ne_u32_e32 0, v8
	s_cbranch_execz .LBB6_8230
; %bb.8225:                             ;   in Loop: Header=BB6_8078 Depth=3
	v_bfe_u32 v9, v8, 23, 8
	v_and_b32_e32 v10, 0x7fffff, v8
	s_delay_alu instid0(VALU_DEP_2) | instskip(SKIP_1) | instid1(VALU_DEP_3)
	v_sub_nc_u32_e32 v12, 0x70, v9
	v_cmp_gt_u32_e32 vcc_lo, 0x71, v9
	v_or_b32_e32 v13, 0x800000, v10
	s_delay_alu instid0(VALU_DEP_3) | instskip(SKIP_2) | instid1(VALU_DEP_3)
	v_cndmask_b32_e32 v12, 0, v12, vcc_lo
	v_cmp_eq_u32_e32 vcc_lo, 0, v9
	v_add_nc_u32_e32 v9, 0xffffff91, v9
	v_cndmask_b32_e64 v12, v12, 0x6f, vcc_lo
	v_cndmask_b32_e32 v10, v13, v10, vcc_lo
	s_delay_alu instid0(VALU_DEP_3) | instskip(NEXT) | instid1(VALU_DEP_3)
	v_cndmask_b32_e64 v9, v9, 0xffffff92, vcc_lo
	v_lshl_add_u32 v13, 0x200000, v12, -1
	s_delay_alu instid0(VALU_DEP_3) | instskip(SKIP_1) | instid1(VALU_DEP_4)
	v_lshrrev_b32_e32 v14, v12, v10
	v_lshlrev_b32_e64 v16, v12, 0x100000
	v_add_nc_u32_e32 v12, v12, v9
	s_delay_alu instid0(VALU_DEP_4) | instskip(NEXT) | instid1(VALU_DEP_4)
	v_and_b32_e32 v10, v13, v10
	v_bfe_u32 v15, v14, 21, 1
	s_delay_alu instid0(VALU_DEP_2) | instskip(NEXT) | instid1(VALU_DEP_2)
	v_cmp_eq_u32_e64 s13, v10, v16
	v_add_nc_u32_e32 v13, -1, v15
	s_delay_alu instid0(VALU_DEP_1) | instskip(SKIP_2) | instid1(VALU_DEP_2)
	v_cndmask_b32_e64 v10, 0, v13, s13
	v_lshrrev_b32_e32 v13, 23, v14
	s_mov_b32 s13, exec_lo
	v_add_nc_u32_e32 v10, v10, v14
	s_delay_alu instid0(VALU_DEP_2) | instskip(NEXT) | instid1(VALU_DEP_2)
	v_xor_b32_e32 v13, 1, v13
	v_and_b32_e32 v9, 0x1fffff, v10
	s_delay_alu instid0(VALU_DEP_1) | instskip(NEXT) | instid1(VALU_DEP_3)
	v_add_nc_u32_e32 v10, v9, v14
                                        ; implicit-def: $vgpr9
	v_cmpx_ne_u32_e64 v12, v13
	s_xor_b32 s13, exec_lo, s13
; %bb.8226:                             ;   in Loop: Header=BB6_8078 Depth=3
	s_delay_alu instid0(VALU_DEP_2) | instskip(SKIP_2) | instid1(VALU_DEP_2)
	v_cmp_lt_u32_e32 vcc_lo, 0xffffff, v10
	v_sub_nc_u32_e32 v9, v12, v13
	v_cndmask_b32_e64 v12, 0, 1, vcc_lo
	v_add_co_ci_u32_e32 v9, vcc_lo, 0, v9, vcc_lo
	s_delay_alu instid0(VALU_DEP_2)
	v_lshrrev_b32_e32 v10, v12, v10
; %bb.8227:                             ;   in Loop: Header=BB6_8078 Depth=3
	s_and_not1_saveexec_b32 s13, s13
; %bb.8228:                             ;   in Loop: Header=BB6_8078 Depth=3
	s_delay_alu instid0(VALU_DEP_1)
	v_bfe_u32 v9, v10, 23, 1
; %bb.8229:                             ;   in Loop: Header=BB6_8078 Depth=3
	s_or_b32 exec_lo, exec_lo, s13
	v_lshrrev_b32_e32 v10, 21, v10
	s_delay_alu instid0(VALU_DEP_2) | instskip(SKIP_2) | instid1(VALU_DEP_4)
	v_cmp_gt_i32_e32 vcc_lo, 32, v9
	v_lshrrev_b32_e32 v8, 24, v8
	v_min_i32_e32 v12, 31, v9
	v_cndmask_b32_e32 v10, 3, v10, vcc_lo
	s_delay_alu instid0(VALU_DEP_3) | instskip(NEXT) | instid1(VALU_DEP_3)
	v_and_b32_e32 v8, 0x80, v8
	v_lshlrev_b32_e32 v12, 2, v12
	s_delay_alu instid0(VALU_DEP_3) | instskip(NEXT) | instid1(VALU_DEP_1)
	v_or_b32_e32 v9, v9, v10
	v_cmp_ne_u32_e32 vcc_lo, 0, v9
	v_and_b32_e32 v13, 3, v10
	s_delay_alu instid0(VALU_DEP_1) | instskip(NEXT) | instid1(VALU_DEP_1)
	v_or3_b32 v8, v12, v8, v13
	v_cndmask_b32_e32 v108, 0, v8, vcc_lo
.LBB6_8230:                             ;   in Loop: Header=BB6_8078 Depth=3
	s_or_b32 exec_lo, exec_lo, s31
.LBB6_8231:                             ;   in Loop: Header=BB6_8078 Depth=3
	s_delay_alu instid0(SALU_CYCLE_1) | instskip(SKIP_3) | instid1(VALU_DEP_1)
	s_or_b32 exec_lo, exec_lo, s30
	v_and_b32_e32 v9, 0xff, v11
	s_mov_b32 s13, 0
	s_mov_b32 s31, exec_lo
                                        ; implicit-def: $sgpr30
	v_cmpx_lt_i16_e32 0x7f, v9
	s_xor_b32 s31, exec_lo, s31
	s_cbranch_execnz .LBB6_9925
; %bb.8232:                             ;   in Loop: Header=BB6_8078 Depth=3
	s_or_saveexec_b32 s31, s31
	v_mov_b32_e32 v8, s30
	s_xor_b32 exec_lo, exec_lo, s31
	s_cbranch_execnz .LBB6_9928
.LBB6_8233:                             ;   in Loop: Header=BB6_8078 Depth=3
	s_or_b32 exec_lo, exec_lo, s31
	s_and_saveexec_b32 s30, s13
	s_cbranch_execz .LBB6_8235
.LBB6_8234:                             ;   in Loop: Header=BB6_8078 Depth=3
	v_bfe_u32 v12, v11, 2, 5
	s_delay_alu instid0(VALU_DEP_1) | instskip(SKIP_1) | instid1(VALU_DEP_1)
	v_cmp_eq_u32_e32 vcc_lo, 0, v12
	v_and_b32_e32 v8, 3, v11
	v_clz_i32_u32_e32 v9, v8
	s_delay_alu instid0(VALU_DEP_1) | instskip(NEXT) | instid1(VALU_DEP_1)
	v_min_u32_e32 v9, 32, v9
	v_subrev_nc_u32_e32 v10, 29, v9
	v_sub_nc_u32_e32 v9, 30, v9
	s_delay_alu instid0(VALU_DEP_1) | instskip(NEXT) | instid1(VALU_DEP_1)
	v_dual_cndmask_b32 v9, v12, v9 :: v_dual_lshlrev_b32 v10, v10, v11
	v_and_b32_e32 v10, 3, v10
	v_lshlrev_b32_e32 v13, 24, v11
	s_delay_alu instid0(VALU_DEP_3) | instskip(NEXT) | instid1(VALU_DEP_3)
	v_lshl_add_u32 v9, v9, 23, 0x37800000
	v_cndmask_b32_e32 v8, v8, v10, vcc_lo
	s_delay_alu instid0(VALU_DEP_3) | instskip(NEXT) | instid1(VALU_DEP_2)
	v_and_b32_e32 v10, 0x80000000, v13
	v_lshlrev_b32_e32 v8, 21, v8
	s_delay_alu instid0(VALU_DEP_1)
	v_or3_b32 v8, v10, v9, v8
.LBB6_8235:                             ;   in Loop: Header=BB6_8078 Depth=3
	s_or_b32 exec_lo, exec_lo, s30
	s_delay_alu instid0(VALU_DEP_1) | instskip(SKIP_2) | instid1(VALU_DEP_2)
	v_mul_f32_e32 v8, s17, v8
	v_mov_b32_e32 v106, 0x80
	s_mov_b32 s30, exec_lo
	v_and_b32_e32 v9, 0x7f800000, v8
	s_delay_alu instid0(VALU_DEP_1)
	v_cmpx_ne_u32_e32 0x7f800000, v9
	s_cbranch_execz .LBB6_8243
; %bb.8236:                             ;   in Loop: Header=BB6_8078 Depth=3
	v_mov_b32_e32 v106, 0
	s_mov_b32 s31, exec_lo
	v_cmpx_ne_u32_e32 0, v8
	s_cbranch_execz .LBB6_8242
; %bb.8237:                             ;   in Loop: Header=BB6_8078 Depth=3
	v_bfe_u32 v9, v8, 23, 8
	v_and_b32_e32 v10, 0x7fffff, v8
	s_delay_alu instid0(VALU_DEP_2) | instskip(SKIP_1) | instid1(VALU_DEP_3)
	v_sub_nc_u32_e32 v12, 0x70, v9
	v_cmp_gt_u32_e32 vcc_lo, 0x71, v9
	v_or_b32_e32 v13, 0x800000, v10
	s_delay_alu instid0(VALU_DEP_3) | instskip(SKIP_2) | instid1(VALU_DEP_3)
	v_cndmask_b32_e32 v12, 0, v12, vcc_lo
	v_cmp_eq_u32_e32 vcc_lo, 0, v9
	v_add_nc_u32_e32 v9, 0xffffff91, v9
	v_cndmask_b32_e64 v12, v12, 0x6f, vcc_lo
	v_cndmask_b32_e32 v10, v13, v10, vcc_lo
	s_delay_alu instid0(VALU_DEP_3) | instskip(NEXT) | instid1(VALU_DEP_3)
	v_cndmask_b32_e64 v9, v9, 0xffffff92, vcc_lo
	v_lshl_add_u32 v13, 0x200000, v12, -1
	s_delay_alu instid0(VALU_DEP_3) | instskip(SKIP_1) | instid1(VALU_DEP_4)
	v_lshrrev_b32_e32 v14, v12, v10
	v_lshlrev_b32_e64 v16, v12, 0x100000
	v_add_nc_u32_e32 v12, v12, v9
	s_delay_alu instid0(VALU_DEP_4) | instskip(NEXT) | instid1(VALU_DEP_4)
	v_and_b32_e32 v10, v13, v10
	v_bfe_u32 v15, v14, 21, 1
	s_delay_alu instid0(VALU_DEP_2) | instskip(NEXT) | instid1(VALU_DEP_2)
	v_cmp_eq_u32_e64 s13, v10, v16
	v_add_nc_u32_e32 v13, -1, v15
	s_delay_alu instid0(VALU_DEP_1) | instskip(SKIP_2) | instid1(VALU_DEP_2)
	v_cndmask_b32_e64 v10, 0, v13, s13
	v_lshrrev_b32_e32 v13, 23, v14
	s_mov_b32 s13, exec_lo
	v_add_nc_u32_e32 v10, v10, v14
	s_delay_alu instid0(VALU_DEP_2) | instskip(NEXT) | instid1(VALU_DEP_2)
	v_xor_b32_e32 v13, 1, v13
	v_and_b32_e32 v9, 0x1fffff, v10
	s_delay_alu instid0(VALU_DEP_1) | instskip(NEXT) | instid1(VALU_DEP_3)
	v_add_nc_u32_e32 v10, v9, v14
                                        ; implicit-def: $vgpr9
	v_cmpx_ne_u32_e64 v12, v13
	s_xor_b32 s13, exec_lo, s13
; %bb.8238:                             ;   in Loop: Header=BB6_8078 Depth=3
	s_delay_alu instid0(VALU_DEP_2) | instskip(SKIP_2) | instid1(VALU_DEP_2)
	v_cmp_lt_u32_e32 vcc_lo, 0xffffff, v10
	v_sub_nc_u32_e32 v9, v12, v13
	v_cndmask_b32_e64 v12, 0, 1, vcc_lo
	v_add_co_ci_u32_e32 v9, vcc_lo, 0, v9, vcc_lo
	s_delay_alu instid0(VALU_DEP_2)
	v_lshrrev_b32_e32 v10, v12, v10
; %bb.8239:                             ;   in Loop: Header=BB6_8078 Depth=3
	s_and_not1_saveexec_b32 s13, s13
; %bb.8240:                             ;   in Loop: Header=BB6_8078 Depth=3
	s_delay_alu instid0(VALU_DEP_1)
	v_bfe_u32 v9, v10, 23, 1
; %bb.8241:                             ;   in Loop: Header=BB6_8078 Depth=3
	s_or_b32 exec_lo, exec_lo, s13
	v_lshrrev_b32_e32 v10, 21, v10
	s_delay_alu instid0(VALU_DEP_2) | instskip(SKIP_2) | instid1(VALU_DEP_4)
	v_cmp_gt_i32_e32 vcc_lo, 32, v9
	v_min_i32_e32 v12, 31, v9
	v_lshrrev_b32_e32 v8, 24, v8
	v_cndmask_b32_e32 v10, 3, v10, vcc_lo
	s_delay_alu instid0(VALU_DEP_3) | instskip(NEXT) | instid1(VALU_DEP_3)
	v_lshlrev_b32_e32 v12, 2, v12
	v_and_b32_e32 v8, 0x80, v8
	s_delay_alu instid0(VALU_DEP_3) | instskip(NEXT) | instid1(VALU_DEP_3)
	v_or_b32_e32 v9, v9, v10
	v_and_b32_e32 v12, 0xfc, v12
	s_delay_alu instid0(VALU_DEP_2) | instskip(SKIP_1) | instid1(VALU_DEP_1)
	v_cmp_ne_u32_e32 vcc_lo, 0, v9
	v_and_b32_e32 v13, 3, v10
	v_or3_b32 v8, v12, v8, v13
	s_delay_alu instid0(VALU_DEP_1)
	v_cndmask_b32_e32 v106, 0, v8, vcc_lo
.LBB6_8242:                             ;   in Loop: Header=BB6_8078 Depth=3
	s_or_b32 exec_lo, exec_lo, s31
.LBB6_8243:                             ;   in Loop: Header=BB6_8078 Depth=3
	s_delay_alu instid0(SALU_CYCLE_1) | instskip(SKIP_3) | instid1(VALU_DEP_1)
	s_or_b32 exec_lo, exec_lo, s30
	v_lshrrev_b16 v8, 8, v11
	s_mov_b32 s13, 0
	s_mov_b32 s31, exec_lo
                                        ; implicit-def: $sgpr30
	v_cmpx_lt_i16_e32 0x7f, v8
	s_xor_b32 s31, exec_lo, s31
	s_cbranch_execnz .LBB6_9929
; %bb.8244:                             ;   in Loop: Header=BB6_8078 Depth=3
	s_or_saveexec_b32 s31, s31
	v_mov_b32_e32 v9, s30
	s_xor_b32 exec_lo, exec_lo, s31
	s_cbranch_execnz .LBB6_9932
.LBB6_8245:                             ;   in Loop: Header=BB6_8078 Depth=3
	s_or_b32 exec_lo, exec_lo, s31
	s_and_saveexec_b32 s30, s13
	s_cbranch_execz .LBB6_8247
.LBB6_8246:                             ;   in Loop: Header=BB6_8078 Depth=3
	v_and_b32_e32 v9, 0xffff, v8
	v_lshlrev_b32_e32 v8, 24, v8
	s_delay_alu instid0(VALU_DEP_2) | instskip(NEXT) | instid1(VALU_DEP_2)
	v_and_b32_e32 v10, 3, v9
	v_and_b32_e32 v8, 0x80000000, v8
	s_delay_alu instid0(VALU_DEP_2) | instskip(NEXT) | instid1(VALU_DEP_1)
	v_clz_i32_u32_e32 v12, v10
	v_min_u32_e32 v12, 32, v12
	s_delay_alu instid0(VALU_DEP_1) | instskip(SKIP_1) | instid1(VALU_DEP_2)
	v_subrev_nc_u32_e32 v13, 29, v12
	v_sub_nc_u32_e32 v12, 30, v12
	v_lshlrev_b32_e32 v13, v13, v9
	v_bfe_u32 v9, v9, 2, 5
	s_delay_alu instid0(VALU_DEP_2) | instskip(NEXT) | instid1(VALU_DEP_2)
	v_and_b32_e32 v13, 3, v13
	v_cmp_eq_u32_e32 vcc_lo, 0, v9
	s_delay_alu instid0(VALU_DEP_2) | instskip(NEXT) | instid1(VALU_DEP_1)
	v_dual_cndmask_b32 v9, v9, v12 :: v_dual_cndmask_b32 v10, v10, v13
	v_lshl_add_u32 v9, v9, 23, 0x37800000
	s_delay_alu instid0(VALU_DEP_2) | instskip(NEXT) | instid1(VALU_DEP_1)
	v_lshlrev_b32_e32 v10, 21, v10
	v_or3_b32 v9, v8, v9, v10
.LBB6_8247:                             ;   in Loop: Header=BB6_8078 Depth=3
	s_or_b32 exec_lo, exec_lo, s30
	s_delay_alu instid0(VALU_DEP_1) | instskip(SKIP_2) | instid1(VALU_DEP_2)
	v_mul_f32_e32 v8, s17, v9
	v_mov_b32_e32 v126, 0x8000
	s_mov_b32 s30, exec_lo
	v_and_b32_e32 v9, 0x7f800000, v8
	s_delay_alu instid0(VALU_DEP_1)
	v_cmpx_ne_u32_e32 0x7f800000, v9
	s_cbranch_execz .LBB6_8255
; %bb.8248:                             ;   in Loop: Header=BB6_8078 Depth=3
	v_mov_b32_e32 v126, 0
	s_mov_b32 s31, exec_lo
	v_cmpx_ne_u32_e32 0, v8
	s_cbranch_execz .LBB6_8254
; %bb.8249:                             ;   in Loop: Header=BB6_8078 Depth=3
	v_bfe_u32 v9, v8, 23, 8
	v_and_b32_e32 v10, 0x7fffff, v8
	s_delay_alu instid0(VALU_DEP_2) | instskip(SKIP_1) | instid1(VALU_DEP_3)
	v_sub_nc_u32_e32 v12, 0x70, v9
	v_cmp_gt_u32_e32 vcc_lo, 0x71, v9
	v_or_b32_e32 v13, 0x800000, v10
	s_delay_alu instid0(VALU_DEP_3) | instskip(SKIP_2) | instid1(VALU_DEP_3)
	v_cndmask_b32_e32 v12, 0, v12, vcc_lo
	v_cmp_eq_u32_e32 vcc_lo, 0, v9
	v_add_nc_u32_e32 v9, 0xffffff91, v9
	v_cndmask_b32_e64 v12, v12, 0x6f, vcc_lo
	v_cndmask_b32_e32 v10, v13, v10, vcc_lo
	s_delay_alu instid0(VALU_DEP_3) | instskip(NEXT) | instid1(VALU_DEP_3)
	v_cndmask_b32_e64 v9, v9, 0xffffff92, vcc_lo
	v_lshl_add_u32 v13, 0x200000, v12, -1
	s_delay_alu instid0(VALU_DEP_3) | instskip(SKIP_1) | instid1(VALU_DEP_4)
	v_lshrrev_b32_e32 v14, v12, v10
	v_lshlrev_b32_e64 v16, v12, 0x100000
	v_add_nc_u32_e32 v12, v12, v9
	s_delay_alu instid0(VALU_DEP_4) | instskip(NEXT) | instid1(VALU_DEP_4)
	v_and_b32_e32 v10, v13, v10
	v_bfe_u32 v15, v14, 21, 1
	s_delay_alu instid0(VALU_DEP_2) | instskip(NEXT) | instid1(VALU_DEP_2)
	v_cmp_eq_u32_e64 s13, v10, v16
	v_add_nc_u32_e32 v13, -1, v15
	s_delay_alu instid0(VALU_DEP_1) | instskip(SKIP_2) | instid1(VALU_DEP_2)
	v_cndmask_b32_e64 v10, 0, v13, s13
	v_lshrrev_b32_e32 v13, 23, v14
	s_mov_b32 s13, exec_lo
	v_add_nc_u32_e32 v10, v10, v14
	s_delay_alu instid0(VALU_DEP_2) | instskip(NEXT) | instid1(VALU_DEP_2)
	v_xor_b32_e32 v13, 1, v13
	v_and_b32_e32 v9, 0x1fffff, v10
	s_delay_alu instid0(VALU_DEP_1) | instskip(NEXT) | instid1(VALU_DEP_3)
	v_add_nc_u32_e32 v10, v9, v14
                                        ; implicit-def: $vgpr9
	v_cmpx_ne_u32_e64 v12, v13
	s_xor_b32 s13, exec_lo, s13
; %bb.8250:                             ;   in Loop: Header=BB6_8078 Depth=3
	s_delay_alu instid0(VALU_DEP_2) | instskip(SKIP_2) | instid1(VALU_DEP_2)
	v_cmp_lt_u32_e32 vcc_lo, 0xffffff, v10
	v_sub_nc_u32_e32 v9, v12, v13
	v_cndmask_b32_e64 v12, 0, 1, vcc_lo
	v_add_co_ci_u32_e32 v9, vcc_lo, 0, v9, vcc_lo
	s_delay_alu instid0(VALU_DEP_2)
	v_lshrrev_b32_e32 v10, v12, v10
; %bb.8251:                             ;   in Loop: Header=BB6_8078 Depth=3
	s_and_not1_saveexec_b32 s13, s13
; %bb.8252:                             ;   in Loop: Header=BB6_8078 Depth=3
	s_delay_alu instid0(VALU_DEP_1)
	v_bfe_u32 v9, v10, 23, 1
; %bb.8253:                             ;   in Loop: Header=BB6_8078 Depth=3
	s_or_b32 exec_lo, exec_lo, s13
	v_lshrrev_b32_e32 v10, 21, v10
	s_delay_alu instid0(VALU_DEP_2) | instskip(SKIP_2) | instid1(VALU_DEP_4)
	v_cmp_gt_i32_e32 vcc_lo, 32, v9
	v_min_i32_e32 v12, 31, v9
	v_lshrrev_b32_e32 v8, 24, v8
	v_cndmask_b32_e32 v10, 3, v10, vcc_lo
	s_delay_alu instid0(VALU_DEP_3) | instskip(NEXT) | instid1(VALU_DEP_3)
	v_lshlrev_b32_e32 v12, 2, v12
	v_and_b32_e32 v8, 0x80, v8
	s_delay_alu instid0(VALU_DEP_3) | instskip(NEXT) | instid1(VALU_DEP_3)
	v_or_b32_e32 v9, v9, v10
	v_and_b32_e32 v12, 0xfc, v12
	s_delay_alu instid0(VALU_DEP_2) | instskip(SKIP_1) | instid1(VALU_DEP_1)
	v_cmp_ne_u32_e32 vcc_lo, 0, v9
	v_and_b32_e32 v13, 3, v10
	v_or3_b32 v8, v8, v12, v13
	s_delay_alu instid0(VALU_DEP_1) | instskip(NEXT) | instid1(VALU_DEP_1)
	v_lshlrev_b32_e32 v8, 8, v8
	v_cndmask_b32_e32 v126, 0, v8, vcc_lo
.LBB6_8254:                             ;   in Loop: Header=BB6_8078 Depth=3
	s_or_b32 exec_lo, exec_lo, s31
.LBB6_8255:                             ;   in Loop: Header=BB6_8078 Depth=3
	s_delay_alu instid0(SALU_CYCLE_1) | instskip(SKIP_3) | instid1(VALU_DEP_1)
	s_or_b32 exec_lo, exec_lo, s30
	v_lshrrev_b32_e32 v8, 16, v11
	s_mov_b32 s13, 0
	s_mov_b32 s31, exec_lo
                                        ; implicit-def: $sgpr30
	v_and_b32_e32 v10, 0xff, v8
	s_delay_alu instid0(VALU_DEP_1)
	v_cmpx_lt_i16_e32 0x7f, v10
	s_xor_b32 s31, exec_lo, s31
	s_cbranch_execnz .LBB6_9933
; %bb.8256:                             ;   in Loop: Header=BB6_8078 Depth=3
	s_or_saveexec_b32 s31, s31
	v_mov_b32_e32 v9, s30
	s_xor_b32 exec_lo, exec_lo, s31
	s_cbranch_execnz .LBB6_9936
.LBB6_8257:                             ;   in Loop: Header=BB6_8078 Depth=3
	s_or_b32 exec_lo, exec_lo, s31
	s_and_saveexec_b32 s30, s13
	s_cbranch_execz .LBB6_8259
.LBB6_8258:                             ;   in Loop: Header=BB6_8078 Depth=3
	v_bfe_u32 v9, v11, 16, 2
	s_delay_alu instid0(VALU_DEP_1) | instskip(NEXT) | instid1(VALU_DEP_1)
	v_clz_i32_u32_e32 v10, v9
	v_min_u32_e32 v10, 32, v10
	s_delay_alu instid0(VALU_DEP_1) | instskip(SKIP_1) | instid1(VALU_DEP_2)
	v_subrev_nc_u32_e32 v12, 29, v10
	v_sub_nc_u32_e32 v10, 30, v10
	v_lshlrev_b32_e32 v8, v12, v8
	v_bfe_u32 v12, v11, 18, 5
	s_delay_alu instid0(VALU_DEP_2) | instskip(NEXT) | instid1(VALU_DEP_2)
	v_and_b32_e32 v8, 3, v8
	v_cmp_eq_u32_e32 vcc_lo, 0, v12
	v_dual_cndmask_b32 v10, v12, v10 :: v_dual_lshlrev_b32 v13, 8, v11
	s_delay_alu instid0(VALU_DEP_1) | instskip(NEXT) | instid1(VALU_DEP_2)
	v_dual_cndmask_b32 v8, v9, v8 :: v_dual_and_b32 v9, 0x80000000, v13
	v_lshl_add_u32 v10, v10, 23, 0x37800000
	s_delay_alu instid0(VALU_DEP_2) | instskip(NEXT) | instid1(VALU_DEP_1)
	v_lshlrev_b32_e32 v8, 21, v8
	v_or3_b32 v9, v9, v10, v8
.LBB6_8259:                             ;   in Loop: Header=BB6_8078 Depth=3
	s_or_b32 exec_lo, exec_lo, s30
	s_delay_alu instid0(VALU_DEP_1) | instskip(SKIP_1) | instid1(VALU_DEP_1)
	v_dual_mul_f32 v8, s17, v9 :: v_dual_mov_b32 v123, 0x80
	s_mov_b32 s30, exec_lo
	v_and_b32_e32 v9, 0x7f800000, v8
	s_delay_alu instid0(VALU_DEP_1)
	v_cmpx_ne_u32_e32 0x7f800000, v9
	s_cbranch_execz .LBB6_8267
; %bb.8260:                             ;   in Loop: Header=BB6_8078 Depth=3
	v_mov_b32_e32 v123, 0
	s_mov_b32 s31, exec_lo
	v_cmpx_ne_u32_e32 0, v8
	s_cbranch_execz .LBB6_8266
; %bb.8261:                             ;   in Loop: Header=BB6_8078 Depth=3
	v_bfe_u32 v9, v8, 23, 8
	v_and_b32_e32 v10, 0x7fffff, v8
	s_delay_alu instid0(VALU_DEP_2) | instskip(SKIP_1) | instid1(VALU_DEP_3)
	v_sub_nc_u32_e32 v12, 0x70, v9
	v_cmp_gt_u32_e32 vcc_lo, 0x71, v9
	v_or_b32_e32 v13, 0x800000, v10
	s_delay_alu instid0(VALU_DEP_3) | instskip(SKIP_2) | instid1(VALU_DEP_3)
	v_cndmask_b32_e32 v12, 0, v12, vcc_lo
	v_cmp_eq_u32_e32 vcc_lo, 0, v9
	v_add_nc_u32_e32 v9, 0xffffff91, v9
	v_cndmask_b32_e64 v12, v12, 0x6f, vcc_lo
	v_cndmask_b32_e32 v10, v13, v10, vcc_lo
	s_delay_alu instid0(VALU_DEP_3) | instskip(NEXT) | instid1(VALU_DEP_3)
	v_cndmask_b32_e64 v9, v9, 0xffffff92, vcc_lo
	v_lshl_add_u32 v13, 0x200000, v12, -1
	s_delay_alu instid0(VALU_DEP_3) | instskip(SKIP_1) | instid1(VALU_DEP_4)
	v_lshrrev_b32_e32 v14, v12, v10
	v_lshlrev_b32_e64 v16, v12, 0x100000
	v_add_nc_u32_e32 v12, v12, v9
	s_delay_alu instid0(VALU_DEP_4) | instskip(NEXT) | instid1(VALU_DEP_4)
	v_and_b32_e32 v10, v13, v10
	v_bfe_u32 v15, v14, 21, 1
	s_delay_alu instid0(VALU_DEP_2) | instskip(NEXT) | instid1(VALU_DEP_2)
	v_cmp_eq_u32_e64 s13, v10, v16
	v_add_nc_u32_e32 v13, -1, v15
	s_delay_alu instid0(VALU_DEP_1) | instskip(SKIP_2) | instid1(VALU_DEP_2)
	v_cndmask_b32_e64 v10, 0, v13, s13
	v_lshrrev_b32_e32 v13, 23, v14
	s_mov_b32 s13, exec_lo
	v_add_nc_u32_e32 v10, v10, v14
	s_delay_alu instid0(VALU_DEP_2) | instskip(NEXT) | instid1(VALU_DEP_2)
	v_xor_b32_e32 v13, 1, v13
	v_and_b32_e32 v9, 0x1fffff, v10
	s_delay_alu instid0(VALU_DEP_1) | instskip(NEXT) | instid1(VALU_DEP_3)
	v_add_nc_u32_e32 v10, v9, v14
                                        ; implicit-def: $vgpr9
	v_cmpx_ne_u32_e64 v12, v13
	s_xor_b32 s13, exec_lo, s13
; %bb.8262:                             ;   in Loop: Header=BB6_8078 Depth=3
	s_delay_alu instid0(VALU_DEP_2) | instskip(SKIP_2) | instid1(VALU_DEP_2)
	v_cmp_lt_u32_e32 vcc_lo, 0xffffff, v10
	v_sub_nc_u32_e32 v9, v12, v13
	v_cndmask_b32_e64 v12, 0, 1, vcc_lo
	v_add_co_ci_u32_e32 v9, vcc_lo, 0, v9, vcc_lo
	s_delay_alu instid0(VALU_DEP_2)
	v_lshrrev_b32_e32 v10, v12, v10
; %bb.8263:                             ;   in Loop: Header=BB6_8078 Depth=3
	s_and_not1_saveexec_b32 s13, s13
; %bb.8264:                             ;   in Loop: Header=BB6_8078 Depth=3
	s_delay_alu instid0(VALU_DEP_1)
	v_bfe_u32 v9, v10, 23, 1
; %bb.8265:                             ;   in Loop: Header=BB6_8078 Depth=3
	s_or_b32 exec_lo, exec_lo, s13
	v_lshrrev_b32_e32 v10, 21, v10
	s_delay_alu instid0(VALU_DEP_2) | instskip(SKIP_2) | instid1(VALU_DEP_3)
	v_min_i32_e32 v12, 31, v9
	v_cmp_gt_i32_e32 vcc_lo, 32, v9
	v_lshrrev_b32_e32 v8, 24, v8
	v_lshlrev_b32_e32 v12, 2, v12
	v_cndmask_b32_e32 v10, 3, v10, vcc_lo
	s_delay_alu instid0(VALU_DEP_3) | instskip(NEXT) | instid1(VALU_DEP_3)
	v_and_b32_e32 v8, 0x80, v8
	v_and_b32_e32 v12, 0xfc, v12
	s_delay_alu instid0(VALU_DEP_3) | instskip(SKIP_1) | instid1(VALU_DEP_2)
	v_and_b32_e32 v13, 3, v10
	v_or_b32_e32 v9, v9, v10
	v_or3_b32 v8, v12, v8, v13
	s_delay_alu instid0(VALU_DEP_2) | instskip(NEXT) | instid1(VALU_DEP_2)
	v_cmp_ne_u32_e32 vcc_lo, 0, v9
	v_cndmask_b32_e32 v123, 0, v8, vcc_lo
.LBB6_8266:                             ;   in Loop: Header=BB6_8078 Depth=3
	s_or_b32 exec_lo, exec_lo, s31
.LBB6_8267:                             ;   in Loop: Header=BB6_8078 Depth=3
	s_delay_alu instid0(SALU_CYCLE_1) | instskip(SKIP_3) | instid1(VALU_DEP_1)
	s_or_b32 exec_lo, exec_lo, s30
	v_lshrrev_b32_e32 v8, 24, v11
	s_mov_b32 s13, 0
	s_mov_b32 s31, exec_lo
                                        ; implicit-def: $sgpr30
	v_cmpx_lt_i16_e32 0x7f, v8
	s_xor_b32 s31, exec_lo, s31
	s_cbranch_execnz .LBB6_9937
; %bb.8268:                             ;   in Loop: Header=BB6_8078 Depth=3
	s_or_saveexec_b32 s31, s31
	v_mov_b32_e32 v9, s30
	s_xor_b32 exec_lo, exec_lo, s31
	s_cbranch_execnz .LBB6_9940
.LBB6_8269:                             ;   in Loop: Header=BB6_8078 Depth=3
	s_or_b32 exec_lo, exec_lo, s31
	s_and_saveexec_b32 s30, s13
	s_cbranch_execz .LBB6_8271
.LBB6_8270:                             ;   in Loop: Header=BB6_8078 Depth=3
	v_bfe_u32 v9, v11, 24, 2
	s_delay_alu instid0(VALU_DEP_1) | instskip(NEXT) | instid1(VALU_DEP_1)
	v_clz_i32_u32_e32 v10, v9
	v_min_u32_e32 v10, 32, v10
	s_delay_alu instid0(VALU_DEP_1) | instskip(SKIP_1) | instid1(VALU_DEP_2)
	v_subrev_nc_u32_e32 v12, 29, v10
	v_sub_nc_u32_e32 v10, 30, v10
	v_lshlrev_b32_e32 v8, v12, v8
	v_bfe_u32 v12, v11, 26, 5
	s_delay_alu instid0(VALU_DEP_2) | instskip(NEXT) | instid1(VALU_DEP_2)
	v_and_b32_e32 v8, 3, v8
	v_cmp_eq_u32_e32 vcc_lo, 0, v12
	v_cndmask_b32_e32 v10, v12, v10, vcc_lo
	s_delay_alu instid0(VALU_DEP_3) | instskip(NEXT) | instid1(VALU_DEP_2)
	v_dual_cndmask_b32 v8, v9, v8 :: v_dual_and_b32 v9, 0x80000000, v11
	v_lshl_add_u32 v10, v10, 23, 0x37800000
	s_delay_alu instid0(VALU_DEP_2) | instskip(NEXT) | instid1(VALU_DEP_1)
	v_lshlrev_b32_e32 v8, 21, v8
	v_or3_b32 v9, v9, v10, v8
.LBB6_8271:                             ;   in Loop: Header=BB6_8078 Depth=3
	s_or_b32 exec_lo, exec_lo, s30
	s_delay_alu instid0(VALU_DEP_1) | instskip(SKIP_1) | instid1(VALU_DEP_1)
	v_dual_mul_f32 v8, s17, v9 :: v_dual_mov_b32 v125, 0x8000
	s_mov_b32 s30, exec_lo
	v_and_b32_e32 v9, 0x7f800000, v8
	s_delay_alu instid0(VALU_DEP_1)
	v_cmpx_ne_u32_e32 0x7f800000, v9
	s_cbranch_execz .LBB6_8279
; %bb.8272:                             ;   in Loop: Header=BB6_8078 Depth=3
	v_mov_b32_e32 v125, 0
	s_mov_b32 s31, exec_lo
	v_cmpx_ne_u32_e32 0, v8
	s_cbranch_execz .LBB6_8278
; %bb.8273:                             ;   in Loop: Header=BB6_8078 Depth=3
	v_bfe_u32 v9, v8, 23, 8
	s_delay_alu instid0(VALU_DEP_1) | instskip(SKIP_1) | instid1(VALU_DEP_2)
	v_sub_nc_u32_e32 v11, 0x70, v9
	v_cmp_gt_u32_e32 vcc_lo, 0x71, v9
	v_dual_cndmask_b32 v11, 0, v11 :: v_dual_and_b32 v10, 0x7fffff, v8
	s_delay_alu instid0(VALU_DEP_1) | instskip(SKIP_2) | instid1(VALU_DEP_4)
	v_or_b32_e32 v12, 0x800000, v10
	v_cmp_eq_u32_e32 vcc_lo, 0, v9
	v_add_nc_u32_e32 v9, 0xffffff91, v9
	v_cndmask_b32_e64 v11, v11, 0x6f, vcc_lo
	s_delay_alu instid0(VALU_DEP_4) | instskip(NEXT) | instid1(VALU_DEP_3)
	v_cndmask_b32_e32 v10, v12, v10, vcc_lo
	v_cndmask_b32_e64 v9, v9, 0xffffff92, vcc_lo
	s_delay_alu instid0(VALU_DEP_3) | instskip(NEXT) | instid1(VALU_DEP_3)
	v_lshl_add_u32 v12, 0x200000, v11, -1
	v_lshrrev_b32_e32 v13, v11, v10
	v_lshlrev_b32_e64 v15, v11, 0x100000
	s_delay_alu instid0(VALU_DEP_4) | instskip(NEXT) | instid1(VALU_DEP_4)
	v_add_nc_u32_e32 v11, v11, v9
	v_and_b32_e32 v10, v12, v10
	s_delay_alu instid0(VALU_DEP_4) | instskip(NEXT) | instid1(VALU_DEP_2)
	v_bfe_u32 v14, v13, 21, 1
	v_cmp_eq_u32_e64 s13, v10, v15
	s_delay_alu instid0(VALU_DEP_2) | instskip(NEXT) | instid1(VALU_DEP_1)
	v_add_nc_u32_e32 v12, -1, v14
	v_cndmask_b32_e64 v10, 0, v12, s13
	v_lshrrev_b32_e32 v12, 23, v13
	s_mov_b32 s13, exec_lo
	s_delay_alu instid0(VALU_DEP_2) | instskip(NEXT) | instid1(VALU_DEP_2)
	v_add_nc_u32_e32 v10, v10, v13
	v_xor_b32_e32 v12, 1, v12
	s_delay_alu instid0(VALU_DEP_2) | instskip(NEXT) | instid1(VALU_DEP_1)
	v_and_b32_e32 v9, 0x1fffff, v10
	v_add_nc_u32_e32 v10, v9, v13
                                        ; implicit-def: $vgpr9
	s_delay_alu instid0(VALU_DEP_3)
	v_cmpx_ne_u32_e64 v11, v12
	s_xor_b32 s13, exec_lo, s13
; %bb.8274:                             ;   in Loop: Header=BB6_8078 Depth=3
	s_delay_alu instid0(VALU_DEP_2) | instskip(SKIP_2) | instid1(VALU_DEP_2)
	v_cmp_lt_u32_e32 vcc_lo, 0xffffff, v10
	v_sub_nc_u32_e32 v9, v11, v12
	v_cndmask_b32_e64 v11, 0, 1, vcc_lo
	v_add_co_ci_u32_e32 v9, vcc_lo, 0, v9, vcc_lo
	s_delay_alu instid0(VALU_DEP_2)
	v_lshrrev_b32_e32 v10, v11, v10
; %bb.8275:                             ;   in Loop: Header=BB6_8078 Depth=3
	s_and_not1_saveexec_b32 s13, s13
; %bb.8276:                             ;   in Loop: Header=BB6_8078 Depth=3
	s_delay_alu instid0(VALU_DEP_1)
	v_bfe_u32 v9, v10, 23, 1
; %bb.8277:                             ;   in Loop: Header=BB6_8078 Depth=3
	s_or_b32 exec_lo, exec_lo, s13
	v_lshrrev_b32_e32 v10, 21, v10
	s_delay_alu instid0(VALU_DEP_2) | instskip(SKIP_2) | instid1(VALU_DEP_2)
	v_cmp_gt_i32_e32 vcc_lo, 32, v9
	v_min_i32_e32 v11, 31, v9
	v_lshrrev_b32_e32 v8, 24, v8
	v_dual_cndmask_b32 v10, 3, v10 :: v_dual_lshlrev_b32 v11, 2, v11
	s_delay_alu instid0(VALU_DEP_2) | instskip(NEXT) | instid1(VALU_DEP_2)
	v_and_b32_e32 v8, 0x80, v8
	v_or_b32_e32 v9, v9, v10
	s_delay_alu instid0(VALU_DEP_3) | instskip(NEXT) | instid1(VALU_DEP_2)
	v_and_b32_e32 v11, 0xfc, v11
	v_cmp_ne_u32_e32 vcc_lo, 0, v9
	v_and_b32_e32 v12, 3, v10
	s_delay_alu instid0(VALU_DEP_1) | instskip(NEXT) | instid1(VALU_DEP_1)
	v_or3_b32 v8, v8, v11, v12
	v_lshlrev_b32_e32 v8, 8, v8
	s_delay_alu instid0(VALU_DEP_1)
	v_cndmask_b32_e32 v125, 0, v8, vcc_lo
.LBB6_8278:                             ;   in Loop: Header=BB6_8078 Depth=3
	s_or_b32 exec_lo, exec_lo, s31
.LBB6_8279:                             ;   in Loop: Header=BB6_8078 Depth=3
	s_delay_alu instid0(SALU_CYCLE_1)
	s_or_b32 exec_lo, exec_lo, s30
	global_load_b128 v[8:11], v[69:70], off offset:512 slc dlc
	s_mov_b32 s13, 0
	s_mov_b32 s31, exec_lo
                                        ; implicit-def: $sgpr30
	s_waitcnt vmcnt(0)
	v_and_b32_e32 v13, 0xff, v8
	s_delay_alu instid0(VALU_DEP_1)
	v_cmpx_lt_i16_e32 0x7f, v13
	s_xor_b32 s31, exec_lo, s31
	s_cbranch_execnz .LBB6_9941
; %bb.8280:                             ;   in Loop: Header=BB6_8078 Depth=3
	s_or_saveexec_b32 s31, s31
	v_mov_b32_e32 v12, s30
	s_xor_b32 exec_lo, exec_lo, s31
	s_cbranch_execnz .LBB6_9944
.LBB6_8281:                             ;   in Loop: Header=BB6_8078 Depth=3
	s_or_b32 exec_lo, exec_lo, s31
	s_and_saveexec_b32 s30, s13
	s_cbranch_execz .LBB6_8283
.LBB6_8282:                             ;   in Loop: Header=BB6_8078 Depth=3
	v_bfe_u32 v15, v8, 2, 5
	v_lshlrev_b32_e32 v16, 24, v8
	s_delay_alu instid0(VALU_DEP_2) | instskip(SKIP_1) | instid1(VALU_DEP_1)
	v_cmp_eq_u32_e32 vcc_lo, 0, v15
	v_and_b32_e32 v12, 3, v8
	v_clz_i32_u32_e32 v13, v12
	s_delay_alu instid0(VALU_DEP_1) | instskip(NEXT) | instid1(VALU_DEP_1)
	v_min_u32_e32 v13, 32, v13
	v_subrev_nc_u32_e32 v14, 29, v13
	v_sub_nc_u32_e32 v13, 30, v13
	s_delay_alu instid0(VALU_DEP_1) | instskip(NEXT) | instid1(VALU_DEP_1)
	v_dual_cndmask_b32 v13, v15, v13 :: v_dual_lshlrev_b32 v14, v14, v8
	v_and_b32_e32 v14, 3, v14
	s_delay_alu instid0(VALU_DEP_2) | instskip(NEXT) | instid1(VALU_DEP_2)
	v_lshl_add_u32 v13, v13, 23, 0x37800000
	v_cndmask_b32_e32 v12, v12, v14, vcc_lo
	v_and_b32_e32 v14, 0x80000000, v16
	s_delay_alu instid0(VALU_DEP_2) | instskip(NEXT) | instid1(VALU_DEP_1)
	v_lshlrev_b32_e32 v12, 21, v12
	v_or3_b32 v12, v14, v13, v12
.LBB6_8283:                             ;   in Loop: Header=BB6_8078 Depth=3
	s_or_b32 exec_lo, exec_lo, s30
	s_delay_alu instid0(VALU_DEP_1) | instskip(SKIP_2) | instid1(VALU_DEP_2)
	v_mul_f32_e32 v12, s17, v12
	v_mov_b32_e32 v124, 0x80
	s_mov_b32 s30, exec_lo
	v_and_b32_e32 v13, 0x7f800000, v12
	s_delay_alu instid0(VALU_DEP_1)
	v_cmpx_ne_u32_e32 0x7f800000, v13
	s_cbranch_execz .LBB6_8291
; %bb.8284:                             ;   in Loop: Header=BB6_8078 Depth=3
	v_mov_b32_e32 v124, 0
	s_mov_b32 s31, exec_lo
	v_cmpx_ne_u32_e32 0, v12
	s_cbranch_execz .LBB6_8290
; %bb.8285:                             ;   in Loop: Header=BB6_8078 Depth=3
	v_bfe_u32 v13, v12, 23, 8
	s_delay_alu instid0(VALU_DEP_1) | instskip(SKIP_1) | instid1(VALU_DEP_2)
	v_sub_nc_u32_e32 v15, 0x70, v13
	v_cmp_gt_u32_e32 vcc_lo, 0x71, v13
	v_dual_cndmask_b32 v15, 0, v15 :: v_dual_and_b32 v14, 0x7fffff, v12
	s_delay_alu instid0(VALU_DEP_1) | instskip(SKIP_2) | instid1(VALU_DEP_4)
	v_or_b32_e32 v16, 0x800000, v14
	v_cmp_eq_u32_e32 vcc_lo, 0, v13
	v_add_nc_u32_e32 v13, 0xffffff91, v13
	v_cndmask_b32_e64 v15, v15, 0x6f, vcc_lo
	s_delay_alu instid0(VALU_DEP_4) | instskip(NEXT) | instid1(VALU_DEP_3)
	v_cndmask_b32_e32 v14, v16, v14, vcc_lo
	v_cndmask_b32_e64 v13, v13, 0xffffff92, vcc_lo
	s_delay_alu instid0(VALU_DEP_3) | instskip(NEXT) | instid1(VALU_DEP_3)
	v_lshl_add_u32 v16, 0x200000, v15, -1
	v_lshrrev_b32_e32 v17, v15, v14
	v_lshlrev_b32_e64 v19, v15, 0x100000
	s_delay_alu instid0(VALU_DEP_4) | instskip(NEXT) | instid1(VALU_DEP_4)
	v_add_nc_u32_e32 v15, v15, v13
	v_and_b32_e32 v14, v16, v14
	s_delay_alu instid0(VALU_DEP_4) | instskip(NEXT) | instid1(VALU_DEP_2)
	v_bfe_u32 v18, v17, 21, 1
	v_cmp_eq_u32_e64 s13, v14, v19
	s_delay_alu instid0(VALU_DEP_2) | instskip(NEXT) | instid1(VALU_DEP_1)
	v_add_nc_u32_e32 v16, -1, v18
	v_cndmask_b32_e64 v14, 0, v16, s13
	v_lshrrev_b32_e32 v16, 23, v17
	s_mov_b32 s13, exec_lo
	s_delay_alu instid0(VALU_DEP_2) | instskip(NEXT) | instid1(VALU_DEP_2)
	v_add_nc_u32_e32 v14, v14, v17
	v_xor_b32_e32 v16, 1, v16
	s_delay_alu instid0(VALU_DEP_2) | instskip(NEXT) | instid1(VALU_DEP_1)
	v_and_b32_e32 v13, 0x1fffff, v14
	v_add_nc_u32_e32 v14, v13, v17
                                        ; implicit-def: $vgpr13
	s_delay_alu instid0(VALU_DEP_3)
	v_cmpx_ne_u32_e64 v15, v16
	s_xor_b32 s13, exec_lo, s13
; %bb.8286:                             ;   in Loop: Header=BB6_8078 Depth=3
	s_delay_alu instid0(VALU_DEP_2) | instskip(SKIP_2) | instid1(VALU_DEP_2)
	v_cmp_lt_u32_e32 vcc_lo, 0xffffff, v14
	v_sub_nc_u32_e32 v13, v15, v16
	v_cndmask_b32_e64 v15, 0, 1, vcc_lo
	v_add_co_ci_u32_e32 v13, vcc_lo, 0, v13, vcc_lo
	s_delay_alu instid0(VALU_DEP_2)
	v_lshrrev_b32_e32 v14, v15, v14
; %bb.8287:                             ;   in Loop: Header=BB6_8078 Depth=3
	s_and_not1_saveexec_b32 s13, s13
; %bb.8288:                             ;   in Loop: Header=BB6_8078 Depth=3
	s_delay_alu instid0(VALU_DEP_1)
	v_bfe_u32 v13, v14, 23, 1
; %bb.8289:                             ;   in Loop: Header=BB6_8078 Depth=3
	s_or_b32 exec_lo, exec_lo, s13
	v_lshrrev_b32_e32 v14, 21, v14
	s_delay_alu instid0(VALU_DEP_2) | instskip(SKIP_2) | instid1(VALU_DEP_4)
	v_cmp_gt_i32_e32 vcc_lo, 32, v13
	v_lshrrev_b32_e32 v12, 24, v12
	v_min_i32_e32 v15, 31, v13
	v_cndmask_b32_e32 v14, 3, v14, vcc_lo
	s_delay_alu instid0(VALU_DEP_3) | instskip(NEXT) | instid1(VALU_DEP_3)
	v_and_b32_e32 v12, 0x80, v12
	v_lshlrev_b32_e32 v15, 2, v15
	s_delay_alu instid0(VALU_DEP_3) | instskip(SKIP_1) | instid1(VALU_DEP_2)
	v_and_b32_e32 v16, 3, v14
	v_or_b32_e32 v13, v13, v14
	v_or3_b32 v12, v15, v12, v16
	s_delay_alu instid0(VALU_DEP_2) | instskip(NEXT) | instid1(VALU_DEP_2)
	v_cmp_ne_u32_e32 vcc_lo, 0, v13
	v_cndmask_b32_e32 v124, 0, v12, vcc_lo
.LBB6_8290:                             ;   in Loop: Header=BB6_8078 Depth=3
	s_or_b32 exec_lo, exec_lo, s31
.LBB6_8291:                             ;   in Loop: Header=BB6_8078 Depth=3
	s_delay_alu instid0(SALU_CYCLE_1) | instskip(SKIP_3) | instid1(VALU_DEP_1)
	s_or_b32 exec_lo, exec_lo, s30
	v_lshrrev_b16 v12, 8, v8
	s_mov_b32 s13, 0
	s_mov_b32 s31, exec_lo
                                        ; implicit-def: $sgpr30
	v_cmpx_lt_i16_e32 0x7f, v12
	s_xor_b32 s31, exec_lo, s31
	s_cbranch_execnz .LBB6_9945
; %bb.8292:                             ;   in Loop: Header=BB6_8078 Depth=3
	s_or_saveexec_b32 s31, s31
	v_mov_b32_e32 v13, s30
	s_xor_b32 exec_lo, exec_lo, s31
	s_cbranch_execnz .LBB6_9948
.LBB6_8293:                             ;   in Loop: Header=BB6_8078 Depth=3
	s_or_b32 exec_lo, exec_lo, s31
	s_and_saveexec_b32 s30, s13
	s_cbranch_execz .LBB6_8295
.LBB6_8294:                             ;   in Loop: Header=BB6_8078 Depth=3
	v_and_b32_e32 v13, 0xffff, v12
	v_lshlrev_b32_e32 v12, 24, v12
	s_delay_alu instid0(VALU_DEP_2) | instskip(NEXT) | instid1(VALU_DEP_2)
	v_and_b32_e32 v14, 3, v13
	v_and_b32_e32 v12, 0x80000000, v12
	s_delay_alu instid0(VALU_DEP_2) | instskip(NEXT) | instid1(VALU_DEP_1)
	v_clz_i32_u32_e32 v15, v14
	v_min_u32_e32 v15, 32, v15
	s_delay_alu instid0(VALU_DEP_1) | instskip(SKIP_1) | instid1(VALU_DEP_2)
	v_subrev_nc_u32_e32 v16, 29, v15
	v_sub_nc_u32_e32 v15, 30, v15
	v_lshlrev_b32_e32 v16, v16, v13
	v_bfe_u32 v13, v13, 2, 5
	s_delay_alu instid0(VALU_DEP_2) | instskip(NEXT) | instid1(VALU_DEP_2)
	v_and_b32_e32 v16, 3, v16
	v_cmp_eq_u32_e32 vcc_lo, 0, v13
	s_delay_alu instid0(VALU_DEP_2) | instskip(NEXT) | instid1(VALU_DEP_1)
	v_dual_cndmask_b32 v13, v13, v15 :: v_dual_cndmask_b32 v14, v14, v16
	v_lshl_add_u32 v13, v13, 23, 0x37800000
	s_delay_alu instid0(VALU_DEP_2) | instskip(NEXT) | instid1(VALU_DEP_1)
	v_lshlrev_b32_e32 v14, 21, v14
	v_or3_b32 v13, v12, v13, v14
.LBB6_8295:                             ;   in Loop: Header=BB6_8078 Depth=3
	s_or_b32 exec_lo, exec_lo, s30
	s_delay_alu instid0(VALU_DEP_1) | instskip(SKIP_1) | instid1(VALU_DEP_1)
	v_dual_mul_f32 v12, s17, v13 :: v_dual_mov_b32 v121, 0x80
	s_mov_b32 s30, exec_lo
	v_and_b32_e32 v13, 0x7f800000, v12
	s_delay_alu instid0(VALU_DEP_1)
	v_cmpx_ne_u32_e32 0x7f800000, v13
	s_cbranch_execz .LBB6_8303
; %bb.8296:                             ;   in Loop: Header=BB6_8078 Depth=3
	v_mov_b32_e32 v121, 0
	s_mov_b32 s31, exec_lo
	v_cmpx_ne_u32_e32 0, v12
	s_cbranch_execz .LBB6_8302
; %bb.8297:                             ;   in Loop: Header=BB6_8078 Depth=3
	v_bfe_u32 v13, v12, 23, 8
	s_delay_alu instid0(VALU_DEP_1) | instskip(SKIP_1) | instid1(VALU_DEP_2)
	v_sub_nc_u32_e32 v15, 0x70, v13
	v_cmp_gt_u32_e32 vcc_lo, 0x71, v13
	v_dual_cndmask_b32 v15, 0, v15 :: v_dual_and_b32 v14, 0x7fffff, v12
	s_delay_alu instid0(VALU_DEP_1) | instskip(SKIP_2) | instid1(VALU_DEP_4)
	v_or_b32_e32 v16, 0x800000, v14
	v_cmp_eq_u32_e32 vcc_lo, 0, v13
	v_add_nc_u32_e32 v13, 0xffffff91, v13
	v_cndmask_b32_e64 v15, v15, 0x6f, vcc_lo
	s_delay_alu instid0(VALU_DEP_4) | instskip(NEXT) | instid1(VALU_DEP_3)
	v_cndmask_b32_e32 v14, v16, v14, vcc_lo
	v_cndmask_b32_e64 v13, v13, 0xffffff92, vcc_lo
	s_delay_alu instid0(VALU_DEP_3) | instskip(NEXT) | instid1(VALU_DEP_3)
	v_lshl_add_u32 v16, 0x200000, v15, -1
	v_lshrrev_b32_e32 v17, v15, v14
	v_lshlrev_b32_e64 v19, v15, 0x100000
	s_delay_alu instid0(VALU_DEP_4) | instskip(NEXT) | instid1(VALU_DEP_4)
	v_add_nc_u32_e32 v15, v15, v13
	v_and_b32_e32 v14, v16, v14
	s_delay_alu instid0(VALU_DEP_4) | instskip(NEXT) | instid1(VALU_DEP_2)
	v_bfe_u32 v18, v17, 21, 1
	v_cmp_eq_u32_e64 s13, v14, v19
	s_delay_alu instid0(VALU_DEP_2) | instskip(NEXT) | instid1(VALU_DEP_1)
	v_add_nc_u32_e32 v16, -1, v18
	v_cndmask_b32_e64 v14, 0, v16, s13
	v_lshrrev_b32_e32 v16, 23, v17
	s_mov_b32 s13, exec_lo
	s_delay_alu instid0(VALU_DEP_2) | instskip(NEXT) | instid1(VALU_DEP_2)
	v_add_nc_u32_e32 v14, v14, v17
	v_xor_b32_e32 v16, 1, v16
	s_delay_alu instid0(VALU_DEP_2) | instskip(NEXT) | instid1(VALU_DEP_1)
	v_and_b32_e32 v13, 0x1fffff, v14
	v_add_nc_u32_e32 v14, v13, v17
                                        ; implicit-def: $vgpr13
	s_delay_alu instid0(VALU_DEP_3)
	v_cmpx_ne_u32_e64 v15, v16
	s_xor_b32 s13, exec_lo, s13
; %bb.8298:                             ;   in Loop: Header=BB6_8078 Depth=3
	s_delay_alu instid0(VALU_DEP_2) | instskip(SKIP_2) | instid1(VALU_DEP_2)
	v_cmp_lt_u32_e32 vcc_lo, 0xffffff, v14
	v_sub_nc_u32_e32 v13, v15, v16
	v_cndmask_b32_e64 v15, 0, 1, vcc_lo
	v_add_co_ci_u32_e32 v13, vcc_lo, 0, v13, vcc_lo
	s_delay_alu instid0(VALU_DEP_2)
	v_lshrrev_b32_e32 v14, v15, v14
; %bb.8299:                             ;   in Loop: Header=BB6_8078 Depth=3
	s_and_not1_saveexec_b32 s13, s13
; %bb.8300:                             ;   in Loop: Header=BB6_8078 Depth=3
	s_delay_alu instid0(VALU_DEP_1)
	v_bfe_u32 v13, v14, 23, 1
; %bb.8301:                             ;   in Loop: Header=BB6_8078 Depth=3
	s_or_b32 exec_lo, exec_lo, s13
	v_lshrrev_b32_e32 v14, 21, v14
	s_delay_alu instid0(VALU_DEP_2) | instskip(SKIP_2) | instid1(VALU_DEP_2)
	v_cmp_gt_i32_e32 vcc_lo, 32, v13
	v_min_i32_e32 v15, 31, v13
	v_lshrrev_b32_e32 v12, 24, v12
	v_dual_cndmask_b32 v14, 3, v14 :: v_dual_lshlrev_b32 v15, 2, v15
	s_delay_alu instid0(VALU_DEP_2) | instskip(NEXT) | instid1(VALU_DEP_2)
	v_and_b32_e32 v12, 0x80, v12
	v_or_b32_e32 v13, v13, v14
	s_delay_alu instid0(VALU_DEP_1) | instskip(SKIP_1) | instid1(VALU_DEP_1)
	v_cmp_ne_u32_e32 vcc_lo, 0, v13
	v_and_b32_e32 v16, 3, v14
	v_or3_b32 v12, v15, v12, v16
	s_delay_alu instid0(VALU_DEP_1)
	v_cndmask_b32_e32 v121, 0, v12, vcc_lo
.LBB6_8302:                             ;   in Loop: Header=BB6_8078 Depth=3
	s_or_b32 exec_lo, exec_lo, s31
.LBB6_8303:                             ;   in Loop: Header=BB6_8078 Depth=3
	s_delay_alu instid0(SALU_CYCLE_1) | instskip(SKIP_3) | instid1(VALU_DEP_1)
	s_or_b32 exec_lo, exec_lo, s30
	v_lshrrev_b32_e32 v12, 16, v8
	s_mov_b32 s13, 0
	s_mov_b32 s31, exec_lo
                                        ; implicit-def: $sgpr30
	v_and_b32_e32 v14, 0xff, v12
	s_delay_alu instid0(VALU_DEP_1)
	v_cmpx_lt_i16_e32 0x7f, v14
	s_xor_b32 s31, exec_lo, s31
	s_cbranch_execnz .LBB6_9949
; %bb.8304:                             ;   in Loop: Header=BB6_8078 Depth=3
	s_or_saveexec_b32 s31, s31
	v_mov_b32_e32 v13, s30
	s_xor_b32 exec_lo, exec_lo, s31
	s_cbranch_execnz .LBB6_9952
.LBB6_8305:                             ;   in Loop: Header=BB6_8078 Depth=3
	s_or_b32 exec_lo, exec_lo, s31
	s_and_saveexec_b32 s30, s13
	s_cbranch_execz .LBB6_8307
.LBB6_8306:                             ;   in Loop: Header=BB6_8078 Depth=3
	v_bfe_u32 v13, v8, 16, 2
	v_lshlrev_b32_e32 v16, 8, v8
	s_delay_alu instid0(VALU_DEP_2) | instskip(NEXT) | instid1(VALU_DEP_1)
	v_clz_i32_u32_e32 v14, v13
	v_min_u32_e32 v14, 32, v14
	s_delay_alu instid0(VALU_DEP_1) | instskip(SKIP_1) | instid1(VALU_DEP_2)
	v_subrev_nc_u32_e32 v15, 29, v14
	v_sub_nc_u32_e32 v14, 30, v14
	v_lshlrev_b32_e32 v12, v15, v12
	v_bfe_u32 v15, v8, 18, 5
	s_delay_alu instid0(VALU_DEP_2) | instskip(NEXT) | instid1(VALU_DEP_2)
	v_and_b32_e32 v12, 3, v12
	v_cmp_eq_u32_e32 vcc_lo, 0, v15
	v_cndmask_b32_e32 v14, v15, v14, vcc_lo
	s_delay_alu instid0(VALU_DEP_3) | instskip(SKIP_1) | instid1(VALU_DEP_3)
	v_cndmask_b32_e32 v12, v13, v12, vcc_lo
	v_and_b32_e32 v13, 0x80000000, v16
	v_lshl_add_u32 v14, v14, 23, 0x37800000
	s_delay_alu instid0(VALU_DEP_3) | instskip(NEXT) | instid1(VALU_DEP_1)
	v_lshlrev_b32_e32 v12, 21, v12
	v_or3_b32 v13, v13, v14, v12
.LBB6_8307:                             ;   in Loop: Header=BB6_8078 Depth=3
	s_or_b32 exec_lo, exec_lo, s30
	s_delay_alu instid0(VALU_DEP_1) | instskip(SKIP_2) | instid1(VALU_DEP_2)
	v_mul_f32_e32 v12, s17, v13
	v_mov_b32_e32 v120, 0x80
	s_mov_b32 s30, exec_lo
	v_and_b32_e32 v13, 0x7f800000, v12
	s_delay_alu instid0(VALU_DEP_1)
	v_cmpx_ne_u32_e32 0x7f800000, v13
	s_cbranch_execz .LBB6_8315
; %bb.8308:                             ;   in Loop: Header=BB6_8078 Depth=3
	v_mov_b32_e32 v120, 0
	s_mov_b32 s31, exec_lo
	v_cmpx_ne_u32_e32 0, v12
	s_cbranch_execz .LBB6_8314
; %bb.8309:                             ;   in Loop: Header=BB6_8078 Depth=3
	v_bfe_u32 v13, v12, 23, 8
	s_delay_alu instid0(VALU_DEP_1) | instskip(SKIP_1) | instid1(VALU_DEP_2)
	v_sub_nc_u32_e32 v15, 0x70, v13
	v_cmp_gt_u32_e32 vcc_lo, 0x71, v13
	v_dual_cndmask_b32 v15, 0, v15 :: v_dual_and_b32 v14, 0x7fffff, v12
	s_delay_alu instid0(VALU_DEP_1) | instskip(SKIP_2) | instid1(VALU_DEP_4)
	v_or_b32_e32 v16, 0x800000, v14
	v_cmp_eq_u32_e32 vcc_lo, 0, v13
	v_add_nc_u32_e32 v13, 0xffffff91, v13
	v_cndmask_b32_e64 v15, v15, 0x6f, vcc_lo
	s_delay_alu instid0(VALU_DEP_4) | instskip(NEXT) | instid1(VALU_DEP_3)
	v_cndmask_b32_e32 v14, v16, v14, vcc_lo
	v_cndmask_b32_e64 v13, v13, 0xffffff92, vcc_lo
	s_delay_alu instid0(VALU_DEP_3) | instskip(NEXT) | instid1(VALU_DEP_3)
	v_lshl_add_u32 v16, 0x200000, v15, -1
	v_lshrrev_b32_e32 v17, v15, v14
	v_lshlrev_b32_e64 v19, v15, 0x100000
	s_delay_alu instid0(VALU_DEP_4) | instskip(NEXT) | instid1(VALU_DEP_4)
	v_add_nc_u32_e32 v15, v15, v13
	v_and_b32_e32 v14, v16, v14
	s_delay_alu instid0(VALU_DEP_4) | instskip(NEXT) | instid1(VALU_DEP_2)
	v_bfe_u32 v18, v17, 21, 1
	v_cmp_eq_u32_e64 s13, v14, v19
	s_delay_alu instid0(VALU_DEP_2) | instskip(NEXT) | instid1(VALU_DEP_1)
	v_add_nc_u32_e32 v16, -1, v18
	v_cndmask_b32_e64 v14, 0, v16, s13
	v_lshrrev_b32_e32 v16, 23, v17
	s_mov_b32 s13, exec_lo
	s_delay_alu instid0(VALU_DEP_2) | instskip(NEXT) | instid1(VALU_DEP_2)
	v_add_nc_u32_e32 v14, v14, v17
	v_xor_b32_e32 v16, 1, v16
	s_delay_alu instid0(VALU_DEP_2) | instskip(NEXT) | instid1(VALU_DEP_1)
	v_and_b32_e32 v13, 0x1fffff, v14
	v_add_nc_u32_e32 v14, v13, v17
                                        ; implicit-def: $vgpr13
	s_delay_alu instid0(VALU_DEP_3)
	v_cmpx_ne_u32_e64 v15, v16
	s_xor_b32 s13, exec_lo, s13
; %bb.8310:                             ;   in Loop: Header=BB6_8078 Depth=3
	s_delay_alu instid0(VALU_DEP_2) | instskip(SKIP_2) | instid1(VALU_DEP_2)
	v_cmp_lt_u32_e32 vcc_lo, 0xffffff, v14
	v_sub_nc_u32_e32 v13, v15, v16
	v_cndmask_b32_e64 v15, 0, 1, vcc_lo
	v_add_co_ci_u32_e32 v13, vcc_lo, 0, v13, vcc_lo
	s_delay_alu instid0(VALU_DEP_2)
	v_lshrrev_b32_e32 v14, v15, v14
; %bb.8311:                             ;   in Loop: Header=BB6_8078 Depth=3
	s_and_not1_saveexec_b32 s13, s13
; %bb.8312:                             ;   in Loop: Header=BB6_8078 Depth=3
	s_delay_alu instid0(VALU_DEP_1)
	v_bfe_u32 v13, v14, 23, 1
; %bb.8313:                             ;   in Loop: Header=BB6_8078 Depth=3
	s_or_b32 exec_lo, exec_lo, s13
	v_lshrrev_b32_e32 v14, 21, v14
	s_delay_alu instid0(VALU_DEP_2) | instskip(SKIP_2) | instid1(VALU_DEP_4)
	v_cmp_gt_i32_e32 vcc_lo, 32, v13
	v_lshrrev_b32_e32 v12, 24, v12
	v_min_i32_e32 v15, 31, v13
	v_cndmask_b32_e32 v14, 3, v14, vcc_lo
	s_delay_alu instid0(VALU_DEP_3) | instskip(NEXT) | instid1(VALU_DEP_3)
	v_and_b32_e32 v12, 0x80, v12
	v_lshlrev_b32_e32 v15, 2, v15
	s_delay_alu instid0(VALU_DEP_3) | instskip(SKIP_1) | instid1(VALU_DEP_2)
	v_and_b32_e32 v16, 3, v14
	v_or_b32_e32 v13, v13, v14
	v_or3_b32 v12, v15, v12, v16
	s_delay_alu instid0(VALU_DEP_2) | instskip(NEXT) | instid1(VALU_DEP_2)
	v_cmp_ne_u32_e32 vcc_lo, 0, v13
	v_cndmask_b32_e32 v120, 0, v12, vcc_lo
.LBB6_8314:                             ;   in Loop: Header=BB6_8078 Depth=3
	s_or_b32 exec_lo, exec_lo, s31
.LBB6_8315:                             ;   in Loop: Header=BB6_8078 Depth=3
	s_delay_alu instid0(SALU_CYCLE_1) | instskip(SKIP_3) | instid1(VALU_DEP_1)
	s_or_b32 exec_lo, exec_lo, s30
	v_lshrrev_b32_e32 v12, 24, v8
	s_mov_b32 s13, 0
	s_mov_b32 s31, exec_lo
                                        ; implicit-def: $sgpr30
	v_cmpx_lt_i16_e32 0x7f, v12
	s_xor_b32 s31, exec_lo, s31
	s_cbranch_execnz .LBB6_9953
; %bb.8316:                             ;   in Loop: Header=BB6_8078 Depth=3
	s_or_saveexec_b32 s31, s31
	v_mov_b32_e32 v13, s30
	s_xor_b32 exec_lo, exec_lo, s31
	s_cbranch_execnz .LBB6_9956
.LBB6_8317:                             ;   in Loop: Header=BB6_8078 Depth=3
	s_or_b32 exec_lo, exec_lo, s31
	s_and_saveexec_b32 s30, s13
	s_cbranch_execz .LBB6_8319
.LBB6_8318:                             ;   in Loop: Header=BB6_8078 Depth=3
	v_bfe_u32 v13, v8, 24, 2
	s_delay_alu instid0(VALU_DEP_1) | instskip(NEXT) | instid1(VALU_DEP_1)
	v_clz_i32_u32_e32 v14, v13
	v_min_u32_e32 v14, 32, v14
	s_delay_alu instid0(VALU_DEP_1) | instskip(SKIP_1) | instid1(VALU_DEP_2)
	v_subrev_nc_u32_e32 v15, 29, v14
	v_sub_nc_u32_e32 v14, 30, v14
	v_lshlrev_b32_e32 v12, v15, v12
	v_bfe_u32 v15, v8, 26, 5
	v_and_b32_e32 v8, 0x80000000, v8
	s_delay_alu instid0(VALU_DEP_3) | instskip(NEXT) | instid1(VALU_DEP_3)
	v_and_b32_e32 v12, 3, v12
	v_cmp_eq_u32_e32 vcc_lo, 0, v15
	v_cndmask_b32_e32 v14, v15, v14, vcc_lo
	s_delay_alu instid0(VALU_DEP_3) | instskip(NEXT) | instid1(VALU_DEP_2)
	v_cndmask_b32_e32 v12, v13, v12, vcc_lo
	v_lshl_add_u32 v13, v14, 23, 0x37800000
	s_delay_alu instid0(VALU_DEP_2) | instskip(NEXT) | instid1(VALU_DEP_1)
	v_lshlrev_b32_e32 v12, 21, v12
	v_or3_b32 v13, v8, v13, v12
.LBB6_8319:                             ;   in Loop: Header=BB6_8078 Depth=3
	s_or_b32 exec_lo, exec_lo, s30
	s_delay_alu instid0(VALU_DEP_1) | instskip(SKIP_2) | instid1(VALU_DEP_2)
	v_mul_f32_e32 v8, s17, v13
	v_mov_b32_e32 v110, 0x80
	s_mov_b32 s30, exec_lo
	v_and_b32_e32 v12, 0x7f800000, v8
	s_delay_alu instid0(VALU_DEP_1)
	v_cmpx_ne_u32_e32 0x7f800000, v12
	s_cbranch_execz .LBB6_8327
; %bb.8320:                             ;   in Loop: Header=BB6_8078 Depth=3
	v_mov_b32_e32 v110, 0
	s_mov_b32 s31, exec_lo
	v_cmpx_ne_u32_e32 0, v8
	s_cbranch_execz .LBB6_8326
; %bb.8321:                             ;   in Loop: Header=BB6_8078 Depth=3
	v_bfe_u32 v12, v8, 23, 8
	s_delay_alu instid0(VALU_DEP_1) | instskip(SKIP_1) | instid1(VALU_DEP_2)
	v_sub_nc_u32_e32 v14, 0x70, v12
	v_cmp_gt_u32_e32 vcc_lo, 0x71, v12
	v_dual_cndmask_b32 v14, 0, v14 :: v_dual_and_b32 v13, 0x7fffff, v8
	s_delay_alu instid0(VALU_DEP_1) | instskip(SKIP_2) | instid1(VALU_DEP_4)
	v_or_b32_e32 v15, 0x800000, v13
	v_cmp_eq_u32_e32 vcc_lo, 0, v12
	v_add_nc_u32_e32 v12, 0xffffff91, v12
	v_cndmask_b32_e64 v14, v14, 0x6f, vcc_lo
	s_delay_alu instid0(VALU_DEP_4) | instskip(NEXT) | instid1(VALU_DEP_3)
	v_cndmask_b32_e32 v13, v15, v13, vcc_lo
	v_cndmask_b32_e64 v12, v12, 0xffffff92, vcc_lo
	s_delay_alu instid0(VALU_DEP_3) | instskip(NEXT) | instid1(VALU_DEP_3)
	v_lshl_add_u32 v15, 0x200000, v14, -1
	v_lshrrev_b32_e32 v16, v14, v13
	v_lshlrev_b32_e64 v18, v14, 0x100000
	s_delay_alu instid0(VALU_DEP_4) | instskip(NEXT) | instid1(VALU_DEP_4)
	v_add_nc_u32_e32 v14, v14, v12
	v_and_b32_e32 v13, v15, v13
	s_delay_alu instid0(VALU_DEP_4) | instskip(NEXT) | instid1(VALU_DEP_2)
	v_bfe_u32 v17, v16, 21, 1
	v_cmp_eq_u32_e64 s13, v13, v18
	s_delay_alu instid0(VALU_DEP_2) | instskip(NEXT) | instid1(VALU_DEP_1)
	v_add_nc_u32_e32 v15, -1, v17
	v_cndmask_b32_e64 v13, 0, v15, s13
	v_lshrrev_b32_e32 v15, 23, v16
	s_mov_b32 s13, exec_lo
	s_delay_alu instid0(VALU_DEP_2) | instskip(NEXT) | instid1(VALU_DEP_2)
	v_add_nc_u32_e32 v13, v13, v16
	v_xor_b32_e32 v15, 1, v15
	s_delay_alu instid0(VALU_DEP_2) | instskip(NEXT) | instid1(VALU_DEP_1)
	v_and_b32_e32 v12, 0x1fffff, v13
	v_add_nc_u32_e32 v13, v12, v16
                                        ; implicit-def: $vgpr12
	s_delay_alu instid0(VALU_DEP_3)
	v_cmpx_ne_u32_e64 v14, v15
	s_xor_b32 s13, exec_lo, s13
; %bb.8322:                             ;   in Loop: Header=BB6_8078 Depth=3
	s_delay_alu instid0(VALU_DEP_2) | instskip(SKIP_2) | instid1(VALU_DEP_2)
	v_cmp_lt_u32_e32 vcc_lo, 0xffffff, v13
	v_sub_nc_u32_e32 v12, v14, v15
	v_cndmask_b32_e64 v14, 0, 1, vcc_lo
	v_add_co_ci_u32_e32 v12, vcc_lo, 0, v12, vcc_lo
	s_delay_alu instid0(VALU_DEP_2)
	v_lshrrev_b32_e32 v13, v14, v13
; %bb.8323:                             ;   in Loop: Header=BB6_8078 Depth=3
	s_and_not1_saveexec_b32 s13, s13
; %bb.8324:                             ;   in Loop: Header=BB6_8078 Depth=3
	s_delay_alu instid0(VALU_DEP_1)
	v_bfe_u32 v12, v13, 23, 1
; %bb.8325:                             ;   in Loop: Header=BB6_8078 Depth=3
	s_or_b32 exec_lo, exec_lo, s13
	v_lshrrev_b32_e32 v13, 21, v13
	s_delay_alu instid0(VALU_DEP_2) | instskip(SKIP_2) | instid1(VALU_DEP_2)
	v_cmp_gt_i32_e32 vcc_lo, 32, v12
	v_lshrrev_b32_e32 v8, 24, v8
	v_min_i32_e32 v14, 31, v12
	v_dual_cndmask_b32 v13, 3, v13 :: v_dual_and_b32 v8, 0x80, v8
	s_delay_alu instid0(VALU_DEP_2) | instskip(NEXT) | instid1(VALU_DEP_2)
	v_lshlrev_b32_e32 v14, 2, v14
	v_or_b32_e32 v12, v12, v13
	s_delay_alu instid0(VALU_DEP_1) | instskip(SKIP_1) | instid1(VALU_DEP_1)
	v_cmp_ne_u32_e32 vcc_lo, 0, v12
	v_and_b32_e32 v15, 3, v13
	v_or3_b32 v8, v14, v8, v15
	s_delay_alu instid0(VALU_DEP_1)
	v_cndmask_b32_e32 v110, 0, v8, vcc_lo
.LBB6_8326:                             ;   in Loop: Header=BB6_8078 Depth=3
	s_or_b32 exec_lo, exec_lo, s31
.LBB6_8327:                             ;   in Loop: Header=BB6_8078 Depth=3
	s_delay_alu instid0(SALU_CYCLE_1) | instskip(SKIP_3) | instid1(VALU_DEP_1)
	s_or_b32 exec_lo, exec_lo, s30
	v_and_b32_e32 v12, 0xff, v9
	s_mov_b32 s13, 0
	s_mov_b32 s31, exec_lo
                                        ; implicit-def: $sgpr30
	v_cmpx_lt_i16_e32 0x7f, v12
	s_xor_b32 s31, exec_lo, s31
	s_cbranch_execnz .LBB6_9957
; %bb.8328:                             ;   in Loop: Header=BB6_8078 Depth=3
	s_or_saveexec_b32 s31, s31
	v_mov_b32_e32 v8, s30
	s_xor_b32 exec_lo, exec_lo, s31
	s_cbranch_execnz .LBB6_9960
.LBB6_8329:                             ;   in Loop: Header=BB6_8078 Depth=3
	s_or_b32 exec_lo, exec_lo, s31
	s_and_saveexec_b32 s30, s13
	s_cbranch_execz .LBB6_8331
.LBB6_8330:                             ;   in Loop: Header=BB6_8078 Depth=3
	v_and_b32_e32 v8, 3, v9
	v_bfe_u32 v14, v9, 2, 5
	v_lshlrev_b32_e32 v15, 24, v9
	s_delay_alu instid0(VALU_DEP_3) | instskip(NEXT) | instid1(VALU_DEP_3)
	v_clz_i32_u32_e32 v12, v8
	v_cmp_eq_u32_e32 vcc_lo, 0, v14
	s_delay_alu instid0(VALU_DEP_2) | instskip(NEXT) | instid1(VALU_DEP_1)
	v_min_u32_e32 v12, 32, v12
	v_subrev_nc_u32_e32 v13, 29, v12
	v_sub_nc_u32_e32 v12, 30, v12
	s_delay_alu instid0(VALU_DEP_1) | instskip(NEXT) | instid1(VALU_DEP_1)
	v_dual_cndmask_b32 v12, v14, v12 :: v_dual_lshlrev_b32 v13, v13, v9
	v_and_b32_e32 v13, 3, v13
	s_delay_alu instid0(VALU_DEP_2) | instskip(NEXT) | instid1(VALU_DEP_2)
	v_lshl_add_u32 v12, v12, 23, 0x37800000
	v_dual_cndmask_b32 v8, v8, v13 :: v_dual_and_b32 v13, 0x80000000, v15
	s_delay_alu instid0(VALU_DEP_1) | instskip(NEXT) | instid1(VALU_DEP_1)
	v_lshlrev_b32_e32 v8, 21, v8
	v_or3_b32 v8, v13, v12, v8
.LBB6_8331:                             ;   in Loop: Header=BB6_8078 Depth=3
	s_or_b32 exec_lo, exec_lo, s30
	s_delay_alu instid0(VALU_DEP_1) | instskip(SKIP_1) | instid1(VALU_DEP_1)
	v_dual_mul_f32 v8, s17, v8 :: v_dual_mov_b32 v109, 0x80
	s_mov_b32 s30, exec_lo
	v_and_b32_e32 v12, 0x7f800000, v8
	s_delay_alu instid0(VALU_DEP_1)
	v_cmpx_ne_u32_e32 0x7f800000, v12
	s_cbranch_execz .LBB6_8339
; %bb.8332:                             ;   in Loop: Header=BB6_8078 Depth=3
	v_mov_b32_e32 v109, 0
	s_mov_b32 s31, exec_lo
	v_cmpx_ne_u32_e32 0, v8
	s_cbranch_execz .LBB6_8338
; %bb.8333:                             ;   in Loop: Header=BB6_8078 Depth=3
	v_bfe_u32 v12, v8, 23, 8
	s_delay_alu instid0(VALU_DEP_1) | instskip(SKIP_1) | instid1(VALU_DEP_2)
	v_sub_nc_u32_e32 v14, 0x70, v12
	v_cmp_gt_u32_e32 vcc_lo, 0x71, v12
	v_dual_cndmask_b32 v14, 0, v14 :: v_dual_and_b32 v13, 0x7fffff, v8
	s_delay_alu instid0(VALU_DEP_1) | instskip(SKIP_2) | instid1(VALU_DEP_4)
	v_or_b32_e32 v15, 0x800000, v13
	v_cmp_eq_u32_e32 vcc_lo, 0, v12
	v_add_nc_u32_e32 v12, 0xffffff91, v12
	v_cndmask_b32_e64 v14, v14, 0x6f, vcc_lo
	s_delay_alu instid0(VALU_DEP_4) | instskip(NEXT) | instid1(VALU_DEP_3)
	v_cndmask_b32_e32 v13, v15, v13, vcc_lo
	v_cndmask_b32_e64 v12, v12, 0xffffff92, vcc_lo
	s_delay_alu instid0(VALU_DEP_3) | instskip(NEXT) | instid1(VALU_DEP_3)
	v_lshl_add_u32 v15, 0x200000, v14, -1
	v_lshrrev_b32_e32 v16, v14, v13
	v_lshlrev_b32_e64 v18, v14, 0x100000
	s_delay_alu instid0(VALU_DEP_4) | instskip(NEXT) | instid1(VALU_DEP_4)
	v_add_nc_u32_e32 v14, v14, v12
	v_and_b32_e32 v13, v15, v13
	s_delay_alu instid0(VALU_DEP_4) | instskip(NEXT) | instid1(VALU_DEP_2)
	v_bfe_u32 v17, v16, 21, 1
	v_cmp_eq_u32_e64 s13, v13, v18
	s_delay_alu instid0(VALU_DEP_2) | instskip(NEXT) | instid1(VALU_DEP_1)
	v_add_nc_u32_e32 v15, -1, v17
	v_cndmask_b32_e64 v13, 0, v15, s13
	v_lshrrev_b32_e32 v15, 23, v16
	s_mov_b32 s13, exec_lo
	s_delay_alu instid0(VALU_DEP_2) | instskip(NEXT) | instid1(VALU_DEP_2)
	v_add_nc_u32_e32 v13, v13, v16
	v_xor_b32_e32 v15, 1, v15
	s_delay_alu instid0(VALU_DEP_2) | instskip(NEXT) | instid1(VALU_DEP_1)
	v_and_b32_e32 v12, 0x1fffff, v13
	v_add_nc_u32_e32 v13, v12, v16
                                        ; implicit-def: $vgpr12
	s_delay_alu instid0(VALU_DEP_3)
	v_cmpx_ne_u32_e64 v14, v15
	s_xor_b32 s13, exec_lo, s13
; %bb.8334:                             ;   in Loop: Header=BB6_8078 Depth=3
	s_delay_alu instid0(VALU_DEP_2) | instskip(SKIP_2) | instid1(VALU_DEP_2)
	v_cmp_lt_u32_e32 vcc_lo, 0xffffff, v13
	v_sub_nc_u32_e32 v12, v14, v15
	v_cndmask_b32_e64 v14, 0, 1, vcc_lo
	v_add_co_ci_u32_e32 v12, vcc_lo, 0, v12, vcc_lo
	s_delay_alu instid0(VALU_DEP_2)
	v_lshrrev_b32_e32 v13, v14, v13
; %bb.8335:                             ;   in Loop: Header=BB6_8078 Depth=3
	s_and_not1_saveexec_b32 s13, s13
; %bb.8336:                             ;   in Loop: Header=BB6_8078 Depth=3
	s_delay_alu instid0(VALU_DEP_1)
	v_bfe_u32 v12, v13, 23, 1
; %bb.8337:                             ;   in Loop: Header=BB6_8078 Depth=3
	s_or_b32 exec_lo, exec_lo, s13
	v_lshrrev_b32_e32 v13, 21, v13
	s_delay_alu instid0(VALU_DEP_2) | instskip(SKIP_2) | instid1(VALU_DEP_2)
	v_cmp_gt_i32_e32 vcc_lo, 32, v12
	v_min_i32_e32 v14, 31, v12
	v_lshrrev_b32_e32 v8, 24, v8
	v_dual_cndmask_b32 v13, 3, v13 :: v_dual_lshlrev_b32 v14, 2, v14
	s_delay_alu instid0(VALU_DEP_2) | instskip(NEXT) | instid1(VALU_DEP_2)
	v_and_b32_e32 v8, 0x80, v8
	v_or_b32_e32 v12, v12, v13
	v_and_b32_e32 v15, 3, v13
	s_delay_alu instid0(VALU_DEP_2) | instskip(SKIP_1) | instid1(VALU_DEP_1)
	v_cmp_ne_u32_e32 vcc_lo, 0, v12
	v_and_b32_e32 v14, 0xfc, v14
	v_or3_b32 v8, v14, v8, v15
	s_delay_alu instid0(VALU_DEP_1)
	v_cndmask_b32_e32 v109, 0, v8, vcc_lo
.LBB6_8338:                             ;   in Loop: Header=BB6_8078 Depth=3
	s_or_b32 exec_lo, exec_lo, s31
.LBB6_8339:                             ;   in Loop: Header=BB6_8078 Depth=3
	s_delay_alu instid0(SALU_CYCLE_1) | instskip(SKIP_3) | instid1(VALU_DEP_1)
	s_or_b32 exec_lo, exec_lo, s30
	v_lshrrev_b16 v8, 8, v9
	s_mov_b32 s13, 0
	s_mov_b32 s31, exec_lo
                                        ; implicit-def: $sgpr30
	v_cmpx_lt_i16_e32 0x7f, v8
	s_xor_b32 s31, exec_lo, s31
	s_cbranch_execnz .LBB6_9961
; %bb.8340:                             ;   in Loop: Header=BB6_8078 Depth=3
	s_or_saveexec_b32 s31, s31
	v_mov_b32_e32 v12, s30
	s_xor_b32 exec_lo, exec_lo, s31
	s_cbranch_execnz .LBB6_9964
.LBB6_8341:                             ;   in Loop: Header=BB6_8078 Depth=3
	s_or_b32 exec_lo, exec_lo, s31
	s_and_saveexec_b32 s30, s13
	s_cbranch_execz .LBB6_8343
.LBB6_8342:                             ;   in Loop: Header=BB6_8078 Depth=3
	v_and_b32_e32 v12, 0xffff, v8
	v_lshlrev_b32_e32 v8, 24, v8
	s_delay_alu instid0(VALU_DEP_2) | instskip(NEXT) | instid1(VALU_DEP_2)
	v_and_b32_e32 v13, 3, v12
	v_and_b32_e32 v8, 0x80000000, v8
	s_delay_alu instid0(VALU_DEP_2) | instskip(NEXT) | instid1(VALU_DEP_1)
	v_clz_i32_u32_e32 v14, v13
	v_min_u32_e32 v14, 32, v14
	s_delay_alu instid0(VALU_DEP_1) | instskip(SKIP_1) | instid1(VALU_DEP_2)
	v_subrev_nc_u32_e32 v15, 29, v14
	v_sub_nc_u32_e32 v14, 30, v14
	v_lshlrev_b32_e32 v15, v15, v12
	v_bfe_u32 v12, v12, 2, 5
	s_delay_alu instid0(VALU_DEP_2) | instskip(NEXT) | instid1(VALU_DEP_2)
	v_and_b32_e32 v15, 3, v15
	v_cmp_eq_u32_e32 vcc_lo, 0, v12
	s_delay_alu instid0(VALU_DEP_2) | instskip(NEXT) | instid1(VALU_DEP_1)
	v_dual_cndmask_b32 v12, v12, v14 :: v_dual_cndmask_b32 v13, v13, v15
	v_lshl_add_u32 v12, v12, 23, 0x37800000
	s_delay_alu instid0(VALU_DEP_2) | instskip(NEXT) | instid1(VALU_DEP_1)
	v_lshlrev_b32_e32 v13, 21, v13
	v_or3_b32 v12, v8, v12, v13
.LBB6_8343:                             ;   in Loop: Header=BB6_8078 Depth=3
	s_or_b32 exec_lo, exec_lo, s30
	s_delay_alu instid0(VALU_DEP_1) | instskip(SKIP_2) | instid1(VALU_DEP_2)
	v_mul_f32_e32 v8, s17, v12
	v_mov_b32_e32 v122, 0x8000
	s_mov_b32 s30, exec_lo
	v_and_b32_e32 v12, 0x7f800000, v8
	s_delay_alu instid0(VALU_DEP_1)
	v_cmpx_ne_u32_e32 0x7f800000, v12
	s_cbranch_execz .LBB6_8351
; %bb.8344:                             ;   in Loop: Header=BB6_8078 Depth=3
	v_mov_b32_e32 v122, 0
	s_mov_b32 s31, exec_lo
	v_cmpx_ne_u32_e32 0, v8
	s_cbranch_execz .LBB6_8350
; %bb.8345:                             ;   in Loop: Header=BB6_8078 Depth=3
	v_bfe_u32 v12, v8, 23, 8
	s_delay_alu instid0(VALU_DEP_1) | instskip(SKIP_1) | instid1(VALU_DEP_2)
	v_sub_nc_u32_e32 v14, 0x70, v12
	v_cmp_gt_u32_e32 vcc_lo, 0x71, v12
	v_dual_cndmask_b32 v14, 0, v14 :: v_dual_and_b32 v13, 0x7fffff, v8
	s_delay_alu instid0(VALU_DEP_1) | instskip(SKIP_2) | instid1(VALU_DEP_4)
	v_or_b32_e32 v15, 0x800000, v13
	v_cmp_eq_u32_e32 vcc_lo, 0, v12
	v_add_nc_u32_e32 v12, 0xffffff91, v12
	v_cndmask_b32_e64 v14, v14, 0x6f, vcc_lo
	s_delay_alu instid0(VALU_DEP_4) | instskip(NEXT) | instid1(VALU_DEP_3)
	v_cndmask_b32_e32 v13, v15, v13, vcc_lo
	v_cndmask_b32_e64 v12, v12, 0xffffff92, vcc_lo
	s_delay_alu instid0(VALU_DEP_3) | instskip(NEXT) | instid1(VALU_DEP_3)
	v_lshl_add_u32 v15, 0x200000, v14, -1
	v_lshrrev_b32_e32 v16, v14, v13
	v_lshlrev_b32_e64 v18, v14, 0x100000
	s_delay_alu instid0(VALU_DEP_4) | instskip(NEXT) | instid1(VALU_DEP_4)
	v_add_nc_u32_e32 v14, v14, v12
	v_and_b32_e32 v13, v15, v13
	s_delay_alu instid0(VALU_DEP_4) | instskip(NEXT) | instid1(VALU_DEP_2)
	v_bfe_u32 v17, v16, 21, 1
	v_cmp_eq_u32_e64 s13, v13, v18
	s_delay_alu instid0(VALU_DEP_2) | instskip(NEXT) | instid1(VALU_DEP_1)
	v_add_nc_u32_e32 v15, -1, v17
	v_cndmask_b32_e64 v13, 0, v15, s13
	v_lshrrev_b32_e32 v15, 23, v16
	s_mov_b32 s13, exec_lo
	s_delay_alu instid0(VALU_DEP_2) | instskip(NEXT) | instid1(VALU_DEP_2)
	v_add_nc_u32_e32 v13, v13, v16
	v_xor_b32_e32 v15, 1, v15
	s_delay_alu instid0(VALU_DEP_2) | instskip(NEXT) | instid1(VALU_DEP_1)
	v_and_b32_e32 v12, 0x1fffff, v13
	v_add_nc_u32_e32 v13, v12, v16
                                        ; implicit-def: $vgpr12
	s_delay_alu instid0(VALU_DEP_3)
	v_cmpx_ne_u32_e64 v14, v15
	s_xor_b32 s13, exec_lo, s13
; %bb.8346:                             ;   in Loop: Header=BB6_8078 Depth=3
	s_delay_alu instid0(VALU_DEP_2) | instskip(SKIP_2) | instid1(VALU_DEP_2)
	v_cmp_lt_u32_e32 vcc_lo, 0xffffff, v13
	v_sub_nc_u32_e32 v12, v14, v15
	v_cndmask_b32_e64 v14, 0, 1, vcc_lo
	v_add_co_ci_u32_e32 v12, vcc_lo, 0, v12, vcc_lo
	s_delay_alu instid0(VALU_DEP_2)
	v_lshrrev_b32_e32 v13, v14, v13
; %bb.8347:                             ;   in Loop: Header=BB6_8078 Depth=3
	s_and_not1_saveexec_b32 s13, s13
; %bb.8348:                             ;   in Loop: Header=BB6_8078 Depth=3
	s_delay_alu instid0(VALU_DEP_1)
	v_bfe_u32 v12, v13, 23, 1
; %bb.8349:                             ;   in Loop: Header=BB6_8078 Depth=3
	s_or_b32 exec_lo, exec_lo, s13
	v_lshrrev_b32_e32 v13, 21, v13
	s_delay_alu instid0(VALU_DEP_2) | instskip(SKIP_2) | instid1(VALU_DEP_2)
	v_cmp_gt_i32_e32 vcc_lo, 32, v12
	v_min_i32_e32 v14, 31, v12
	v_lshrrev_b32_e32 v8, 24, v8
	v_dual_cndmask_b32 v13, 3, v13 :: v_dual_lshlrev_b32 v14, 2, v14
	s_delay_alu instid0(VALU_DEP_2) | instskip(NEXT) | instid1(VALU_DEP_2)
	v_and_b32_e32 v8, 0x80, v8
	v_or_b32_e32 v12, v12, v13
	s_delay_alu instid0(VALU_DEP_3) | instskip(NEXT) | instid1(VALU_DEP_2)
	v_and_b32_e32 v14, 0xfc, v14
	v_cmp_ne_u32_e32 vcc_lo, 0, v12
	v_and_b32_e32 v15, 3, v13
	s_delay_alu instid0(VALU_DEP_1) | instskip(NEXT) | instid1(VALU_DEP_1)
	v_or3_b32 v8, v8, v14, v15
	v_lshlrev_b32_e32 v8, 8, v8
	s_delay_alu instid0(VALU_DEP_1)
	v_cndmask_b32_e32 v122, 0, v8, vcc_lo
.LBB6_8350:                             ;   in Loop: Header=BB6_8078 Depth=3
	s_or_b32 exec_lo, exec_lo, s31
.LBB6_8351:                             ;   in Loop: Header=BB6_8078 Depth=3
	s_delay_alu instid0(SALU_CYCLE_1) | instskip(SKIP_3) | instid1(VALU_DEP_1)
	s_or_b32 exec_lo, exec_lo, s30
	v_lshrrev_b32_e32 v8, 16, v9
	s_mov_b32 s13, 0
	s_mov_b32 s31, exec_lo
                                        ; implicit-def: $sgpr30
	v_and_b32_e32 v13, 0xff, v8
	s_delay_alu instid0(VALU_DEP_1)
	v_cmpx_lt_i16_e32 0x7f, v13
	s_xor_b32 s31, exec_lo, s31
	s_cbranch_execnz .LBB6_9965
; %bb.8352:                             ;   in Loop: Header=BB6_8078 Depth=3
	s_or_saveexec_b32 s31, s31
	v_mov_b32_e32 v12, s30
	s_xor_b32 exec_lo, exec_lo, s31
	s_cbranch_execnz .LBB6_9968
.LBB6_8353:                             ;   in Loop: Header=BB6_8078 Depth=3
	s_or_b32 exec_lo, exec_lo, s31
	s_and_saveexec_b32 s30, s13
	s_cbranch_execz .LBB6_8355
.LBB6_8354:                             ;   in Loop: Header=BB6_8078 Depth=3
	v_bfe_u32 v12, v9, 16, 2
	s_delay_alu instid0(VALU_DEP_1) | instskip(NEXT) | instid1(VALU_DEP_1)
	v_clz_i32_u32_e32 v13, v12
	v_min_u32_e32 v13, 32, v13
	s_delay_alu instid0(VALU_DEP_1) | instskip(SKIP_1) | instid1(VALU_DEP_2)
	v_subrev_nc_u32_e32 v14, 29, v13
	v_sub_nc_u32_e32 v13, 30, v13
	v_lshlrev_b32_e32 v8, v14, v8
	v_bfe_u32 v14, v9, 18, 5
	s_delay_alu instid0(VALU_DEP_1) | instskip(NEXT) | instid1(VALU_DEP_3)
	v_cmp_eq_u32_e32 vcc_lo, 0, v14
	v_dual_cndmask_b32 v13, v14, v13 :: v_dual_and_b32 v8, 3, v8
	s_delay_alu instid0(VALU_DEP_1) | instskip(NEXT) | instid1(VALU_DEP_2)
	v_dual_cndmask_b32 v8, v12, v8 :: v_dual_lshlrev_b32 v15, 8, v9
	v_lshl_add_u32 v13, v13, 23, 0x37800000
	s_delay_alu instid0(VALU_DEP_2) | instskip(NEXT) | instid1(VALU_DEP_3)
	v_and_b32_e32 v12, 0x80000000, v15
	v_lshlrev_b32_e32 v8, 21, v8
	s_delay_alu instid0(VALU_DEP_1)
	v_or3_b32 v12, v12, v13, v8
.LBB6_8355:                             ;   in Loop: Header=BB6_8078 Depth=3
	s_or_b32 exec_lo, exec_lo, s30
	s_delay_alu instid0(VALU_DEP_1) | instskip(SKIP_1) | instid1(VALU_DEP_1)
	v_dual_mul_f32 v8, s17, v12 :: v_dual_mov_b32 v107, 0x80
	s_mov_b32 s30, exec_lo
	v_and_b32_e32 v12, 0x7f800000, v8
	s_delay_alu instid0(VALU_DEP_1)
	v_cmpx_ne_u32_e32 0x7f800000, v12
	s_cbranch_execz .LBB6_8363
; %bb.8356:                             ;   in Loop: Header=BB6_8078 Depth=3
	v_mov_b32_e32 v107, 0
	s_mov_b32 s31, exec_lo
	v_cmpx_ne_u32_e32 0, v8
	s_cbranch_execz .LBB6_8362
; %bb.8357:                             ;   in Loop: Header=BB6_8078 Depth=3
	v_bfe_u32 v12, v8, 23, 8
	s_delay_alu instid0(VALU_DEP_1) | instskip(SKIP_1) | instid1(VALU_DEP_2)
	v_sub_nc_u32_e32 v14, 0x70, v12
	v_cmp_gt_u32_e32 vcc_lo, 0x71, v12
	v_dual_cndmask_b32 v14, 0, v14 :: v_dual_and_b32 v13, 0x7fffff, v8
	s_delay_alu instid0(VALU_DEP_1) | instskip(SKIP_2) | instid1(VALU_DEP_4)
	v_or_b32_e32 v15, 0x800000, v13
	v_cmp_eq_u32_e32 vcc_lo, 0, v12
	v_add_nc_u32_e32 v12, 0xffffff91, v12
	v_cndmask_b32_e64 v14, v14, 0x6f, vcc_lo
	s_delay_alu instid0(VALU_DEP_4) | instskip(NEXT) | instid1(VALU_DEP_3)
	v_cndmask_b32_e32 v13, v15, v13, vcc_lo
	v_cndmask_b32_e64 v12, v12, 0xffffff92, vcc_lo
	s_delay_alu instid0(VALU_DEP_3) | instskip(NEXT) | instid1(VALU_DEP_3)
	v_lshl_add_u32 v15, 0x200000, v14, -1
	v_lshrrev_b32_e32 v16, v14, v13
	v_lshlrev_b32_e64 v18, v14, 0x100000
	s_delay_alu instid0(VALU_DEP_4) | instskip(NEXT) | instid1(VALU_DEP_4)
	v_add_nc_u32_e32 v14, v14, v12
	v_and_b32_e32 v13, v15, v13
	s_delay_alu instid0(VALU_DEP_4) | instskip(NEXT) | instid1(VALU_DEP_2)
	v_bfe_u32 v17, v16, 21, 1
	v_cmp_eq_u32_e64 s13, v13, v18
	s_delay_alu instid0(VALU_DEP_2) | instskip(NEXT) | instid1(VALU_DEP_1)
	v_add_nc_u32_e32 v15, -1, v17
	v_cndmask_b32_e64 v13, 0, v15, s13
	v_lshrrev_b32_e32 v15, 23, v16
	s_mov_b32 s13, exec_lo
	s_delay_alu instid0(VALU_DEP_2) | instskip(NEXT) | instid1(VALU_DEP_2)
	v_add_nc_u32_e32 v13, v13, v16
	v_xor_b32_e32 v15, 1, v15
	s_delay_alu instid0(VALU_DEP_2) | instskip(NEXT) | instid1(VALU_DEP_1)
	v_and_b32_e32 v12, 0x1fffff, v13
	v_add_nc_u32_e32 v13, v12, v16
                                        ; implicit-def: $vgpr12
	s_delay_alu instid0(VALU_DEP_3)
	v_cmpx_ne_u32_e64 v14, v15
	s_xor_b32 s13, exec_lo, s13
; %bb.8358:                             ;   in Loop: Header=BB6_8078 Depth=3
	s_delay_alu instid0(VALU_DEP_2) | instskip(SKIP_2) | instid1(VALU_DEP_2)
	v_cmp_lt_u32_e32 vcc_lo, 0xffffff, v13
	v_sub_nc_u32_e32 v12, v14, v15
	v_cndmask_b32_e64 v14, 0, 1, vcc_lo
	v_add_co_ci_u32_e32 v12, vcc_lo, 0, v12, vcc_lo
	s_delay_alu instid0(VALU_DEP_2)
	v_lshrrev_b32_e32 v13, v14, v13
; %bb.8359:                             ;   in Loop: Header=BB6_8078 Depth=3
	s_and_not1_saveexec_b32 s13, s13
; %bb.8360:                             ;   in Loop: Header=BB6_8078 Depth=3
	s_delay_alu instid0(VALU_DEP_1)
	v_bfe_u32 v12, v13, 23, 1
; %bb.8361:                             ;   in Loop: Header=BB6_8078 Depth=3
	s_or_b32 exec_lo, exec_lo, s13
	v_lshrrev_b32_e32 v13, 21, v13
	s_delay_alu instid0(VALU_DEP_2) | instskip(SKIP_2) | instid1(VALU_DEP_2)
	v_cmp_gt_i32_e32 vcc_lo, 32, v12
	v_min_i32_e32 v14, 31, v12
	v_lshrrev_b32_e32 v8, 24, v8
	v_dual_cndmask_b32 v13, 3, v13 :: v_dual_lshlrev_b32 v14, 2, v14
	s_delay_alu instid0(VALU_DEP_2) | instskip(NEXT) | instid1(VALU_DEP_2)
	v_and_b32_e32 v8, 0x80, v8
	v_or_b32_e32 v12, v12, v13
	v_and_b32_e32 v15, 3, v13
	s_delay_alu instid0(VALU_DEP_2) | instskip(SKIP_1) | instid1(VALU_DEP_1)
	v_cmp_ne_u32_e32 vcc_lo, 0, v12
	v_and_b32_e32 v14, 0xfc, v14
	v_or3_b32 v8, v14, v8, v15
	s_delay_alu instid0(VALU_DEP_1)
	v_cndmask_b32_e32 v107, 0, v8, vcc_lo
.LBB6_8362:                             ;   in Loop: Header=BB6_8078 Depth=3
	s_or_b32 exec_lo, exec_lo, s31
.LBB6_8363:                             ;   in Loop: Header=BB6_8078 Depth=3
	s_delay_alu instid0(SALU_CYCLE_1) | instskip(SKIP_3) | instid1(VALU_DEP_1)
	s_or_b32 exec_lo, exec_lo, s30
	v_lshrrev_b32_e32 v8, 24, v9
	s_mov_b32 s13, 0
	s_mov_b32 s31, exec_lo
                                        ; implicit-def: $sgpr30
	v_cmpx_lt_i16_e32 0x7f, v8
	s_xor_b32 s31, exec_lo, s31
	s_cbranch_execnz .LBB6_9969
; %bb.8364:                             ;   in Loop: Header=BB6_8078 Depth=3
	s_or_saveexec_b32 s31, s31
	v_mov_b32_e32 v12, s30
	s_xor_b32 exec_lo, exec_lo, s31
	s_cbranch_execnz .LBB6_9972
.LBB6_8365:                             ;   in Loop: Header=BB6_8078 Depth=3
	s_or_b32 exec_lo, exec_lo, s31
	s_and_saveexec_b32 s30, s13
	s_cbranch_execz .LBB6_8367
.LBB6_8366:                             ;   in Loop: Header=BB6_8078 Depth=3
	v_bfe_u32 v12, v9, 24, 2
	s_delay_alu instid0(VALU_DEP_1) | instskip(NEXT) | instid1(VALU_DEP_1)
	v_clz_i32_u32_e32 v13, v12
	v_min_u32_e32 v13, 32, v13
	s_delay_alu instid0(VALU_DEP_1) | instskip(SKIP_1) | instid1(VALU_DEP_2)
	v_subrev_nc_u32_e32 v14, 29, v13
	v_sub_nc_u32_e32 v13, 30, v13
	v_lshlrev_b32_e32 v8, v14, v8
	v_bfe_u32 v14, v9, 26, 5
	v_and_b32_e32 v9, 0x80000000, v9
	s_delay_alu instid0(VALU_DEP_2) | instskip(NEXT) | instid1(VALU_DEP_4)
	v_cmp_eq_u32_e32 vcc_lo, 0, v14
	v_dual_cndmask_b32 v13, v14, v13 :: v_dual_and_b32 v8, 3, v8
	s_delay_alu instid0(VALU_DEP_1) | instskip(NEXT) | instid1(VALU_DEP_2)
	v_cndmask_b32_e32 v8, v12, v8, vcc_lo
	v_lshl_add_u32 v12, v13, 23, 0x37800000
	s_delay_alu instid0(VALU_DEP_2) | instskip(NEXT) | instid1(VALU_DEP_1)
	v_lshlrev_b32_e32 v8, 21, v8
	v_or3_b32 v12, v9, v12, v8
.LBB6_8367:                             ;   in Loop: Header=BB6_8078 Depth=3
	s_or_b32 exec_lo, exec_lo, s30
	s_delay_alu instid0(VALU_DEP_1) | instskip(SKIP_1) | instid1(VALU_DEP_1)
	v_dual_mul_f32 v8, s17, v12 :: v_dual_mov_b32 v111, 0x8000
	s_mov_b32 s30, exec_lo
	v_and_b32_e32 v9, 0x7f800000, v8
	s_delay_alu instid0(VALU_DEP_1)
	v_cmpx_ne_u32_e32 0x7f800000, v9
	s_cbranch_execz .LBB6_8375
; %bb.8368:                             ;   in Loop: Header=BB6_8078 Depth=3
	v_mov_b32_e32 v111, 0
	s_mov_b32 s31, exec_lo
	v_cmpx_ne_u32_e32 0, v8
	s_cbranch_execz .LBB6_8374
; %bb.8369:                             ;   in Loop: Header=BB6_8078 Depth=3
	v_bfe_u32 v9, v8, 23, 8
	s_delay_alu instid0(VALU_DEP_1) | instskip(SKIP_1) | instid1(VALU_DEP_2)
	v_sub_nc_u32_e32 v13, 0x70, v9
	v_cmp_gt_u32_e32 vcc_lo, 0x71, v9
	v_dual_cndmask_b32 v13, 0, v13 :: v_dual_and_b32 v12, 0x7fffff, v8
	s_delay_alu instid0(VALU_DEP_1) | instskip(SKIP_2) | instid1(VALU_DEP_4)
	v_or_b32_e32 v14, 0x800000, v12
	v_cmp_eq_u32_e32 vcc_lo, 0, v9
	v_add_nc_u32_e32 v9, 0xffffff91, v9
	v_cndmask_b32_e64 v13, v13, 0x6f, vcc_lo
	s_delay_alu instid0(VALU_DEP_4) | instskip(NEXT) | instid1(VALU_DEP_3)
	v_cndmask_b32_e32 v12, v14, v12, vcc_lo
	v_cndmask_b32_e64 v9, v9, 0xffffff92, vcc_lo
	s_delay_alu instid0(VALU_DEP_3) | instskip(NEXT) | instid1(VALU_DEP_3)
	v_lshl_add_u32 v14, 0x200000, v13, -1
	v_lshrrev_b32_e32 v15, v13, v12
	v_lshlrev_b32_e64 v17, v13, 0x100000
	s_delay_alu instid0(VALU_DEP_4) | instskip(NEXT) | instid1(VALU_DEP_4)
	v_add_nc_u32_e32 v13, v13, v9
	v_and_b32_e32 v12, v14, v12
	s_delay_alu instid0(VALU_DEP_4) | instskip(NEXT) | instid1(VALU_DEP_2)
	v_bfe_u32 v16, v15, 21, 1
	v_cmp_eq_u32_e64 s13, v12, v17
	s_delay_alu instid0(VALU_DEP_2) | instskip(NEXT) | instid1(VALU_DEP_1)
	v_add_nc_u32_e32 v14, -1, v16
	v_cndmask_b32_e64 v12, 0, v14, s13
	v_lshrrev_b32_e32 v14, 23, v15
	s_mov_b32 s13, exec_lo
	s_delay_alu instid0(VALU_DEP_2) | instskip(NEXT) | instid1(VALU_DEP_2)
	v_add_nc_u32_e32 v12, v12, v15
	v_xor_b32_e32 v14, 1, v14
	s_delay_alu instid0(VALU_DEP_2) | instskip(NEXT) | instid1(VALU_DEP_1)
	v_and_b32_e32 v9, 0x1fffff, v12
	v_add_nc_u32_e32 v12, v9, v15
                                        ; implicit-def: $vgpr9
	s_delay_alu instid0(VALU_DEP_3)
	v_cmpx_ne_u32_e64 v13, v14
	s_xor_b32 s13, exec_lo, s13
; %bb.8370:                             ;   in Loop: Header=BB6_8078 Depth=3
	s_delay_alu instid0(VALU_DEP_2) | instskip(SKIP_2) | instid1(VALU_DEP_2)
	v_cmp_lt_u32_e32 vcc_lo, 0xffffff, v12
	v_sub_nc_u32_e32 v9, v13, v14
	v_cndmask_b32_e64 v13, 0, 1, vcc_lo
	v_add_co_ci_u32_e32 v9, vcc_lo, 0, v9, vcc_lo
	s_delay_alu instid0(VALU_DEP_2)
	v_lshrrev_b32_e32 v12, v13, v12
; %bb.8371:                             ;   in Loop: Header=BB6_8078 Depth=3
	s_and_not1_saveexec_b32 s13, s13
; %bb.8372:                             ;   in Loop: Header=BB6_8078 Depth=3
	s_delay_alu instid0(VALU_DEP_1)
	v_bfe_u32 v9, v12, 23, 1
; %bb.8373:                             ;   in Loop: Header=BB6_8078 Depth=3
	s_or_b32 exec_lo, exec_lo, s13
	v_lshrrev_b32_e32 v12, 21, v12
	s_delay_alu instid0(VALU_DEP_2) | instskip(SKIP_2) | instid1(VALU_DEP_3)
	v_min_i32_e32 v13, 31, v9
	v_cmp_gt_i32_e32 vcc_lo, 32, v9
	v_lshrrev_b32_e32 v8, 24, v8
	v_dual_cndmask_b32 v12, 3, v12 :: v_dual_lshlrev_b32 v13, 2, v13
	s_delay_alu instid0(VALU_DEP_2) | instskip(NEXT) | instid1(VALU_DEP_2)
	v_and_b32_e32 v8, 0x80, v8
	v_and_b32_e32 v13, 0xfc, v13
	s_delay_alu instid0(VALU_DEP_3) | instskip(SKIP_1) | instid1(VALU_DEP_2)
	v_and_b32_e32 v14, 3, v12
	v_or_b32_e32 v9, v9, v12
	v_or3_b32 v8, v8, v13, v14
	s_delay_alu instid0(VALU_DEP_2) | instskip(NEXT) | instid1(VALU_DEP_2)
	v_cmp_ne_u32_e32 vcc_lo, 0, v9
	v_lshlrev_b32_e32 v8, 8, v8
	s_delay_alu instid0(VALU_DEP_1)
	v_cndmask_b32_e32 v111, 0, v8, vcc_lo
.LBB6_8374:                             ;   in Loop: Header=BB6_8078 Depth=3
	s_or_b32 exec_lo, exec_lo, s31
.LBB6_8375:                             ;   in Loop: Header=BB6_8078 Depth=3
	s_delay_alu instid0(SALU_CYCLE_1) | instskip(SKIP_3) | instid1(VALU_DEP_1)
	s_or_b32 exec_lo, exec_lo, s30
	v_and_b32_e32 v9, 0xff, v10
	s_mov_b32 s13, 0
	s_mov_b32 s31, exec_lo
                                        ; implicit-def: $sgpr30
	v_cmpx_lt_i16_e32 0x7f, v9
	s_xor_b32 s31, exec_lo, s31
	s_cbranch_execnz .LBB6_9973
; %bb.8376:                             ;   in Loop: Header=BB6_8078 Depth=3
	s_or_saveexec_b32 s31, s31
	v_mov_b32_e32 v8, s30
	s_xor_b32 exec_lo, exec_lo, s31
	s_cbranch_execnz .LBB6_9976
.LBB6_8377:                             ;   in Loop: Header=BB6_8078 Depth=3
	s_or_b32 exec_lo, exec_lo, s31
	s_and_saveexec_b32 s30, s13
	s_cbranch_execz .LBB6_8379
.LBB6_8378:                             ;   in Loop: Header=BB6_8078 Depth=3
	v_bfe_u32 v13, v10, 2, 5
	v_lshlrev_b32_e32 v14, 24, v10
	s_delay_alu instid0(VALU_DEP_2) | instskip(SKIP_1) | instid1(VALU_DEP_1)
	v_cmp_eq_u32_e32 vcc_lo, 0, v13
	v_and_b32_e32 v8, 3, v10
	v_clz_i32_u32_e32 v9, v8
	s_delay_alu instid0(VALU_DEP_1) | instskip(NEXT) | instid1(VALU_DEP_1)
	v_min_u32_e32 v9, 32, v9
	v_subrev_nc_u32_e32 v12, 29, v9
	v_sub_nc_u32_e32 v9, 30, v9
	s_delay_alu instid0(VALU_DEP_1) | instskip(NEXT) | instid1(VALU_DEP_1)
	v_dual_cndmask_b32 v9, v13, v9 :: v_dual_lshlrev_b32 v12, v12, v10
	v_and_b32_e32 v12, 3, v12
	s_delay_alu instid0(VALU_DEP_2) | instskip(NEXT) | instid1(VALU_DEP_2)
	v_lshl_add_u32 v9, v9, 23, 0x37800000
	v_cndmask_b32_e32 v8, v8, v12, vcc_lo
	v_and_b32_e32 v12, 0x80000000, v14
	s_delay_alu instid0(VALU_DEP_2) | instskip(NEXT) | instid1(VALU_DEP_1)
	v_lshlrev_b32_e32 v8, 21, v8
	v_or3_b32 v8, v12, v9, v8
.LBB6_8379:                             ;   in Loop: Header=BB6_8078 Depth=3
	s_or_b32 exec_lo, exec_lo, s30
	s_delay_alu instid0(VALU_DEP_1) | instskip(SKIP_1) | instid1(VALU_DEP_1)
	v_dual_mul_f32 v8, s17, v8 :: v_dual_mov_b32 v105, 0x80
	s_mov_b32 s30, exec_lo
	v_and_b32_e32 v9, 0x7f800000, v8
	s_delay_alu instid0(VALU_DEP_1)
	v_cmpx_ne_u32_e32 0x7f800000, v9
	s_cbranch_execz .LBB6_8387
; %bb.8380:                             ;   in Loop: Header=BB6_8078 Depth=3
	v_mov_b32_e32 v105, 0
	s_mov_b32 s31, exec_lo
	v_cmpx_ne_u32_e32 0, v8
	s_cbranch_execz .LBB6_8386
; %bb.8381:                             ;   in Loop: Header=BB6_8078 Depth=3
	v_bfe_u32 v9, v8, 23, 8
	s_delay_alu instid0(VALU_DEP_1) | instskip(SKIP_1) | instid1(VALU_DEP_2)
	v_sub_nc_u32_e32 v13, 0x70, v9
	v_cmp_gt_u32_e32 vcc_lo, 0x71, v9
	v_dual_cndmask_b32 v13, 0, v13 :: v_dual_and_b32 v12, 0x7fffff, v8
	s_delay_alu instid0(VALU_DEP_1) | instskip(SKIP_2) | instid1(VALU_DEP_4)
	v_or_b32_e32 v14, 0x800000, v12
	v_cmp_eq_u32_e32 vcc_lo, 0, v9
	v_add_nc_u32_e32 v9, 0xffffff91, v9
	v_cndmask_b32_e64 v13, v13, 0x6f, vcc_lo
	s_delay_alu instid0(VALU_DEP_4) | instskip(NEXT) | instid1(VALU_DEP_3)
	v_cndmask_b32_e32 v12, v14, v12, vcc_lo
	v_cndmask_b32_e64 v9, v9, 0xffffff92, vcc_lo
	s_delay_alu instid0(VALU_DEP_3) | instskip(NEXT) | instid1(VALU_DEP_3)
	v_lshl_add_u32 v14, 0x200000, v13, -1
	v_lshrrev_b32_e32 v15, v13, v12
	v_lshlrev_b32_e64 v17, v13, 0x100000
	s_delay_alu instid0(VALU_DEP_4) | instskip(NEXT) | instid1(VALU_DEP_4)
	v_add_nc_u32_e32 v13, v13, v9
	v_and_b32_e32 v12, v14, v12
	s_delay_alu instid0(VALU_DEP_4) | instskip(NEXT) | instid1(VALU_DEP_2)
	v_bfe_u32 v16, v15, 21, 1
	v_cmp_eq_u32_e64 s13, v12, v17
	s_delay_alu instid0(VALU_DEP_2) | instskip(NEXT) | instid1(VALU_DEP_1)
	v_add_nc_u32_e32 v14, -1, v16
	v_cndmask_b32_e64 v12, 0, v14, s13
	v_lshrrev_b32_e32 v14, 23, v15
	s_mov_b32 s13, exec_lo
	s_delay_alu instid0(VALU_DEP_2) | instskip(NEXT) | instid1(VALU_DEP_2)
	v_add_nc_u32_e32 v12, v12, v15
	v_xor_b32_e32 v14, 1, v14
	s_delay_alu instid0(VALU_DEP_2) | instskip(NEXT) | instid1(VALU_DEP_1)
	v_and_b32_e32 v9, 0x1fffff, v12
	v_add_nc_u32_e32 v12, v9, v15
                                        ; implicit-def: $vgpr9
	s_delay_alu instid0(VALU_DEP_3)
	v_cmpx_ne_u32_e64 v13, v14
	s_xor_b32 s13, exec_lo, s13
; %bb.8382:                             ;   in Loop: Header=BB6_8078 Depth=3
	s_delay_alu instid0(VALU_DEP_2) | instskip(SKIP_2) | instid1(VALU_DEP_2)
	v_cmp_lt_u32_e32 vcc_lo, 0xffffff, v12
	v_sub_nc_u32_e32 v9, v13, v14
	v_cndmask_b32_e64 v13, 0, 1, vcc_lo
	v_add_co_ci_u32_e32 v9, vcc_lo, 0, v9, vcc_lo
	s_delay_alu instid0(VALU_DEP_2)
	v_lshrrev_b32_e32 v12, v13, v12
; %bb.8383:                             ;   in Loop: Header=BB6_8078 Depth=3
	s_and_not1_saveexec_b32 s13, s13
; %bb.8384:                             ;   in Loop: Header=BB6_8078 Depth=3
	s_delay_alu instid0(VALU_DEP_1)
	v_bfe_u32 v9, v12, 23, 1
; %bb.8385:                             ;   in Loop: Header=BB6_8078 Depth=3
	s_or_b32 exec_lo, exec_lo, s13
	v_lshrrev_b32_e32 v12, 21, v12
	s_delay_alu instid0(VALU_DEP_2) | instskip(SKIP_2) | instid1(VALU_DEP_4)
	v_cmp_gt_i32_e32 vcc_lo, 32, v9
	v_lshrrev_b32_e32 v8, 24, v8
	v_min_i32_e32 v13, 31, v9
	v_cndmask_b32_e32 v12, 3, v12, vcc_lo
	s_delay_alu instid0(VALU_DEP_3) | instskip(NEXT) | instid1(VALU_DEP_3)
	v_and_b32_e32 v8, 0x80, v8
	v_lshlrev_b32_e32 v13, 2, v13
	s_delay_alu instid0(VALU_DEP_3) | instskip(SKIP_1) | instid1(VALU_DEP_2)
	v_and_b32_e32 v14, 3, v12
	v_or_b32_e32 v9, v9, v12
	v_or3_b32 v8, v13, v8, v14
	s_delay_alu instid0(VALU_DEP_2) | instskip(NEXT) | instid1(VALU_DEP_2)
	v_cmp_ne_u32_e32 vcc_lo, 0, v9
	v_cndmask_b32_e32 v105, 0, v8, vcc_lo
.LBB6_8386:                             ;   in Loop: Header=BB6_8078 Depth=3
	s_or_b32 exec_lo, exec_lo, s31
.LBB6_8387:                             ;   in Loop: Header=BB6_8078 Depth=3
	s_delay_alu instid0(SALU_CYCLE_1) | instskip(SKIP_3) | instid1(VALU_DEP_1)
	s_or_b32 exec_lo, exec_lo, s30
	v_lshrrev_b16 v8, 8, v10
	s_mov_b32 s13, 0
	s_mov_b32 s31, exec_lo
                                        ; implicit-def: $sgpr30
	v_cmpx_lt_i16_e32 0x7f, v8
	s_xor_b32 s31, exec_lo, s31
	s_cbranch_execnz .LBB6_9977
; %bb.8388:                             ;   in Loop: Header=BB6_8078 Depth=3
	s_or_saveexec_b32 s31, s31
	v_mov_b32_e32 v9, s30
	s_xor_b32 exec_lo, exec_lo, s31
	s_cbranch_execnz .LBB6_9980
.LBB6_8389:                             ;   in Loop: Header=BB6_8078 Depth=3
	s_or_b32 exec_lo, exec_lo, s31
	s_and_saveexec_b32 s30, s13
	s_cbranch_execz .LBB6_8391
.LBB6_8390:                             ;   in Loop: Header=BB6_8078 Depth=3
	v_and_b32_e32 v9, 0xffff, v8
	v_lshlrev_b32_e32 v8, 24, v8
	s_delay_alu instid0(VALU_DEP_2) | instskip(NEXT) | instid1(VALU_DEP_2)
	v_and_b32_e32 v12, 3, v9
	v_and_b32_e32 v8, 0x80000000, v8
	s_delay_alu instid0(VALU_DEP_2) | instskip(NEXT) | instid1(VALU_DEP_1)
	v_clz_i32_u32_e32 v13, v12
	v_min_u32_e32 v13, 32, v13
	s_delay_alu instid0(VALU_DEP_1) | instskip(SKIP_1) | instid1(VALU_DEP_2)
	v_subrev_nc_u32_e32 v14, 29, v13
	v_sub_nc_u32_e32 v13, 30, v13
	v_lshlrev_b32_e32 v14, v14, v9
	v_bfe_u32 v9, v9, 2, 5
	s_delay_alu instid0(VALU_DEP_1) | instskip(NEXT) | instid1(VALU_DEP_3)
	v_cmp_eq_u32_e32 vcc_lo, 0, v9
	v_dual_cndmask_b32 v9, v9, v13 :: v_dual_and_b32 v14, 3, v14
	s_delay_alu instid0(VALU_DEP_1) | instskip(NEXT) | instid1(VALU_DEP_2)
	v_cndmask_b32_e32 v12, v12, v14, vcc_lo
	v_lshl_add_u32 v9, v9, 23, 0x37800000
	s_delay_alu instid0(VALU_DEP_2) | instskip(NEXT) | instid1(VALU_DEP_1)
	v_lshlrev_b32_e32 v12, 21, v12
	v_or3_b32 v9, v8, v9, v12
.LBB6_8391:                             ;   in Loop: Header=BB6_8078 Depth=3
	s_or_b32 exec_lo, exec_lo, s30
	s_delay_alu instid0(VALU_DEP_1) | instskip(SKIP_1) | instid1(VALU_DEP_1)
	v_dual_mul_f32 v8, s17, v9 :: v_dual_mov_b32 v95, 0x80
	s_mov_b32 s30, exec_lo
	v_and_b32_e32 v9, 0x7f800000, v8
	s_delay_alu instid0(VALU_DEP_1)
	v_cmpx_ne_u32_e32 0x7f800000, v9
	s_cbranch_execz .LBB6_8399
; %bb.8392:                             ;   in Loop: Header=BB6_8078 Depth=3
	v_mov_b32_e32 v95, 0
	s_mov_b32 s31, exec_lo
	v_cmpx_ne_u32_e32 0, v8
	s_cbranch_execz .LBB6_8398
; %bb.8393:                             ;   in Loop: Header=BB6_8078 Depth=3
	v_bfe_u32 v9, v8, 23, 8
	s_delay_alu instid0(VALU_DEP_1) | instskip(SKIP_1) | instid1(VALU_DEP_2)
	v_sub_nc_u32_e32 v13, 0x70, v9
	v_cmp_gt_u32_e32 vcc_lo, 0x71, v9
	v_dual_cndmask_b32 v13, 0, v13 :: v_dual_and_b32 v12, 0x7fffff, v8
	s_delay_alu instid0(VALU_DEP_1) | instskip(SKIP_2) | instid1(VALU_DEP_4)
	v_or_b32_e32 v14, 0x800000, v12
	v_cmp_eq_u32_e32 vcc_lo, 0, v9
	v_add_nc_u32_e32 v9, 0xffffff91, v9
	v_cndmask_b32_e64 v13, v13, 0x6f, vcc_lo
	s_delay_alu instid0(VALU_DEP_4) | instskip(NEXT) | instid1(VALU_DEP_3)
	v_cndmask_b32_e32 v12, v14, v12, vcc_lo
	v_cndmask_b32_e64 v9, v9, 0xffffff92, vcc_lo
	s_delay_alu instid0(VALU_DEP_3) | instskip(NEXT) | instid1(VALU_DEP_3)
	v_lshl_add_u32 v14, 0x200000, v13, -1
	v_lshrrev_b32_e32 v15, v13, v12
	v_lshlrev_b32_e64 v17, v13, 0x100000
	s_delay_alu instid0(VALU_DEP_4) | instskip(NEXT) | instid1(VALU_DEP_4)
	v_add_nc_u32_e32 v13, v13, v9
	v_and_b32_e32 v12, v14, v12
	s_delay_alu instid0(VALU_DEP_4) | instskip(NEXT) | instid1(VALU_DEP_2)
	v_bfe_u32 v16, v15, 21, 1
	v_cmp_eq_u32_e64 s13, v12, v17
	s_delay_alu instid0(VALU_DEP_2) | instskip(NEXT) | instid1(VALU_DEP_1)
	v_add_nc_u32_e32 v14, -1, v16
	v_cndmask_b32_e64 v12, 0, v14, s13
	v_lshrrev_b32_e32 v14, 23, v15
	s_mov_b32 s13, exec_lo
	s_delay_alu instid0(VALU_DEP_2) | instskip(NEXT) | instid1(VALU_DEP_2)
	v_add_nc_u32_e32 v12, v12, v15
	v_xor_b32_e32 v14, 1, v14
	s_delay_alu instid0(VALU_DEP_2) | instskip(NEXT) | instid1(VALU_DEP_1)
	v_and_b32_e32 v9, 0x1fffff, v12
	v_add_nc_u32_e32 v12, v9, v15
                                        ; implicit-def: $vgpr9
	s_delay_alu instid0(VALU_DEP_3)
	v_cmpx_ne_u32_e64 v13, v14
	s_xor_b32 s13, exec_lo, s13
; %bb.8394:                             ;   in Loop: Header=BB6_8078 Depth=3
	s_delay_alu instid0(VALU_DEP_2) | instskip(SKIP_2) | instid1(VALU_DEP_2)
	v_cmp_lt_u32_e32 vcc_lo, 0xffffff, v12
	v_sub_nc_u32_e32 v9, v13, v14
	v_cndmask_b32_e64 v13, 0, 1, vcc_lo
	v_add_co_ci_u32_e32 v9, vcc_lo, 0, v9, vcc_lo
	s_delay_alu instid0(VALU_DEP_2)
	v_lshrrev_b32_e32 v12, v13, v12
; %bb.8395:                             ;   in Loop: Header=BB6_8078 Depth=3
	s_and_not1_saveexec_b32 s13, s13
; %bb.8396:                             ;   in Loop: Header=BB6_8078 Depth=3
	s_delay_alu instid0(VALU_DEP_1)
	v_bfe_u32 v9, v12, 23, 1
; %bb.8397:                             ;   in Loop: Header=BB6_8078 Depth=3
	s_or_b32 exec_lo, exec_lo, s13
	v_lshrrev_b32_e32 v12, 21, v12
	s_delay_alu instid0(VALU_DEP_2) | instskip(SKIP_2) | instid1(VALU_DEP_4)
	v_cmp_gt_i32_e32 vcc_lo, 32, v9
	v_lshrrev_b32_e32 v8, 24, v8
	v_min_i32_e32 v13, 31, v9
	v_cndmask_b32_e32 v12, 3, v12, vcc_lo
	s_delay_alu instid0(VALU_DEP_3) | instskip(NEXT) | instid1(VALU_DEP_3)
	v_and_b32_e32 v8, 0x80, v8
	v_lshlrev_b32_e32 v13, 2, v13
	s_delay_alu instid0(VALU_DEP_3) | instskip(SKIP_1) | instid1(VALU_DEP_2)
	v_and_b32_e32 v14, 3, v12
	v_or_b32_e32 v9, v9, v12
	v_or3_b32 v8, v13, v8, v14
	s_delay_alu instid0(VALU_DEP_2) | instskip(NEXT) | instid1(VALU_DEP_2)
	v_cmp_ne_u32_e32 vcc_lo, 0, v9
	v_cndmask_b32_e32 v95, 0, v8, vcc_lo
.LBB6_8398:                             ;   in Loop: Header=BB6_8078 Depth=3
	s_or_b32 exec_lo, exec_lo, s31
.LBB6_8399:                             ;   in Loop: Header=BB6_8078 Depth=3
	s_delay_alu instid0(SALU_CYCLE_1) | instskip(SKIP_3) | instid1(VALU_DEP_1)
	s_or_b32 exec_lo, exec_lo, s30
	v_lshrrev_b32_e32 v8, 16, v10
	s_mov_b32 s13, 0
	s_mov_b32 s31, exec_lo
                                        ; implicit-def: $sgpr30
	v_and_b32_e32 v12, 0xff, v8
	s_delay_alu instid0(VALU_DEP_1)
	v_cmpx_lt_i16_e32 0x7f, v12
	s_xor_b32 s31, exec_lo, s31
	s_cbranch_execnz .LBB6_9981
; %bb.8400:                             ;   in Loop: Header=BB6_8078 Depth=3
	s_or_saveexec_b32 s31, s31
	v_mov_b32_e32 v9, s30
	s_xor_b32 exec_lo, exec_lo, s31
	s_cbranch_execnz .LBB6_9984
.LBB6_8401:                             ;   in Loop: Header=BB6_8078 Depth=3
	s_or_b32 exec_lo, exec_lo, s31
	s_and_saveexec_b32 s30, s13
	s_cbranch_execz .LBB6_8403
.LBB6_8402:                             ;   in Loop: Header=BB6_8078 Depth=3
	v_bfe_u32 v9, v10, 16, 2
	v_lshlrev_b32_e32 v14, 8, v10
	s_delay_alu instid0(VALU_DEP_2) | instskip(NEXT) | instid1(VALU_DEP_1)
	v_clz_i32_u32_e32 v12, v9
	v_min_u32_e32 v12, 32, v12
	s_delay_alu instid0(VALU_DEP_1) | instskip(SKIP_1) | instid1(VALU_DEP_2)
	v_subrev_nc_u32_e32 v13, 29, v12
	v_sub_nc_u32_e32 v12, 30, v12
	v_lshlrev_b32_e32 v8, v13, v8
	v_bfe_u32 v13, v10, 18, 5
	s_delay_alu instid0(VALU_DEP_2) | instskip(NEXT) | instid1(VALU_DEP_2)
	v_and_b32_e32 v8, 3, v8
	v_cmp_eq_u32_e32 vcc_lo, 0, v13
	v_cndmask_b32_e32 v12, v13, v12, vcc_lo
	s_delay_alu instid0(VALU_DEP_3) | instskip(NEXT) | instid1(VALU_DEP_2)
	v_dual_cndmask_b32 v8, v9, v8 :: v_dual_and_b32 v9, 0x80000000, v14
	v_lshl_add_u32 v12, v12, 23, 0x37800000
	s_delay_alu instid0(VALU_DEP_2) | instskip(NEXT) | instid1(VALU_DEP_1)
	v_lshlrev_b32_e32 v8, 21, v8
	v_or3_b32 v9, v9, v12, v8
.LBB6_8403:                             ;   in Loop: Header=BB6_8078 Depth=3
	s_or_b32 exec_lo, exec_lo, s30
	s_delay_alu instid0(VALU_DEP_1) | instskip(SKIP_2) | instid1(VALU_DEP_2)
	v_mul_f32_e32 v8, s17, v9
	v_mov_b32_e32 v94, 0x80
	s_mov_b32 s30, exec_lo
	v_and_b32_e32 v9, 0x7f800000, v8
	s_delay_alu instid0(VALU_DEP_1)
	v_cmpx_ne_u32_e32 0x7f800000, v9
	s_cbranch_execz .LBB6_8411
; %bb.8404:                             ;   in Loop: Header=BB6_8078 Depth=3
	v_mov_b32_e32 v94, 0
	s_mov_b32 s31, exec_lo
	v_cmpx_ne_u32_e32 0, v8
	s_cbranch_execz .LBB6_8410
; %bb.8405:                             ;   in Loop: Header=BB6_8078 Depth=3
	v_bfe_u32 v9, v8, 23, 8
	s_delay_alu instid0(VALU_DEP_1) | instskip(SKIP_1) | instid1(VALU_DEP_2)
	v_sub_nc_u32_e32 v13, 0x70, v9
	v_cmp_gt_u32_e32 vcc_lo, 0x71, v9
	v_dual_cndmask_b32 v13, 0, v13 :: v_dual_and_b32 v12, 0x7fffff, v8
	s_delay_alu instid0(VALU_DEP_1) | instskip(SKIP_2) | instid1(VALU_DEP_4)
	v_or_b32_e32 v14, 0x800000, v12
	v_cmp_eq_u32_e32 vcc_lo, 0, v9
	v_add_nc_u32_e32 v9, 0xffffff91, v9
	v_cndmask_b32_e64 v13, v13, 0x6f, vcc_lo
	s_delay_alu instid0(VALU_DEP_4) | instskip(NEXT) | instid1(VALU_DEP_3)
	v_cndmask_b32_e32 v12, v14, v12, vcc_lo
	v_cndmask_b32_e64 v9, v9, 0xffffff92, vcc_lo
	s_delay_alu instid0(VALU_DEP_3) | instskip(NEXT) | instid1(VALU_DEP_3)
	v_lshl_add_u32 v14, 0x200000, v13, -1
	v_lshrrev_b32_e32 v15, v13, v12
	v_lshlrev_b32_e64 v17, v13, 0x100000
	s_delay_alu instid0(VALU_DEP_4) | instskip(NEXT) | instid1(VALU_DEP_4)
	v_add_nc_u32_e32 v13, v13, v9
	v_and_b32_e32 v12, v14, v12
	s_delay_alu instid0(VALU_DEP_4) | instskip(NEXT) | instid1(VALU_DEP_2)
	v_bfe_u32 v16, v15, 21, 1
	v_cmp_eq_u32_e64 s13, v12, v17
	s_delay_alu instid0(VALU_DEP_2) | instskip(NEXT) | instid1(VALU_DEP_1)
	v_add_nc_u32_e32 v14, -1, v16
	v_cndmask_b32_e64 v12, 0, v14, s13
	v_lshrrev_b32_e32 v14, 23, v15
	s_mov_b32 s13, exec_lo
	s_delay_alu instid0(VALU_DEP_2) | instskip(NEXT) | instid1(VALU_DEP_2)
	v_add_nc_u32_e32 v12, v12, v15
	v_xor_b32_e32 v14, 1, v14
	s_delay_alu instid0(VALU_DEP_2) | instskip(NEXT) | instid1(VALU_DEP_1)
	v_and_b32_e32 v9, 0x1fffff, v12
	v_add_nc_u32_e32 v12, v9, v15
                                        ; implicit-def: $vgpr9
	s_delay_alu instid0(VALU_DEP_3)
	v_cmpx_ne_u32_e64 v13, v14
	s_xor_b32 s13, exec_lo, s13
; %bb.8406:                             ;   in Loop: Header=BB6_8078 Depth=3
	s_delay_alu instid0(VALU_DEP_2) | instskip(SKIP_2) | instid1(VALU_DEP_2)
	v_cmp_lt_u32_e32 vcc_lo, 0xffffff, v12
	v_sub_nc_u32_e32 v9, v13, v14
	v_cndmask_b32_e64 v13, 0, 1, vcc_lo
	v_add_co_ci_u32_e32 v9, vcc_lo, 0, v9, vcc_lo
	s_delay_alu instid0(VALU_DEP_2)
	v_lshrrev_b32_e32 v12, v13, v12
; %bb.8407:                             ;   in Loop: Header=BB6_8078 Depth=3
	s_and_not1_saveexec_b32 s13, s13
; %bb.8408:                             ;   in Loop: Header=BB6_8078 Depth=3
	s_delay_alu instid0(VALU_DEP_1)
	v_bfe_u32 v9, v12, 23, 1
; %bb.8409:                             ;   in Loop: Header=BB6_8078 Depth=3
	s_or_b32 exec_lo, exec_lo, s13
	v_lshrrev_b32_e32 v12, 21, v12
	s_delay_alu instid0(VALU_DEP_2) | instskip(SKIP_2) | instid1(VALU_DEP_4)
	v_cmp_gt_i32_e32 vcc_lo, 32, v9
	v_lshrrev_b32_e32 v8, 24, v8
	v_min_i32_e32 v13, 31, v9
	v_cndmask_b32_e32 v12, 3, v12, vcc_lo
	s_delay_alu instid0(VALU_DEP_3) | instskip(NEXT) | instid1(VALU_DEP_3)
	v_and_b32_e32 v8, 0x80, v8
	v_lshlrev_b32_e32 v13, 2, v13
	s_delay_alu instid0(VALU_DEP_3) | instskip(SKIP_1) | instid1(VALU_DEP_2)
	v_and_b32_e32 v14, 3, v12
	v_or_b32_e32 v9, v9, v12
	v_or3_b32 v8, v13, v8, v14
	s_delay_alu instid0(VALU_DEP_2) | instskip(NEXT) | instid1(VALU_DEP_2)
	v_cmp_ne_u32_e32 vcc_lo, 0, v9
	v_cndmask_b32_e32 v94, 0, v8, vcc_lo
.LBB6_8410:                             ;   in Loop: Header=BB6_8078 Depth=3
	s_or_b32 exec_lo, exec_lo, s31
.LBB6_8411:                             ;   in Loop: Header=BB6_8078 Depth=3
	s_delay_alu instid0(SALU_CYCLE_1) | instskip(SKIP_3) | instid1(VALU_DEP_1)
	s_or_b32 exec_lo, exec_lo, s30
	v_lshrrev_b32_e32 v8, 24, v10
	s_mov_b32 s13, 0
	s_mov_b32 s31, exec_lo
                                        ; implicit-def: $sgpr30
	v_cmpx_lt_i16_e32 0x7f, v8
	s_xor_b32 s31, exec_lo, s31
	s_cbranch_execnz .LBB6_9985
; %bb.8412:                             ;   in Loop: Header=BB6_8078 Depth=3
	s_or_saveexec_b32 s31, s31
	v_mov_b32_e32 v9, s30
	s_xor_b32 exec_lo, exec_lo, s31
	s_cbranch_execnz .LBB6_9988
.LBB6_8413:                             ;   in Loop: Header=BB6_8078 Depth=3
	s_or_b32 exec_lo, exec_lo, s31
	s_and_saveexec_b32 s30, s13
	s_cbranch_execz .LBB6_8415
.LBB6_8414:                             ;   in Loop: Header=BB6_8078 Depth=3
	v_bfe_u32 v9, v10, 24, 2
	s_delay_alu instid0(VALU_DEP_1) | instskip(NEXT) | instid1(VALU_DEP_1)
	v_clz_i32_u32_e32 v12, v9
	v_min_u32_e32 v12, 32, v12
	s_delay_alu instid0(VALU_DEP_1) | instskip(SKIP_1) | instid1(VALU_DEP_2)
	v_subrev_nc_u32_e32 v13, 29, v12
	v_sub_nc_u32_e32 v12, 30, v12
	v_lshlrev_b32_e32 v8, v13, v8
	v_bfe_u32 v13, v10, 26, 5
	s_delay_alu instid0(VALU_DEP_2) | instskip(NEXT) | instid1(VALU_DEP_2)
	v_and_b32_e32 v8, 3, v8
	v_cmp_eq_u32_e32 vcc_lo, 0, v13
	v_cndmask_b32_e32 v12, v13, v12, vcc_lo
	s_delay_alu instid0(VALU_DEP_3) | instskip(NEXT) | instid1(VALU_DEP_2)
	v_dual_cndmask_b32 v8, v9, v8 :: v_dual_and_b32 v9, 0x80000000, v10
	v_lshl_add_u32 v10, v12, 23, 0x37800000
	s_delay_alu instid0(VALU_DEP_2) | instskip(NEXT) | instid1(VALU_DEP_1)
	v_lshlrev_b32_e32 v8, 21, v8
	v_or3_b32 v9, v9, v10, v8
.LBB6_8415:                             ;   in Loop: Header=BB6_8078 Depth=3
	s_or_b32 exec_lo, exec_lo, s30
	s_delay_alu instid0(VALU_DEP_1) | instskip(SKIP_2) | instid1(VALU_DEP_2)
	v_mul_f32_e32 v8, s17, v9
	v_mov_b32_e32 v92, 0x80
	s_mov_b32 s30, exec_lo
	v_and_b32_e32 v9, 0x7f800000, v8
	s_delay_alu instid0(VALU_DEP_1)
	v_cmpx_ne_u32_e32 0x7f800000, v9
	s_cbranch_execz .LBB6_8423
; %bb.8416:                             ;   in Loop: Header=BB6_8078 Depth=3
	v_mov_b32_e32 v92, 0
	s_mov_b32 s31, exec_lo
	v_cmpx_ne_u32_e32 0, v8
	s_cbranch_execz .LBB6_8422
; %bb.8417:                             ;   in Loop: Header=BB6_8078 Depth=3
	v_bfe_u32 v9, v8, 23, 8
	v_and_b32_e32 v10, 0x7fffff, v8
	s_delay_alu instid0(VALU_DEP_2) | instskip(SKIP_1) | instid1(VALU_DEP_3)
	v_sub_nc_u32_e32 v12, 0x70, v9
	v_cmp_gt_u32_e32 vcc_lo, 0x71, v9
	v_or_b32_e32 v13, 0x800000, v10
	s_delay_alu instid0(VALU_DEP_3) | instskip(SKIP_2) | instid1(VALU_DEP_3)
	v_cndmask_b32_e32 v12, 0, v12, vcc_lo
	v_cmp_eq_u32_e32 vcc_lo, 0, v9
	v_add_nc_u32_e32 v9, 0xffffff91, v9
	v_cndmask_b32_e64 v12, v12, 0x6f, vcc_lo
	v_cndmask_b32_e32 v10, v13, v10, vcc_lo
	s_delay_alu instid0(VALU_DEP_3) | instskip(NEXT) | instid1(VALU_DEP_3)
	v_cndmask_b32_e64 v9, v9, 0xffffff92, vcc_lo
	v_lshl_add_u32 v13, 0x200000, v12, -1
	s_delay_alu instid0(VALU_DEP_3) | instskip(SKIP_1) | instid1(VALU_DEP_4)
	v_lshrrev_b32_e32 v14, v12, v10
	v_lshlrev_b32_e64 v16, v12, 0x100000
	v_add_nc_u32_e32 v12, v12, v9
	s_delay_alu instid0(VALU_DEP_4) | instskip(NEXT) | instid1(VALU_DEP_4)
	v_and_b32_e32 v10, v13, v10
	v_bfe_u32 v15, v14, 21, 1
	s_delay_alu instid0(VALU_DEP_2) | instskip(NEXT) | instid1(VALU_DEP_2)
	v_cmp_eq_u32_e64 s13, v10, v16
	v_add_nc_u32_e32 v13, -1, v15
	s_delay_alu instid0(VALU_DEP_1) | instskip(SKIP_2) | instid1(VALU_DEP_2)
	v_cndmask_b32_e64 v10, 0, v13, s13
	v_lshrrev_b32_e32 v13, 23, v14
	s_mov_b32 s13, exec_lo
	v_add_nc_u32_e32 v10, v10, v14
	s_delay_alu instid0(VALU_DEP_2) | instskip(NEXT) | instid1(VALU_DEP_2)
	v_xor_b32_e32 v13, 1, v13
	v_and_b32_e32 v9, 0x1fffff, v10
	s_delay_alu instid0(VALU_DEP_1) | instskip(NEXT) | instid1(VALU_DEP_3)
	v_add_nc_u32_e32 v10, v9, v14
                                        ; implicit-def: $vgpr9
	v_cmpx_ne_u32_e64 v12, v13
	s_xor_b32 s13, exec_lo, s13
; %bb.8418:                             ;   in Loop: Header=BB6_8078 Depth=3
	s_delay_alu instid0(VALU_DEP_2) | instskip(SKIP_2) | instid1(VALU_DEP_2)
	v_cmp_lt_u32_e32 vcc_lo, 0xffffff, v10
	v_sub_nc_u32_e32 v9, v12, v13
	v_cndmask_b32_e64 v12, 0, 1, vcc_lo
	v_add_co_ci_u32_e32 v9, vcc_lo, 0, v9, vcc_lo
	s_delay_alu instid0(VALU_DEP_2)
	v_lshrrev_b32_e32 v10, v12, v10
; %bb.8419:                             ;   in Loop: Header=BB6_8078 Depth=3
	s_and_not1_saveexec_b32 s13, s13
; %bb.8420:                             ;   in Loop: Header=BB6_8078 Depth=3
	s_delay_alu instid0(VALU_DEP_1)
	v_bfe_u32 v9, v10, 23, 1
; %bb.8421:                             ;   in Loop: Header=BB6_8078 Depth=3
	s_or_b32 exec_lo, exec_lo, s13
	v_lshrrev_b32_e32 v10, 21, v10
	s_delay_alu instid0(VALU_DEP_2) | instskip(SKIP_2) | instid1(VALU_DEP_4)
	v_cmp_gt_i32_e32 vcc_lo, 32, v9
	v_lshrrev_b32_e32 v8, 24, v8
	v_min_i32_e32 v12, 31, v9
	v_cndmask_b32_e32 v10, 3, v10, vcc_lo
	s_delay_alu instid0(VALU_DEP_3) | instskip(NEXT) | instid1(VALU_DEP_3)
	v_and_b32_e32 v8, 0x80, v8
	v_lshlrev_b32_e32 v12, 2, v12
	s_delay_alu instid0(VALU_DEP_3) | instskip(NEXT) | instid1(VALU_DEP_1)
	v_or_b32_e32 v9, v9, v10
	v_cmp_ne_u32_e32 vcc_lo, 0, v9
	v_and_b32_e32 v13, 3, v10
	s_delay_alu instid0(VALU_DEP_1) | instskip(NEXT) | instid1(VALU_DEP_1)
	v_or3_b32 v8, v12, v8, v13
	v_cndmask_b32_e32 v92, 0, v8, vcc_lo
.LBB6_8422:                             ;   in Loop: Header=BB6_8078 Depth=3
	s_or_b32 exec_lo, exec_lo, s31
.LBB6_8423:                             ;   in Loop: Header=BB6_8078 Depth=3
	s_delay_alu instid0(SALU_CYCLE_1) | instskip(SKIP_3) | instid1(VALU_DEP_1)
	s_or_b32 exec_lo, exec_lo, s30
	v_and_b32_e32 v9, 0xff, v11
	s_mov_b32 s13, 0
	s_mov_b32 s31, exec_lo
                                        ; implicit-def: $sgpr30
	v_cmpx_lt_i16_e32 0x7f, v9
	s_xor_b32 s31, exec_lo, s31
	s_cbranch_execnz .LBB6_9989
; %bb.8424:                             ;   in Loop: Header=BB6_8078 Depth=3
	s_or_saveexec_b32 s31, s31
	v_mov_b32_e32 v8, s30
	s_xor_b32 exec_lo, exec_lo, s31
	s_cbranch_execnz .LBB6_9992
.LBB6_8425:                             ;   in Loop: Header=BB6_8078 Depth=3
	s_or_b32 exec_lo, exec_lo, s31
	s_and_saveexec_b32 s30, s13
	s_cbranch_execz .LBB6_8427
.LBB6_8426:                             ;   in Loop: Header=BB6_8078 Depth=3
	v_bfe_u32 v12, v11, 2, 5
	s_delay_alu instid0(VALU_DEP_1) | instskip(SKIP_1) | instid1(VALU_DEP_1)
	v_cmp_eq_u32_e32 vcc_lo, 0, v12
	v_and_b32_e32 v8, 3, v11
	v_clz_i32_u32_e32 v9, v8
	s_delay_alu instid0(VALU_DEP_1) | instskip(NEXT) | instid1(VALU_DEP_1)
	v_min_u32_e32 v9, 32, v9
	v_subrev_nc_u32_e32 v10, 29, v9
	v_sub_nc_u32_e32 v9, 30, v9
	s_delay_alu instid0(VALU_DEP_1) | instskip(NEXT) | instid1(VALU_DEP_1)
	v_dual_cndmask_b32 v9, v12, v9 :: v_dual_lshlrev_b32 v10, v10, v11
	v_and_b32_e32 v10, 3, v10
	v_lshlrev_b32_e32 v13, 24, v11
	s_delay_alu instid0(VALU_DEP_3) | instskip(NEXT) | instid1(VALU_DEP_3)
	v_lshl_add_u32 v9, v9, 23, 0x37800000
	v_cndmask_b32_e32 v8, v8, v10, vcc_lo
	s_delay_alu instid0(VALU_DEP_3) | instskip(NEXT) | instid1(VALU_DEP_2)
	v_and_b32_e32 v10, 0x80000000, v13
	v_lshlrev_b32_e32 v8, 21, v8
	s_delay_alu instid0(VALU_DEP_1)
	v_or3_b32 v8, v10, v9, v8
.LBB6_8427:                             ;   in Loop: Header=BB6_8078 Depth=3
	s_or_b32 exec_lo, exec_lo, s30
	s_delay_alu instid0(VALU_DEP_1) | instskip(SKIP_1) | instid1(VALU_DEP_1)
	v_dual_mul_f32 v8, s17, v8 :: v_dual_mov_b32 v91, 0x80
	s_mov_b32 s30, exec_lo
	v_and_b32_e32 v9, 0x7f800000, v8
	s_delay_alu instid0(VALU_DEP_1)
	v_cmpx_ne_u32_e32 0x7f800000, v9
	s_cbranch_execz .LBB6_8435
; %bb.8428:                             ;   in Loop: Header=BB6_8078 Depth=3
	v_mov_b32_e32 v91, 0
	s_mov_b32 s31, exec_lo
	v_cmpx_ne_u32_e32 0, v8
	s_cbranch_execz .LBB6_8434
; %bb.8429:                             ;   in Loop: Header=BB6_8078 Depth=3
	v_bfe_u32 v9, v8, 23, 8
	v_and_b32_e32 v10, 0x7fffff, v8
	s_delay_alu instid0(VALU_DEP_2) | instskip(SKIP_1) | instid1(VALU_DEP_3)
	v_sub_nc_u32_e32 v12, 0x70, v9
	v_cmp_gt_u32_e32 vcc_lo, 0x71, v9
	v_or_b32_e32 v13, 0x800000, v10
	s_delay_alu instid0(VALU_DEP_3) | instskip(SKIP_2) | instid1(VALU_DEP_3)
	v_cndmask_b32_e32 v12, 0, v12, vcc_lo
	v_cmp_eq_u32_e32 vcc_lo, 0, v9
	v_add_nc_u32_e32 v9, 0xffffff91, v9
	v_cndmask_b32_e64 v12, v12, 0x6f, vcc_lo
	v_cndmask_b32_e32 v10, v13, v10, vcc_lo
	s_delay_alu instid0(VALU_DEP_3) | instskip(NEXT) | instid1(VALU_DEP_3)
	v_cndmask_b32_e64 v9, v9, 0xffffff92, vcc_lo
	v_lshl_add_u32 v13, 0x200000, v12, -1
	s_delay_alu instid0(VALU_DEP_3) | instskip(SKIP_1) | instid1(VALU_DEP_4)
	v_lshrrev_b32_e32 v14, v12, v10
	v_lshlrev_b32_e64 v16, v12, 0x100000
	v_add_nc_u32_e32 v12, v12, v9
	s_delay_alu instid0(VALU_DEP_4) | instskip(NEXT) | instid1(VALU_DEP_4)
	v_and_b32_e32 v10, v13, v10
	v_bfe_u32 v15, v14, 21, 1
	s_delay_alu instid0(VALU_DEP_2) | instskip(NEXT) | instid1(VALU_DEP_2)
	v_cmp_eq_u32_e64 s13, v10, v16
	v_add_nc_u32_e32 v13, -1, v15
	s_delay_alu instid0(VALU_DEP_1) | instskip(SKIP_2) | instid1(VALU_DEP_2)
	v_cndmask_b32_e64 v10, 0, v13, s13
	v_lshrrev_b32_e32 v13, 23, v14
	s_mov_b32 s13, exec_lo
	v_add_nc_u32_e32 v10, v10, v14
	s_delay_alu instid0(VALU_DEP_2) | instskip(NEXT) | instid1(VALU_DEP_2)
	v_xor_b32_e32 v13, 1, v13
	v_and_b32_e32 v9, 0x1fffff, v10
	s_delay_alu instid0(VALU_DEP_1) | instskip(NEXT) | instid1(VALU_DEP_3)
	v_add_nc_u32_e32 v10, v9, v14
                                        ; implicit-def: $vgpr9
	v_cmpx_ne_u32_e64 v12, v13
	s_xor_b32 s13, exec_lo, s13
; %bb.8430:                             ;   in Loop: Header=BB6_8078 Depth=3
	s_delay_alu instid0(VALU_DEP_2) | instskip(SKIP_2) | instid1(VALU_DEP_2)
	v_cmp_lt_u32_e32 vcc_lo, 0xffffff, v10
	v_sub_nc_u32_e32 v9, v12, v13
	v_cndmask_b32_e64 v12, 0, 1, vcc_lo
	v_add_co_ci_u32_e32 v9, vcc_lo, 0, v9, vcc_lo
	s_delay_alu instid0(VALU_DEP_2)
	v_lshrrev_b32_e32 v10, v12, v10
; %bb.8431:                             ;   in Loop: Header=BB6_8078 Depth=3
	s_and_not1_saveexec_b32 s13, s13
; %bb.8432:                             ;   in Loop: Header=BB6_8078 Depth=3
	s_delay_alu instid0(VALU_DEP_1)
	v_bfe_u32 v9, v10, 23, 1
; %bb.8433:                             ;   in Loop: Header=BB6_8078 Depth=3
	s_or_b32 exec_lo, exec_lo, s13
	v_lshrrev_b32_e32 v10, 21, v10
	s_delay_alu instid0(VALU_DEP_2) | instskip(SKIP_2) | instid1(VALU_DEP_3)
	v_min_i32_e32 v12, 31, v9
	v_cmp_gt_i32_e32 vcc_lo, 32, v9
	v_lshrrev_b32_e32 v8, 24, v8
	v_lshlrev_b32_e32 v12, 2, v12
	v_cndmask_b32_e32 v10, 3, v10, vcc_lo
	s_delay_alu instid0(VALU_DEP_3) | instskip(NEXT) | instid1(VALU_DEP_3)
	v_and_b32_e32 v8, 0x80, v8
	v_and_b32_e32 v12, 0xfc, v12
	s_delay_alu instid0(VALU_DEP_3) | instskip(SKIP_1) | instid1(VALU_DEP_2)
	v_and_b32_e32 v13, 3, v10
	v_or_b32_e32 v9, v9, v10
	v_or3_b32 v8, v12, v8, v13
	s_delay_alu instid0(VALU_DEP_2) | instskip(NEXT) | instid1(VALU_DEP_2)
	v_cmp_ne_u32_e32 vcc_lo, 0, v9
	v_cndmask_b32_e32 v91, 0, v8, vcc_lo
.LBB6_8434:                             ;   in Loop: Header=BB6_8078 Depth=3
	s_or_b32 exec_lo, exec_lo, s31
.LBB6_8435:                             ;   in Loop: Header=BB6_8078 Depth=3
	s_delay_alu instid0(SALU_CYCLE_1) | instskip(SKIP_3) | instid1(VALU_DEP_1)
	s_or_b32 exec_lo, exec_lo, s30
	v_lshrrev_b16 v8, 8, v11
	s_mov_b32 s13, 0
	s_mov_b32 s31, exec_lo
                                        ; implicit-def: $sgpr30
	v_cmpx_lt_i16_e32 0x7f, v8
	s_xor_b32 s31, exec_lo, s31
	s_cbranch_execnz .LBB6_9993
; %bb.8436:                             ;   in Loop: Header=BB6_8078 Depth=3
	s_or_saveexec_b32 s31, s31
	v_mov_b32_e32 v9, s30
	s_xor_b32 exec_lo, exec_lo, s31
	s_cbranch_execnz .LBB6_9996
.LBB6_8437:                             ;   in Loop: Header=BB6_8078 Depth=3
	s_or_b32 exec_lo, exec_lo, s31
	s_and_saveexec_b32 s30, s13
	s_cbranch_execz .LBB6_8439
.LBB6_8438:                             ;   in Loop: Header=BB6_8078 Depth=3
	v_and_b32_e32 v9, 0xffff, v8
	v_lshlrev_b32_e32 v8, 24, v8
	s_delay_alu instid0(VALU_DEP_2) | instskip(NEXT) | instid1(VALU_DEP_2)
	v_and_b32_e32 v10, 3, v9
	v_and_b32_e32 v8, 0x80000000, v8
	s_delay_alu instid0(VALU_DEP_2) | instskip(NEXT) | instid1(VALU_DEP_1)
	v_clz_i32_u32_e32 v12, v10
	v_min_u32_e32 v12, 32, v12
	s_delay_alu instid0(VALU_DEP_1) | instskip(SKIP_1) | instid1(VALU_DEP_2)
	v_subrev_nc_u32_e32 v13, 29, v12
	v_sub_nc_u32_e32 v12, 30, v12
	v_lshlrev_b32_e32 v13, v13, v9
	v_bfe_u32 v9, v9, 2, 5
	s_delay_alu instid0(VALU_DEP_2) | instskip(NEXT) | instid1(VALU_DEP_2)
	v_and_b32_e32 v13, 3, v13
	v_cmp_eq_u32_e32 vcc_lo, 0, v9
	s_delay_alu instid0(VALU_DEP_2) | instskip(NEXT) | instid1(VALU_DEP_1)
	v_dual_cndmask_b32 v9, v9, v12 :: v_dual_cndmask_b32 v10, v10, v13
	v_lshl_add_u32 v9, v9, 23, 0x37800000
	s_delay_alu instid0(VALU_DEP_2) | instskip(NEXT) | instid1(VALU_DEP_1)
	v_lshlrev_b32_e32 v10, 21, v10
	v_or3_b32 v9, v8, v9, v10
.LBB6_8439:                             ;   in Loop: Header=BB6_8078 Depth=3
	s_or_b32 exec_lo, exec_lo, s30
	s_delay_alu instid0(VALU_DEP_1) | instskip(SKIP_2) | instid1(VALU_DEP_2)
	v_mul_f32_e32 v8, s17, v9
	v_mov_b32_e32 v104, 0x8000
	s_mov_b32 s30, exec_lo
	v_and_b32_e32 v9, 0x7f800000, v8
	s_delay_alu instid0(VALU_DEP_1)
	v_cmpx_ne_u32_e32 0x7f800000, v9
	s_cbranch_execz .LBB6_8447
; %bb.8440:                             ;   in Loop: Header=BB6_8078 Depth=3
	v_mov_b32_e32 v104, 0
	s_mov_b32 s31, exec_lo
	v_cmpx_ne_u32_e32 0, v8
	s_cbranch_execz .LBB6_8446
; %bb.8441:                             ;   in Loop: Header=BB6_8078 Depth=3
	v_bfe_u32 v9, v8, 23, 8
	v_and_b32_e32 v10, 0x7fffff, v8
	s_delay_alu instid0(VALU_DEP_2) | instskip(SKIP_1) | instid1(VALU_DEP_3)
	v_sub_nc_u32_e32 v12, 0x70, v9
	v_cmp_gt_u32_e32 vcc_lo, 0x71, v9
	v_or_b32_e32 v13, 0x800000, v10
	s_delay_alu instid0(VALU_DEP_3) | instskip(SKIP_2) | instid1(VALU_DEP_3)
	v_cndmask_b32_e32 v12, 0, v12, vcc_lo
	v_cmp_eq_u32_e32 vcc_lo, 0, v9
	v_add_nc_u32_e32 v9, 0xffffff91, v9
	v_cndmask_b32_e64 v12, v12, 0x6f, vcc_lo
	v_cndmask_b32_e32 v10, v13, v10, vcc_lo
	s_delay_alu instid0(VALU_DEP_3) | instskip(NEXT) | instid1(VALU_DEP_3)
	v_cndmask_b32_e64 v9, v9, 0xffffff92, vcc_lo
	v_lshl_add_u32 v13, 0x200000, v12, -1
	s_delay_alu instid0(VALU_DEP_3) | instskip(SKIP_1) | instid1(VALU_DEP_4)
	v_lshrrev_b32_e32 v14, v12, v10
	v_lshlrev_b32_e64 v16, v12, 0x100000
	v_add_nc_u32_e32 v12, v12, v9
	s_delay_alu instid0(VALU_DEP_4) | instskip(NEXT) | instid1(VALU_DEP_4)
	v_and_b32_e32 v10, v13, v10
	v_bfe_u32 v15, v14, 21, 1
	s_delay_alu instid0(VALU_DEP_2) | instskip(NEXT) | instid1(VALU_DEP_2)
	v_cmp_eq_u32_e64 s13, v10, v16
	v_add_nc_u32_e32 v13, -1, v15
	s_delay_alu instid0(VALU_DEP_1) | instskip(SKIP_2) | instid1(VALU_DEP_2)
	v_cndmask_b32_e64 v10, 0, v13, s13
	v_lshrrev_b32_e32 v13, 23, v14
	s_mov_b32 s13, exec_lo
	v_add_nc_u32_e32 v10, v10, v14
	s_delay_alu instid0(VALU_DEP_2) | instskip(NEXT) | instid1(VALU_DEP_2)
	v_xor_b32_e32 v13, 1, v13
	v_and_b32_e32 v9, 0x1fffff, v10
	s_delay_alu instid0(VALU_DEP_1) | instskip(NEXT) | instid1(VALU_DEP_3)
	v_add_nc_u32_e32 v10, v9, v14
                                        ; implicit-def: $vgpr9
	v_cmpx_ne_u32_e64 v12, v13
	s_xor_b32 s13, exec_lo, s13
; %bb.8442:                             ;   in Loop: Header=BB6_8078 Depth=3
	s_delay_alu instid0(VALU_DEP_2) | instskip(SKIP_2) | instid1(VALU_DEP_2)
	v_cmp_lt_u32_e32 vcc_lo, 0xffffff, v10
	v_sub_nc_u32_e32 v9, v12, v13
	v_cndmask_b32_e64 v12, 0, 1, vcc_lo
	v_add_co_ci_u32_e32 v9, vcc_lo, 0, v9, vcc_lo
	s_delay_alu instid0(VALU_DEP_2)
	v_lshrrev_b32_e32 v10, v12, v10
; %bb.8443:                             ;   in Loop: Header=BB6_8078 Depth=3
	s_and_not1_saveexec_b32 s13, s13
; %bb.8444:                             ;   in Loop: Header=BB6_8078 Depth=3
	s_delay_alu instid0(VALU_DEP_1)
	v_bfe_u32 v9, v10, 23, 1
; %bb.8445:                             ;   in Loop: Header=BB6_8078 Depth=3
	s_or_b32 exec_lo, exec_lo, s13
	v_lshrrev_b32_e32 v10, 21, v10
	s_delay_alu instid0(VALU_DEP_2) | instskip(SKIP_2) | instid1(VALU_DEP_4)
	v_cmp_gt_i32_e32 vcc_lo, 32, v9
	v_min_i32_e32 v12, 31, v9
	v_lshrrev_b32_e32 v8, 24, v8
	v_cndmask_b32_e32 v10, 3, v10, vcc_lo
	s_delay_alu instid0(VALU_DEP_3) | instskip(NEXT) | instid1(VALU_DEP_3)
	v_lshlrev_b32_e32 v12, 2, v12
	v_and_b32_e32 v8, 0x80, v8
	s_delay_alu instid0(VALU_DEP_3) | instskip(NEXT) | instid1(VALU_DEP_3)
	v_or_b32_e32 v9, v9, v10
	v_and_b32_e32 v12, 0xfc, v12
	s_delay_alu instid0(VALU_DEP_2) | instskip(SKIP_1) | instid1(VALU_DEP_1)
	v_cmp_ne_u32_e32 vcc_lo, 0, v9
	v_and_b32_e32 v13, 3, v10
	v_or3_b32 v8, v8, v12, v13
	s_delay_alu instid0(VALU_DEP_1) | instskip(NEXT) | instid1(VALU_DEP_1)
	v_lshlrev_b32_e32 v8, 8, v8
	v_cndmask_b32_e32 v104, 0, v8, vcc_lo
.LBB6_8446:                             ;   in Loop: Header=BB6_8078 Depth=3
	s_or_b32 exec_lo, exec_lo, s31
.LBB6_8447:                             ;   in Loop: Header=BB6_8078 Depth=3
	s_delay_alu instid0(SALU_CYCLE_1) | instskip(SKIP_3) | instid1(VALU_DEP_1)
	s_or_b32 exec_lo, exec_lo, s30
	v_lshrrev_b32_e32 v8, 16, v11
	s_mov_b32 s13, 0
	s_mov_b32 s31, exec_lo
                                        ; implicit-def: $sgpr30
	v_and_b32_e32 v10, 0xff, v8
	s_delay_alu instid0(VALU_DEP_1)
	v_cmpx_lt_i16_e32 0x7f, v10
	s_xor_b32 s31, exec_lo, s31
	s_cbranch_execnz .LBB6_9997
; %bb.8448:                             ;   in Loop: Header=BB6_8078 Depth=3
	s_or_saveexec_b32 s31, s31
	v_mov_b32_e32 v9, s30
	s_xor_b32 exec_lo, exec_lo, s31
	s_cbranch_execnz .LBB6_10000
.LBB6_8449:                             ;   in Loop: Header=BB6_8078 Depth=3
	s_or_b32 exec_lo, exec_lo, s31
	s_and_saveexec_b32 s30, s13
	s_cbranch_execz .LBB6_8451
.LBB6_8450:                             ;   in Loop: Header=BB6_8078 Depth=3
	v_bfe_u32 v9, v11, 16, 2
	s_delay_alu instid0(VALU_DEP_1) | instskip(NEXT) | instid1(VALU_DEP_1)
	v_clz_i32_u32_e32 v10, v9
	v_min_u32_e32 v10, 32, v10
	s_delay_alu instid0(VALU_DEP_1) | instskip(SKIP_1) | instid1(VALU_DEP_2)
	v_subrev_nc_u32_e32 v12, 29, v10
	v_sub_nc_u32_e32 v10, 30, v10
	v_lshlrev_b32_e32 v8, v12, v8
	v_bfe_u32 v12, v11, 18, 5
	s_delay_alu instid0(VALU_DEP_2) | instskip(NEXT) | instid1(VALU_DEP_2)
	v_and_b32_e32 v8, 3, v8
	v_cmp_eq_u32_e32 vcc_lo, 0, v12
	v_dual_cndmask_b32 v10, v12, v10 :: v_dual_lshlrev_b32 v13, 8, v11
	s_delay_alu instid0(VALU_DEP_1) | instskip(NEXT) | instid1(VALU_DEP_2)
	v_dual_cndmask_b32 v8, v9, v8 :: v_dual_and_b32 v9, 0x80000000, v13
	v_lshl_add_u32 v10, v10, 23, 0x37800000
	s_delay_alu instid0(VALU_DEP_2) | instskip(NEXT) | instid1(VALU_DEP_1)
	v_lshlrev_b32_e32 v8, 21, v8
	v_or3_b32 v9, v9, v10, v8
.LBB6_8451:                             ;   in Loop: Header=BB6_8078 Depth=3
	s_or_b32 exec_lo, exec_lo, s30
	s_delay_alu instid0(VALU_DEP_1) | instskip(SKIP_2) | instid1(VALU_DEP_2)
	v_mul_f32_e32 v8, s17, v9
	v_mov_b32_e32 v90, 0x80
	s_mov_b32 s30, exec_lo
	v_and_b32_e32 v9, 0x7f800000, v8
	s_delay_alu instid0(VALU_DEP_1)
	v_cmpx_ne_u32_e32 0x7f800000, v9
	s_cbranch_execz .LBB6_8459
; %bb.8452:                             ;   in Loop: Header=BB6_8078 Depth=3
	v_mov_b32_e32 v90, 0
	s_mov_b32 s31, exec_lo
	v_cmpx_ne_u32_e32 0, v8
	s_cbranch_execz .LBB6_8458
; %bb.8453:                             ;   in Loop: Header=BB6_8078 Depth=3
	v_bfe_u32 v9, v8, 23, 8
	v_and_b32_e32 v10, 0x7fffff, v8
	s_delay_alu instid0(VALU_DEP_2) | instskip(SKIP_1) | instid1(VALU_DEP_3)
	v_sub_nc_u32_e32 v12, 0x70, v9
	v_cmp_gt_u32_e32 vcc_lo, 0x71, v9
	v_or_b32_e32 v13, 0x800000, v10
	s_delay_alu instid0(VALU_DEP_3) | instskip(SKIP_2) | instid1(VALU_DEP_3)
	v_cndmask_b32_e32 v12, 0, v12, vcc_lo
	v_cmp_eq_u32_e32 vcc_lo, 0, v9
	v_add_nc_u32_e32 v9, 0xffffff91, v9
	v_cndmask_b32_e64 v12, v12, 0x6f, vcc_lo
	v_cndmask_b32_e32 v10, v13, v10, vcc_lo
	s_delay_alu instid0(VALU_DEP_3) | instskip(NEXT) | instid1(VALU_DEP_3)
	v_cndmask_b32_e64 v9, v9, 0xffffff92, vcc_lo
	v_lshl_add_u32 v13, 0x200000, v12, -1
	s_delay_alu instid0(VALU_DEP_3) | instskip(SKIP_1) | instid1(VALU_DEP_4)
	v_lshrrev_b32_e32 v14, v12, v10
	v_lshlrev_b32_e64 v16, v12, 0x100000
	v_add_nc_u32_e32 v12, v12, v9
	s_delay_alu instid0(VALU_DEP_4) | instskip(NEXT) | instid1(VALU_DEP_4)
	v_and_b32_e32 v10, v13, v10
	v_bfe_u32 v15, v14, 21, 1
	s_delay_alu instid0(VALU_DEP_2) | instskip(NEXT) | instid1(VALU_DEP_2)
	v_cmp_eq_u32_e64 s13, v10, v16
	v_add_nc_u32_e32 v13, -1, v15
	s_delay_alu instid0(VALU_DEP_1) | instskip(SKIP_2) | instid1(VALU_DEP_2)
	v_cndmask_b32_e64 v10, 0, v13, s13
	v_lshrrev_b32_e32 v13, 23, v14
	s_mov_b32 s13, exec_lo
	v_add_nc_u32_e32 v10, v10, v14
	s_delay_alu instid0(VALU_DEP_2) | instskip(NEXT) | instid1(VALU_DEP_2)
	v_xor_b32_e32 v13, 1, v13
	v_and_b32_e32 v9, 0x1fffff, v10
	s_delay_alu instid0(VALU_DEP_1) | instskip(NEXT) | instid1(VALU_DEP_3)
	v_add_nc_u32_e32 v10, v9, v14
                                        ; implicit-def: $vgpr9
	v_cmpx_ne_u32_e64 v12, v13
	s_xor_b32 s13, exec_lo, s13
; %bb.8454:                             ;   in Loop: Header=BB6_8078 Depth=3
	s_delay_alu instid0(VALU_DEP_2) | instskip(SKIP_2) | instid1(VALU_DEP_2)
	v_cmp_lt_u32_e32 vcc_lo, 0xffffff, v10
	v_sub_nc_u32_e32 v9, v12, v13
	v_cndmask_b32_e64 v12, 0, 1, vcc_lo
	v_add_co_ci_u32_e32 v9, vcc_lo, 0, v9, vcc_lo
	s_delay_alu instid0(VALU_DEP_2)
	v_lshrrev_b32_e32 v10, v12, v10
; %bb.8455:                             ;   in Loop: Header=BB6_8078 Depth=3
	s_and_not1_saveexec_b32 s13, s13
; %bb.8456:                             ;   in Loop: Header=BB6_8078 Depth=3
	s_delay_alu instid0(VALU_DEP_1)
	v_bfe_u32 v9, v10, 23, 1
; %bb.8457:                             ;   in Loop: Header=BB6_8078 Depth=3
	s_or_b32 exec_lo, exec_lo, s13
	v_lshrrev_b32_e32 v10, 21, v10
	s_delay_alu instid0(VALU_DEP_2) | instskip(SKIP_2) | instid1(VALU_DEP_4)
	v_cmp_gt_i32_e32 vcc_lo, 32, v9
	v_min_i32_e32 v12, 31, v9
	v_lshrrev_b32_e32 v8, 24, v8
	v_cndmask_b32_e32 v10, 3, v10, vcc_lo
	s_delay_alu instid0(VALU_DEP_3) | instskip(NEXT) | instid1(VALU_DEP_3)
	v_lshlrev_b32_e32 v12, 2, v12
	v_and_b32_e32 v8, 0x80, v8
	s_delay_alu instid0(VALU_DEP_3) | instskip(NEXT) | instid1(VALU_DEP_3)
	v_or_b32_e32 v9, v9, v10
	v_and_b32_e32 v12, 0xfc, v12
	s_delay_alu instid0(VALU_DEP_2) | instskip(SKIP_1) | instid1(VALU_DEP_1)
	v_cmp_ne_u32_e32 vcc_lo, 0, v9
	v_and_b32_e32 v13, 3, v10
	v_or3_b32 v8, v12, v8, v13
	s_delay_alu instid0(VALU_DEP_1)
	v_cndmask_b32_e32 v90, 0, v8, vcc_lo
.LBB6_8458:                             ;   in Loop: Header=BB6_8078 Depth=3
	s_or_b32 exec_lo, exec_lo, s31
.LBB6_8459:                             ;   in Loop: Header=BB6_8078 Depth=3
	s_delay_alu instid0(SALU_CYCLE_1) | instskip(SKIP_3) | instid1(VALU_DEP_1)
	s_or_b32 exec_lo, exec_lo, s30
	v_lshrrev_b32_e32 v8, 24, v11
	s_mov_b32 s13, 0
	s_mov_b32 s31, exec_lo
                                        ; implicit-def: $sgpr30
	v_cmpx_lt_i16_e32 0x7f, v8
	s_xor_b32 s31, exec_lo, s31
	s_cbranch_execnz .LBB6_10001
; %bb.8460:                             ;   in Loop: Header=BB6_8078 Depth=3
	s_or_saveexec_b32 s31, s31
	v_mov_b32_e32 v9, s30
	s_xor_b32 exec_lo, exec_lo, s31
	s_cbranch_execnz .LBB6_10004
.LBB6_8461:                             ;   in Loop: Header=BB6_8078 Depth=3
	s_or_b32 exec_lo, exec_lo, s31
	s_and_saveexec_b32 s30, s13
	s_cbranch_execz .LBB6_8463
.LBB6_8462:                             ;   in Loop: Header=BB6_8078 Depth=3
	v_bfe_u32 v9, v11, 24, 2
	s_delay_alu instid0(VALU_DEP_1) | instskip(NEXT) | instid1(VALU_DEP_1)
	v_clz_i32_u32_e32 v10, v9
	v_min_u32_e32 v10, 32, v10
	s_delay_alu instid0(VALU_DEP_1) | instskip(SKIP_1) | instid1(VALU_DEP_2)
	v_subrev_nc_u32_e32 v12, 29, v10
	v_sub_nc_u32_e32 v10, 30, v10
	v_lshlrev_b32_e32 v8, v12, v8
	v_bfe_u32 v12, v11, 26, 5
	s_delay_alu instid0(VALU_DEP_2) | instskip(NEXT) | instid1(VALU_DEP_2)
	v_and_b32_e32 v8, 3, v8
	v_cmp_eq_u32_e32 vcc_lo, 0, v12
	v_cndmask_b32_e32 v10, v12, v10, vcc_lo
	s_delay_alu instid0(VALU_DEP_3) | instskip(NEXT) | instid1(VALU_DEP_2)
	v_dual_cndmask_b32 v8, v9, v8 :: v_dual_and_b32 v9, 0x80000000, v11
	v_lshl_add_u32 v10, v10, 23, 0x37800000
	s_delay_alu instid0(VALU_DEP_2) | instskip(NEXT) | instid1(VALU_DEP_1)
	v_lshlrev_b32_e32 v8, 21, v8
	v_or3_b32 v9, v9, v10, v8
.LBB6_8463:                             ;   in Loop: Header=BB6_8078 Depth=3
	s_or_b32 exec_lo, exec_lo, s30
	s_delay_alu instid0(VALU_DEP_1) | instskip(SKIP_1) | instid1(VALU_DEP_1)
	v_dual_mul_f32 v8, s17, v9 :: v_dual_mov_b32 v93, 0x8000
	s_mov_b32 s30, exec_lo
	v_and_b32_e32 v9, 0x7f800000, v8
	s_delay_alu instid0(VALU_DEP_1)
	v_cmpx_ne_u32_e32 0x7f800000, v9
	s_cbranch_execz .LBB6_8471
; %bb.8464:                             ;   in Loop: Header=BB6_8078 Depth=3
	v_mov_b32_e32 v93, 0
	s_mov_b32 s31, exec_lo
	v_cmpx_ne_u32_e32 0, v8
	s_cbranch_execz .LBB6_8470
; %bb.8465:                             ;   in Loop: Header=BB6_8078 Depth=3
	v_bfe_u32 v9, v8, 23, 8
	s_delay_alu instid0(VALU_DEP_1) | instskip(SKIP_1) | instid1(VALU_DEP_2)
	v_sub_nc_u32_e32 v11, 0x70, v9
	v_cmp_gt_u32_e32 vcc_lo, 0x71, v9
	v_dual_cndmask_b32 v11, 0, v11 :: v_dual_and_b32 v10, 0x7fffff, v8
	s_delay_alu instid0(VALU_DEP_1) | instskip(SKIP_2) | instid1(VALU_DEP_4)
	v_or_b32_e32 v12, 0x800000, v10
	v_cmp_eq_u32_e32 vcc_lo, 0, v9
	v_add_nc_u32_e32 v9, 0xffffff91, v9
	v_cndmask_b32_e64 v11, v11, 0x6f, vcc_lo
	s_delay_alu instid0(VALU_DEP_4) | instskip(NEXT) | instid1(VALU_DEP_3)
	v_cndmask_b32_e32 v10, v12, v10, vcc_lo
	v_cndmask_b32_e64 v9, v9, 0xffffff92, vcc_lo
	s_delay_alu instid0(VALU_DEP_3) | instskip(NEXT) | instid1(VALU_DEP_3)
	v_lshl_add_u32 v12, 0x200000, v11, -1
	v_lshrrev_b32_e32 v13, v11, v10
	v_lshlrev_b32_e64 v15, v11, 0x100000
	s_delay_alu instid0(VALU_DEP_4) | instskip(NEXT) | instid1(VALU_DEP_4)
	v_add_nc_u32_e32 v11, v11, v9
	v_and_b32_e32 v10, v12, v10
	s_delay_alu instid0(VALU_DEP_4) | instskip(NEXT) | instid1(VALU_DEP_2)
	v_bfe_u32 v14, v13, 21, 1
	v_cmp_eq_u32_e64 s13, v10, v15
	s_delay_alu instid0(VALU_DEP_2) | instskip(NEXT) | instid1(VALU_DEP_1)
	v_add_nc_u32_e32 v12, -1, v14
	v_cndmask_b32_e64 v10, 0, v12, s13
	v_lshrrev_b32_e32 v12, 23, v13
	s_mov_b32 s13, exec_lo
	s_delay_alu instid0(VALU_DEP_2) | instskip(NEXT) | instid1(VALU_DEP_2)
	v_add_nc_u32_e32 v10, v10, v13
	v_xor_b32_e32 v12, 1, v12
	s_delay_alu instid0(VALU_DEP_2) | instskip(NEXT) | instid1(VALU_DEP_1)
	v_and_b32_e32 v9, 0x1fffff, v10
	v_add_nc_u32_e32 v10, v9, v13
                                        ; implicit-def: $vgpr9
	s_delay_alu instid0(VALU_DEP_3)
	v_cmpx_ne_u32_e64 v11, v12
	s_xor_b32 s13, exec_lo, s13
; %bb.8466:                             ;   in Loop: Header=BB6_8078 Depth=3
	s_delay_alu instid0(VALU_DEP_2) | instskip(SKIP_2) | instid1(VALU_DEP_2)
	v_cmp_lt_u32_e32 vcc_lo, 0xffffff, v10
	v_sub_nc_u32_e32 v9, v11, v12
	v_cndmask_b32_e64 v11, 0, 1, vcc_lo
	v_add_co_ci_u32_e32 v9, vcc_lo, 0, v9, vcc_lo
	s_delay_alu instid0(VALU_DEP_2)
	v_lshrrev_b32_e32 v10, v11, v10
; %bb.8467:                             ;   in Loop: Header=BB6_8078 Depth=3
	s_and_not1_saveexec_b32 s13, s13
; %bb.8468:                             ;   in Loop: Header=BB6_8078 Depth=3
	s_delay_alu instid0(VALU_DEP_1)
	v_bfe_u32 v9, v10, 23, 1
; %bb.8469:                             ;   in Loop: Header=BB6_8078 Depth=3
	s_or_b32 exec_lo, exec_lo, s13
	v_lshrrev_b32_e32 v10, 21, v10
	s_delay_alu instid0(VALU_DEP_2) | instskip(SKIP_2) | instid1(VALU_DEP_2)
	v_cmp_gt_i32_e32 vcc_lo, 32, v9
	v_min_i32_e32 v11, 31, v9
	v_lshrrev_b32_e32 v8, 24, v8
	v_dual_cndmask_b32 v10, 3, v10 :: v_dual_lshlrev_b32 v11, 2, v11
	s_delay_alu instid0(VALU_DEP_2) | instskip(NEXT) | instid1(VALU_DEP_2)
	v_and_b32_e32 v8, 0x80, v8
	v_or_b32_e32 v9, v9, v10
	s_delay_alu instid0(VALU_DEP_3) | instskip(NEXT) | instid1(VALU_DEP_2)
	v_and_b32_e32 v11, 0xfc, v11
	v_cmp_ne_u32_e32 vcc_lo, 0, v9
	v_and_b32_e32 v12, 3, v10
	s_delay_alu instid0(VALU_DEP_1) | instskip(NEXT) | instid1(VALU_DEP_1)
	v_or3_b32 v8, v8, v11, v12
	v_lshlrev_b32_e32 v8, 8, v8
	s_delay_alu instid0(VALU_DEP_1)
	v_cndmask_b32_e32 v93, 0, v8, vcc_lo
.LBB6_8470:                             ;   in Loop: Header=BB6_8078 Depth=3
	s_or_b32 exec_lo, exec_lo, s31
.LBB6_8471:                             ;   in Loop: Header=BB6_8078 Depth=3
	s_delay_alu instid0(SALU_CYCLE_1)
	s_or_b32 exec_lo, exec_lo, s30
	global_load_b128 v[8:11], v[69:70], off offset:1024 slc dlc
	s_mov_b32 s13, 0
	s_mov_b32 s31, exec_lo
                                        ; implicit-def: $sgpr30
	s_waitcnt vmcnt(0)
	v_and_b32_e32 v13, 0xff, v8
	s_delay_alu instid0(VALU_DEP_1)
	v_cmpx_lt_i16_e32 0x7f, v13
	s_xor_b32 s31, exec_lo, s31
	s_cbranch_execnz .LBB6_10005
; %bb.8472:                             ;   in Loop: Header=BB6_8078 Depth=3
	s_or_saveexec_b32 s31, s31
	v_mov_b32_e32 v12, s30
	s_xor_b32 exec_lo, exec_lo, s31
	s_cbranch_execnz .LBB6_10008
.LBB6_8473:                             ;   in Loop: Header=BB6_8078 Depth=3
	s_or_b32 exec_lo, exec_lo, s31
	s_and_saveexec_b32 s30, s13
	s_cbranch_execz .LBB6_8475
.LBB6_8474:                             ;   in Loop: Header=BB6_8078 Depth=3
	v_bfe_u32 v15, v8, 2, 5
	v_lshlrev_b32_e32 v16, 24, v8
	s_delay_alu instid0(VALU_DEP_2) | instskip(SKIP_1) | instid1(VALU_DEP_1)
	v_cmp_eq_u32_e32 vcc_lo, 0, v15
	v_and_b32_e32 v12, 3, v8
	v_clz_i32_u32_e32 v13, v12
	s_delay_alu instid0(VALU_DEP_1) | instskip(NEXT) | instid1(VALU_DEP_1)
	v_min_u32_e32 v13, 32, v13
	v_subrev_nc_u32_e32 v14, 29, v13
	v_sub_nc_u32_e32 v13, 30, v13
	s_delay_alu instid0(VALU_DEP_1) | instskip(NEXT) | instid1(VALU_DEP_1)
	v_dual_cndmask_b32 v13, v15, v13 :: v_dual_lshlrev_b32 v14, v14, v8
	v_and_b32_e32 v14, 3, v14
	s_delay_alu instid0(VALU_DEP_2) | instskip(NEXT) | instid1(VALU_DEP_2)
	v_lshl_add_u32 v13, v13, 23, 0x37800000
	v_cndmask_b32_e32 v12, v12, v14, vcc_lo
	v_and_b32_e32 v14, 0x80000000, v16
	s_delay_alu instid0(VALU_DEP_2) | instskip(NEXT) | instid1(VALU_DEP_1)
	v_lshlrev_b32_e32 v12, 21, v12
	v_or3_b32 v12, v14, v13, v12
.LBB6_8475:                             ;   in Loop: Header=BB6_8078 Depth=3
	s_or_b32 exec_lo, exec_lo, s30
	s_delay_alu instid0(VALU_DEP_1) | instskip(SKIP_2) | instid1(VALU_DEP_2)
	v_mul_f32_e32 v12, s17, v12
	v_mov_b32_e32 v88, 0x80
	s_mov_b32 s30, exec_lo
	v_and_b32_e32 v13, 0x7f800000, v12
	s_delay_alu instid0(VALU_DEP_1)
	v_cmpx_ne_u32_e32 0x7f800000, v13
	s_cbranch_execz .LBB6_8483
; %bb.8476:                             ;   in Loop: Header=BB6_8078 Depth=3
	v_mov_b32_e32 v88, 0
	s_mov_b32 s31, exec_lo
	v_cmpx_ne_u32_e32 0, v12
	s_cbranch_execz .LBB6_8482
; %bb.8477:                             ;   in Loop: Header=BB6_8078 Depth=3
	v_bfe_u32 v13, v12, 23, 8
	s_delay_alu instid0(VALU_DEP_1) | instskip(SKIP_1) | instid1(VALU_DEP_2)
	v_sub_nc_u32_e32 v15, 0x70, v13
	v_cmp_gt_u32_e32 vcc_lo, 0x71, v13
	v_dual_cndmask_b32 v15, 0, v15 :: v_dual_and_b32 v14, 0x7fffff, v12
	s_delay_alu instid0(VALU_DEP_1) | instskip(SKIP_2) | instid1(VALU_DEP_4)
	v_or_b32_e32 v16, 0x800000, v14
	v_cmp_eq_u32_e32 vcc_lo, 0, v13
	v_add_nc_u32_e32 v13, 0xffffff91, v13
	v_cndmask_b32_e64 v15, v15, 0x6f, vcc_lo
	s_delay_alu instid0(VALU_DEP_4) | instskip(NEXT) | instid1(VALU_DEP_3)
	v_cndmask_b32_e32 v14, v16, v14, vcc_lo
	v_cndmask_b32_e64 v13, v13, 0xffffff92, vcc_lo
	s_delay_alu instid0(VALU_DEP_3) | instskip(NEXT) | instid1(VALU_DEP_3)
	v_lshl_add_u32 v16, 0x200000, v15, -1
	v_lshrrev_b32_e32 v17, v15, v14
	v_lshlrev_b32_e64 v19, v15, 0x100000
	s_delay_alu instid0(VALU_DEP_4) | instskip(NEXT) | instid1(VALU_DEP_4)
	v_add_nc_u32_e32 v15, v15, v13
	v_and_b32_e32 v14, v16, v14
	s_delay_alu instid0(VALU_DEP_4) | instskip(NEXT) | instid1(VALU_DEP_2)
	v_bfe_u32 v18, v17, 21, 1
	v_cmp_eq_u32_e64 s13, v14, v19
	s_delay_alu instid0(VALU_DEP_2) | instskip(NEXT) | instid1(VALU_DEP_1)
	v_add_nc_u32_e32 v16, -1, v18
	v_cndmask_b32_e64 v14, 0, v16, s13
	v_lshrrev_b32_e32 v16, 23, v17
	s_mov_b32 s13, exec_lo
	s_delay_alu instid0(VALU_DEP_2) | instskip(NEXT) | instid1(VALU_DEP_2)
	v_add_nc_u32_e32 v14, v14, v17
	v_xor_b32_e32 v16, 1, v16
	s_delay_alu instid0(VALU_DEP_2) | instskip(NEXT) | instid1(VALU_DEP_1)
	v_and_b32_e32 v13, 0x1fffff, v14
	v_add_nc_u32_e32 v14, v13, v17
                                        ; implicit-def: $vgpr13
	s_delay_alu instid0(VALU_DEP_3)
	v_cmpx_ne_u32_e64 v15, v16
	s_xor_b32 s13, exec_lo, s13
; %bb.8478:                             ;   in Loop: Header=BB6_8078 Depth=3
	s_delay_alu instid0(VALU_DEP_2) | instskip(SKIP_2) | instid1(VALU_DEP_2)
	v_cmp_lt_u32_e32 vcc_lo, 0xffffff, v14
	v_sub_nc_u32_e32 v13, v15, v16
	v_cndmask_b32_e64 v15, 0, 1, vcc_lo
	v_add_co_ci_u32_e32 v13, vcc_lo, 0, v13, vcc_lo
	s_delay_alu instid0(VALU_DEP_2)
	v_lshrrev_b32_e32 v14, v15, v14
; %bb.8479:                             ;   in Loop: Header=BB6_8078 Depth=3
	s_and_not1_saveexec_b32 s13, s13
; %bb.8480:                             ;   in Loop: Header=BB6_8078 Depth=3
	s_delay_alu instid0(VALU_DEP_1)
	v_bfe_u32 v13, v14, 23, 1
; %bb.8481:                             ;   in Loop: Header=BB6_8078 Depth=3
	s_or_b32 exec_lo, exec_lo, s13
	v_lshrrev_b32_e32 v14, 21, v14
	s_delay_alu instid0(VALU_DEP_2) | instskip(SKIP_2) | instid1(VALU_DEP_4)
	v_cmp_gt_i32_e32 vcc_lo, 32, v13
	v_lshrrev_b32_e32 v12, 24, v12
	v_min_i32_e32 v15, 31, v13
	v_cndmask_b32_e32 v14, 3, v14, vcc_lo
	s_delay_alu instid0(VALU_DEP_3) | instskip(NEXT) | instid1(VALU_DEP_3)
	v_and_b32_e32 v12, 0x80, v12
	v_lshlrev_b32_e32 v15, 2, v15
	s_delay_alu instid0(VALU_DEP_3) | instskip(SKIP_1) | instid1(VALU_DEP_2)
	v_and_b32_e32 v16, 3, v14
	v_or_b32_e32 v13, v13, v14
	v_or3_b32 v12, v15, v12, v16
	s_delay_alu instid0(VALU_DEP_2) | instskip(NEXT) | instid1(VALU_DEP_2)
	v_cmp_ne_u32_e32 vcc_lo, 0, v13
	v_cndmask_b32_e32 v88, 0, v12, vcc_lo
.LBB6_8482:                             ;   in Loop: Header=BB6_8078 Depth=3
	s_or_b32 exec_lo, exec_lo, s31
.LBB6_8483:                             ;   in Loop: Header=BB6_8078 Depth=3
	s_delay_alu instid0(SALU_CYCLE_1) | instskip(SKIP_3) | instid1(VALU_DEP_1)
	s_or_b32 exec_lo, exec_lo, s30
	v_lshrrev_b16 v12, 8, v8
	s_mov_b32 s13, 0
	s_mov_b32 s31, exec_lo
                                        ; implicit-def: $sgpr30
	v_cmpx_lt_i16_e32 0x7f, v12
	s_xor_b32 s31, exec_lo, s31
	s_cbranch_execnz .LBB6_10009
; %bb.8484:                             ;   in Loop: Header=BB6_8078 Depth=3
	s_or_saveexec_b32 s31, s31
	v_mov_b32_e32 v13, s30
	s_xor_b32 exec_lo, exec_lo, s31
	s_cbranch_execnz .LBB6_10012
.LBB6_8485:                             ;   in Loop: Header=BB6_8078 Depth=3
	s_or_b32 exec_lo, exec_lo, s31
	s_and_saveexec_b32 s30, s13
	s_cbranch_execz .LBB6_8487
.LBB6_8486:                             ;   in Loop: Header=BB6_8078 Depth=3
	v_and_b32_e32 v13, 0xffff, v12
	v_lshlrev_b32_e32 v12, 24, v12
	s_delay_alu instid0(VALU_DEP_2) | instskip(NEXT) | instid1(VALU_DEP_2)
	v_and_b32_e32 v14, 3, v13
	v_and_b32_e32 v12, 0x80000000, v12
	s_delay_alu instid0(VALU_DEP_2) | instskip(NEXT) | instid1(VALU_DEP_1)
	v_clz_i32_u32_e32 v15, v14
	v_min_u32_e32 v15, 32, v15
	s_delay_alu instid0(VALU_DEP_1) | instskip(SKIP_1) | instid1(VALU_DEP_2)
	v_subrev_nc_u32_e32 v16, 29, v15
	v_sub_nc_u32_e32 v15, 30, v15
	v_lshlrev_b32_e32 v16, v16, v13
	v_bfe_u32 v13, v13, 2, 5
	s_delay_alu instid0(VALU_DEP_2) | instskip(NEXT) | instid1(VALU_DEP_2)
	v_and_b32_e32 v16, 3, v16
	v_cmp_eq_u32_e32 vcc_lo, 0, v13
	s_delay_alu instid0(VALU_DEP_2) | instskip(NEXT) | instid1(VALU_DEP_1)
	v_dual_cndmask_b32 v13, v13, v15 :: v_dual_cndmask_b32 v14, v14, v16
	v_lshl_add_u32 v13, v13, 23, 0x37800000
	s_delay_alu instid0(VALU_DEP_2) | instskip(NEXT) | instid1(VALU_DEP_1)
	v_lshlrev_b32_e32 v14, 21, v14
	v_or3_b32 v13, v12, v13, v14
.LBB6_8487:                             ;   in Loop: Header=BB6_8078 Depth=3
	s_or_b32 exec_lo, exec_lo, s30
	s_delay_alu instid0(VALU_DEP_1) | instskip(SKIP_2) | instid1(VALU_DEP_2)
	v_mul_f32_e32 v12, s17, v13
	v_mov_b32_e32 v78, 0x80
	s_mov_b32 s30, exec_lo
	v_and_b32_e32 v13, 0x7f800000, v12
	s_delay_alu instid0(VALU_DEP_1)
	v_cmpx_ne_u32_e32 0x7f800000, v13
	s_cbranch_execz .LBB6_8495
; %bb.8488:                             ;   in Loop: Header=BB6_8078 Depth=3
	v_mov_b32_e32 v78, 0
	s_mov_b32 s31, exec_lo
	v_cmpx_ne_u32_e32 0, v12
	s_cbranch_execz .LBB6_8494
; %bb.8489:                             ;   in Loop: Header=BB6_8078 Depth=3
	v_bfe_u32 v13, v12, 23, 8
	s_delay_alu instid0(VALU_DEP_1) | instskip(SKIP_1) | instid1(VALU_DEP_2)
	v_sub_nc_u32_e32 v15, 0x70, v13
	v_cmp_gt_u32_e32 vcc_lo, 0x71, v13
	v_dual_cndmask_b32 v15, 0, v15 :: v_dual_and_b32 v14, 0x7fffff, v12
	s_delay_alu instid0(VALU_DEP_1) | instskip(SKIP_2) | instid1(VALU_DEP_4)
	v_or_b32_e32 v16, 0x800000, v14
	v_cmp_eq_u32_e32 vcc_lo, 0, v13
	v_add_nc_u32_e32 v13, 0xffffff91, v13
	v_cndmask_b32_e64 v15, v15, 0x6f, vcc_lo
	s_delay_alu instid0(VALU_DEP_4) | instskip(NEXT) | instid1(VALU_DEP_3)
	v_cndmask_b32_e32 v14, v16, v14, vcc_lo
	v_cndmask_b32_e64 v13, v13, 0xffffff92, vcc_lo
	s_delay_alu instid0(VALU_DEP_3) | instskip(NEXT) | instid1(VALU_DEP_3)
	v_lshl_add_u32 v16, 0x200000, v15, -1
	v_lshrrev_b32_e32 v17, v15, v14
	v_lshlrev_b32_e64 v19, v15, 0x100000
	s_delay_alu instid0(VALU_DEP_4) | instskip(NEXT) | instid1(VALU_DEP_4)
	v_add_nc_u32_e32 v15, v15, v13
	v_and_b32_e32 v14, v16, v14
	s_delay_alu instid0(VALU_DEP_4) | instskip(NEXT) | instid1(VALU_DEP_2)
	v_bfe_u32 v18, v17, 21, 1
	v_cmp_eq_u32_e64 s13, v14, v19
	s_delay_alu instid0(VALU_DEP_2) | instskip(NEXT) | instid1(VALU_DEP_1)
	v_add_nc_u32_e32 v16, -1, v18
	v_cndmask_b32_e64 v14, 0, v16, s13
	v_lshrrev_b32_e32 v16, 23, v17
	s_mov_b32 s13, exec_lo
	s_delay_alu instid0(VALU_DEP_2) | instskip(NEXT) | instid1(VALU_DEP_2)
	v_add_nc_u32_e32 v14, v14, v17
	v_xor_b32_e32 v16, 1, v16
	s_delay_alu instid0(VALU_DEP_2) | instskip(NEXT) | instid1(VALU_DEP_1)
	v_and_b32_e32 v13, 0x1fffff, v14
	v_add_nc_u32_e32 v14, v13, v17
                                        ; implicit-def: $vgpr13
	s_delay_alu instid0(VALU_DEP_3)
	v_cmpx_ne_u32_e64 v15, v16
	s_xor_b32 s13, exec_lo, s13
; %bb.8490:                             ;   in Loop: Header=BB6_8078 Depth=3
	s_delay_alu instid0(VALU_DEP_2) | instskip(SKIP_2) | instid1(VALU_DEP_2)
	v_cmp_lt_u32_e32 vcc_lo, 0xffffff, v14
	v_sub_nc_u32_e32 v13, v15, v16
	v_cndmask_b32_e64 v15, 0, 1, vcc_lo
	v_add_co_ci_u32_e32 v13, vcc_lo, 0, v13, vcc_lo
	s_delay_alu instid0(VALU_DEP_2)
	v_lshrrev_b32_e32 v14, v15, v14
; %bb.8491:                             ;   in Loop: Header=BB6_8078 Depth=3
	s_and_not1_saveexec_b32 s13, s13
; %bb.8492:                             ;   in Loop: Header=BB6_8078 Depth=3
	s_delay_alu instid0(VALU_DEP_1)
	v_bfe_u32 v13, v14, 23, 1
; %bb.8493:                             ;   in Loop: Header=BB6_8078 Depth=3
	s_or_b32 exec_lo, exec_lo, s13
	v_lshrrev_b32_e32 v14, 21, v14
	s_delay_alu instid0(VALU_DEP_2) | instskip(SKIP_2) | instid1(VALU_DEP_4)
	v_cmp_gt_i32_e32 vcc_lo, 32, v13
	v_lshrrev_b32_e32 v12, 24, v12
	v_min_i32_e32 v15, 31, v13
	v_cndmask_b32_e32 v14, 3, v14, vcc_lo
	s_delay_alu instid0(VALU_DEP_3) | instskip(NEXT) | instid1(VALU_DEP_3)
	v_and_b32_e32 v12, 0x80, v12
	v_lshlrev_b32_e32 v15, 2, v15
	s_delay_alu instid0(VALU_DEP_3) | instskip(SKIP_1) | instid1(VALU_DEP_2)
	v_and_b32_e32 v16, 3, v14
	v_or_b32_e32 v13, v13, v14
	v_or3_b32 v12, v15, v12, v16
	s_delay_alu instid0(VALU_DEP_2) | instskip(NEXT) | instid1(VALU_DEP_2)
	v_cmp_ne_u32_e32 vcc_lo, 0, v13
	v_cndmask_b32_e32 v78, 0, v12, vcc_lo
.LBB6_8494:                             ;   in Loop: Header=BB6_8078 Depth=3
	s_or_b32 exec_lo, exec_lo, s31
.LBB6_8495:                             ;   in Loop: Header=BB6_8078 Depth=3
	s_delay_alu instid0(SALU_CYCLE_1) | instskip(SKIP_3) | instid1(VALU_DEP_1)
	s_or_b32 exec_lo, exec_lo, s30
	v_lshrrev_b32_e32 v12, 16, v8
	s_mov_b32 s13, 0
	s_mov_b32 s31, exec_lo
                                        ; implicit-def: $sgpr30
	v_and_b32_e32 v14, 0xff, v12
	s_delay_alu instid0(VALU_DEP_1)
	v_cmpx_lt_i16_e32 0x7f, v14
	s_xor_b32 s31, exec_lo, s31
	s_cbranch_execnz .LBB6_10013
; %bb.8496:                             ;   in Loop: Header=BB6_8078 Depth=3
	s_or_saveexec_b32 s31, s31
	v_mov_b32_e32 v13, s30
	s_xor_b32 exec_lo, exec_lo, s31
	s_cbranch_execnz .LBB6_10016
.LBB6_8497:                             ;   in Loop: Header=BB6_8078 Depth=3
	s_or_b32 exec_lo, exec_lo, s31
	s_and_saveexec_b32 s30, s13
	s_cbranch_execz .LBB6_8499
.LBB6_8498:                             ;   in Loop: Header=BB6_8078 Depth=3
	v_bfe_u32 v13, v8, 16, 2
	v_lshlrev_b32_e32 v16, 8, v8
	s_delay_alu instid0(VALU_DEP_2) | instskip(NEXT) | instid1(VALU_DEP_1)
	v_clz_i32_u32_e32 v14, v13
	v_min_u32_e32 v14, 32, v14
	s_delay_alu instid0(VALU_DEP_1) | instskip(SKIP_1) | instid1(VALU_DEP_2)
	v_subrev_nc_u32_e32 v15, 29, v14
	v_sub_nc_u32_e32 v14, 30, v14
	v_lshlrev_b32_e32 v12, v15, v12
	v_bfe_u32 v15, v8, 18, 5
	s_delay_alu instid0(VALU_DEP_2) | instskip(NEXT) | instid1(VALU_DEP_2)
	v_and_b32_e32 v12, 3, v12
	v_cmp_eq_u32_e32 vcc_lo, 0, v15
	v_cndmask_b32_e32 v14, v15, v14, vcc_lo
	s_delay_alu instid0(VALU_DEP_3) | instskip(SKIP_1) | instid1(VALU_DEP_3)
	v_cndmask_b32_e32 v12, v13, v12, vcc_lo
	v_and_b32_e32 v13, 0x80000000, v16
	v_lshl_add_u32 v14, v14, 23, 0x37800000
	s_delay_alu instid0(VALU_DEP_3) | instskip(NEXT) | instid1(VALU_DEP_1)
	v_lshlrev_b32_e32 v12, 21, v12
	v_or3_b32 v13, v13, v14, v12
.LBB6_8499:                             ;   in Loop: Header=BB6_8078 Depth=3
	s_or_b32 exec_lo, exec_lo, s30
	s_delay_alu instid0(VALU_DEP_1) | instskip(SKIP_2) | instid1(VALU_DEP_2)
	v_mul_f32_e32 v12, s17, v13
	v_mov_b32_e32 v76, 0x80
	s_mov_b32 s30, exec_lo
	v_and_b32_e32 v13, 0x7f800000, v12
	s_delay_alu instid0(VALU_DEP_1)
	v_cmpx_ne_u32_e32 0x7f800000, v13
	s_cbranch_execz .LBB6_8507
; %bb.8500:                             ;   in Loop: Header=BB6_8078 Depth=3
	v_mov_b32_e32 v76, 0
	s_mov_b32 s31, exec_lo
	v_cmpx_ne_u32_e32 0, v12
	s_cbranch_execz .LBB6_8506
; %bb.8501:                             ;   in Loop: Header=BB6_8078 Depth=3
	v_bfe_u32 v13, v12, 23, 8
	s_delay_alu instid0(VALU_DEP_1) | instskip(SKIP_1) | instid1(VALU_DEP_2)
	v_sub_nc_u32_e32 v15, 0x70, v13
	v_cmp_gt_u32_e32 vcc_lo, 0x71, v13
	v_dual_cndmask_b32 v15, 0, v15 :: v_dual_and_b32 v14, 0x7fffff, v12
	s_delay_alu instid0(VALU_DEP_1) | instskip(SKIP_2) | instid1(VALU_DEP_4)
	v_or_b32_e32 v16, 0x800000, v14
	v_cmp_eq_u32_e32 vcc_lo, 0, v13
	v_add_nc_u32_e32 v13, 0xffffff91, v13
	v_cndmask_b32_e64 v15, v15, 0x6f, vcc_lo
	s_delay_alu instid0(VALU_DEP_4) | instskip(NEXT) | instid1(VALU_DEP_3)
	v_cndmask_b32_e32 v14, v16, v14, vcc_lo
	v_cndmask_b32_e64 v13, v13, 0xffffff92, vcc_lo
	s_delay_alu instid0(VALU_DEP_3) | instskip(NEXT) | instid1(VALU_DEP_3)
	v_lshl_add_u32 v16, 0x200000, v15, -1
	v_lshrrev_b32_e32 v17, v15, v14
	v_lshlrev_b32_e64 v19, v15, 0x100000
	s_delay_alu instid0(VALU_DEP_4) | instskip(NEXT) | instid1(VALU_DEP_4)
	v_add_nc_u32_e32 v15, v15, v13
	v_and_b32_e32 v14, v16, v14
	s_delay_alu instid0(VALU_DEP_4) | instskip(NEXT) | instid1(VALU_DEP_2)
	v_bfe_u32 v18, v17, 21, 1
	v_cmp_eq_u32_e64 s13, v14, v19
	s_delay_alu instid0(VALU_DEP_2) | instskip(NEXT) | instid1(VALU_DEP_1)
	v_add_nc_u32_e32 v16, -1, v18
	v_cndmask_b32_e64 v14, 0, v16, s13
	v_lshrrev_b32_e32 v16, 23, v17
	s_mov_b32 s13, exec_lo
	s_delay_alu instid0(VALU_DEP_2) | instskip(NEXT) | instid1(VALU_DEP_2)
	v_add_nc_u32_e32 v14, v14, v17
	v_xor_b32_e32 v16, 1, v16
	s_delay_alu instid0(VALU_DEP_2) | instskip(NEXT) | instid1(VALU_DEP_1)
	v_and_b32_e32 v13, 0x1fffff, v14
	v_add_nc_u32_e32 v14, v13, v17
                                        ; implicit-def: $vgpr13
	s_delay_alu instid0(VALU_DEP_3)
	v_cmpx_ne_u32_e64 v15, v16
	s_xor_b32 s13, exec_lo, s13
; %bb.8502:                             ;   in Loop: Header=BB6_8078 Depth=3
	s_delay_alu instid0(VALU_DEP_2) | instskip(SKIP_2) | instid1(VALU_DEP_2)
	v_cmp_lt_u32_e32 vcc_lo, 0xffffff, v14
	v_sub_nc_u32_e32 v13, v15, v16
	v_cndmask_b32_e64 v15, 0, 1, vcc_lo
	v_add_co_ci_u32_e32 v13, vcc_lo, 0, v13, vcc_lo
	s_delay_alu instid0(VALU_DEP_2)
	v_lshrrev_b32_e32 v14, v15, v14
; %bb.8503:                             ;   in Loop: Header=BB6_8078 Depth=3
	s_and_not1_saveexec_b32 s13, s13
; %bb.8504:                             ;   in Loop: Header=BB6_8078 Depth=3
	s_delay_alu instid0(VALU_DEP_1)
	v_bfe_u32 v13, v14, 23, 1
; %bb.8505:                             ;   in Loop: Header=BB6_8078 Depth=3
	s_or_b32 exec_lo, exec_lo, s13
	v_lshrrev_b32_e32 v14, 21, v14
	s_delay_alu instid0(VALU_DEP_2) | instskip(SKIP_2) | instid1(VALU_DEP_4)
	v_cmp_gt_i32_e32 vcc_lo, 32, v13
	v_lshrrev_b32_e32 v12, 24, v12
	v_min_i32_e32 v15, 31, v13
	v_cndmask_b32_e32 v14, 3, v14, vcc_lo
	s_delay_alu instid0(VALU_DEP_3) | instskip(NEXT) | instid1(VALU_DEP_3)
	v_and_b32_e32 v12, 0x80, v12
	v_lshlrev_b32_e32 v15, 2, v15
	s_delay_alu instid0(VALU_DEP_3) | instskip(SKIP_1) | instid1(VALU_DEP_2)
	v_and_b32_e32 v16, 3, v14
	v_or_b32_e32 v13, v13, v14
	v_or3_b32 v12, v15, v12, v16
	s_delay_alu instid0(VALU_DEP_2) | instskip(NEXT) | instid1(VALU_DEP_2)
	v_cmp_ne_u32_e32 vcc_lo, 0, v13
	v_cndmask_b32_e32 v76, 0, v12, vcc_lo
.LBB6_8506:                             ;   in Loop: Header=BB6_8078 Depth=3
	s_or_b32 exec_lo, exec_lo, s31
.LBB6_8507:                             ;   in Loop: Header=BB6_8078 Depth=3
	s_delay_alu instid0(SALU_CYCLE_1) | instskip(SKIP_3) | instid1(VALU_DEP_1)
	s_or_b32 exec_lo, exec_lo, s30
	v_lshrrev_b32_e32 v12, 24, v8
	s_mov_b32 s13, 0
	s_mov_b32 s31, exec_lo
                                        ; implicit-def: $sgpr30
	v_cmpx_lt_i16_e32 0x7f, v12
	s_xor_b32 s31, exec_lo, s31
	s_cbranch_execnz .LBB6_10017
; %bb.8508:                             ;   in Loop: Header=BB6_8078 Depth=3
	s_or_saveexec_b32 s31, s31
	v_mov_b32_e32 v13, s30
	s_xor_b32 exec_lo, exec_lo, s31
	s_cbranch_execnz .LBB6_10020
.LBB6_8509:                             ;   in Loop: Header=BB6_8078 Depth=3
	s_or_b32 exec_lo, exec_lo, s31
	s_and_saveexec_b32 s30, s13
	s_cbranch_execz .LBB6_8511
.LBB6_8510:                             ;   in Loop: Header=BB6_8078 Depth=3
	v_bfe_u32 v13, v8, 24, 2
	s_delay_alu instid0(VALU_DEP_1) | instskip(NEXT) | instid1(VALU_DEP_1)
	v_clz_i32_u32_e32 v14, v13
	v_min_u32_e32 v14, 32, v14
	s_delay_alu instid0(VALU_DEP_1) | instskip(SKIP_1) | instid1(VALU_DEP_2)
	v_subrev_nc_u32_e32 v15, 29, v14
	v_sub_nc_u32_e32 v14, 30, v14
	v_lshlrev_b32_e32 v12, v15, v12
	v_bfe_u32 v15, v8, 26, 5
	v_and_b32_e32 v8, 0x80000000, v8
	s_delay_alu instid0(VALU_DEP_3) | instskip(NEXT) | instid1(VALU_DEP_3)
	v_and_b32_e32 v12, 3, v12
	v_cmp_eq_u32_e32 vcc_lo, 0, v15
	v_cndmask_b32_e32 v14, v15, v14, vcc_lo
	s_delay_alu instid0(VALU_DEP_3) | instskip(NEXT) | instid1(VALU_DEP_2)
	v_cndmask_b32_e32 v12, v13, v12, vcc_lo
	v_lshl_add_u32 v13, v14, 23, 0x37800000
	s_delay_alu instid0(VALU_DEP_2) | instskip(NEXT) | instid1(VALU_DEP_1)
	v_lshlrev_b32_e32 v12, 21, v12
	v_or3_b32 v13, v8, v13, v12
.LBB6_8511:                             ;   in Loop: Header=BB6_8078 Depth=3
	s_or_b32 exec_lo, exec_lo, s30
	s_delay_alu instid0(VALU_DEP_1) | instskip(SKIP_2) | instid1(VALU_DEP_2)
	v_mul_f32_e32 v8, s17, v13
	v_mov_b32_e32 v74, 0x80
	s_mov_b32 s30, exec_lo
	v_and_b32_e32 v12, 0x7f800000, v8
	s_delay_alu instid0(VALU_DEP_1)
	v_cmpx_ne_u32_e32 0x7f800000, v12
	s_cbranch_execz .LBB6_8519
; %bb.8512:                             ;   in Loop: Header=BB6_8078 Depth=3
	v_mov_b32_e32 v74, 0
	s_mov_b32 s31, exec_lo
	v_cmpx_ne_u32_e32 0, v8
	s_cbranch_execz .LBB6_8518
; %bb.8513:                             ;   in Loop: Header=BB6_8078 Depth=3
	v_bfe_u32 v12, v8, 23, 8
	s_delay_alu instid0(VALU_DEP_1) | instskip(SKIP_1) | instid1(VALU_DEP_2)
	v_sub_nc_u32_e32 v14, 0x70, v12
	v_cmp_gt_u32_e32 vcc_lo, 0x71, v12
	v_dual_cndmask_b32 v14, 0, v14 :: v_dual_and_b32 v13, 0x7fffff, v8
	s_delay_alu instid0(VALU_DEP_1) | instskip(SKIP_2) | instid1(VALU_DEP_4)
	v_or_b32_e32 v15, 0x800000, v13
	v_cmp_eq_u32_e32 vcc_lo, 0, v12
	v_add_nc_u32_e32 v12, 0xffffff91, v12
	v_cndmask_b32_e64 v14, v14, 0x6f, vcc_lo
	s_delay_alu instid0(VALU_DEP_4) | instskip(NEXT) | instid1(VALU_DEP_3)
	v_cndmask_b32_e32 v13, v15, v13, vcc_lo
	v_cndmask_b32_e64 v12, v12, 0xffffff92, vcc_lo
	s_delay_alu instid0(VALU_DEP_3) | instskip(NEXT) | instid1(VALU_DEP_3)
	v_lshl_add_u32 v15, 0x200000, v14, -1
	v_lshrrev_b32_e32 v16, v14, v13
	v_lshlrev_b32_e64 v18, v14, 0x100000
	s_delay_alu instid0(VALU_DEP_4) | instskip(NEXT) | instid1(VALU_DEP_4)
	v_add_nc_u32_e32 v14, v14, v12
	v_and_b32_e32 v13, v15, v13
	s_delay_alu instid0(VALU_DEP_4) | instskip(NEXT) | instid1(VALU_DEP_2)
	v_bfe_u32 v17, v16, 21, 1
	v_cmp_eq_u32_e64 s13, v13, v18
	s_delay_alu instid0(VALU_DEP_2) | instskip(NEXT) | instid1(VALU_DEP_1)
	v_add_nc_u32_e32 v15, -1, v17
	v_cndmask_b32_e64 v13, 0, v15, s13
	v_lshrrev_b32_e32 v15, 23, v16
	s_mov_b32 s13, exec_lo
	s_delay_alu instid0(VALU_DEP_2) | instskip(NEXT) | instid1(VALU_DEP_2)
	v_add_nc_u32_e32 v13, v13, v16
	v_xor_b32_e32 v15, 1, v15
	s_delay_alu instid0(VALU_DEP_2) | instskip(NEXT) | instid1(VALU_DEP_1)
	v_and_b32_e32 v12, 0x1fffff, v13
	v_add_nc_u32_e32 v13, v12, v16
                                        ; implicit-def: $vgpr12
	s_delay_alu instid0(VALU_DEP_3)
	v_cmpx_ne_u32_e64 v14, v15
	s_xor_b32 s13, exec_lo, s13
; %bb.8514:                             ;   in Loop: Header=BB6_8078 Depth=3
	s_delay_alu instid0(VALU_DEP_2) | instskip(SKIP_2) | instid1(VALU_DEP_2)
	v_cmp_lt_u32_e32 vcc_lo, 0xffffff, v13
	v_sub_nc_u32_e32 v12, v14, v15
	v_cndmask_b32_e64 v14, 0, 1, vcc_lo
	v_add_co_ci_u32_e32 v12, vcc_lo, 0, v12, vcc_lo
	s_delay_alu instid0(VALU_DEP_2)
	v_lshrrev_b32_e32 v13, v14, v13
; %bb.8515:                             ;   in Loop: Header=BB6_8078 Depth=3
	s_and_not1_saveexec_b32 s13, s13
; %bb.8516:                             ;   in Loop: Header=BB6_8078 Depth=3
	s_delay_alu instid0(VALU_DEP_1)
	v_bfe_u32 v12, v13, 23, 1
; %bb.8517:                             ;   in Loop: Header=BB6_8078 Depth=3
	s_or_b32 exec_lo, exec_lo, s13
	v_lshrrev_b32_e32 v13, 21, v13
	s_delay_alu instid0(VALU_DEP_2) | instskip(SKIP_2) | instid1(VALU_DEP_2)
	v_cmp_gt_i32_e32 vcc_lo, 32, v12
	v_lshrrev_b32_e32 v8, 24, v8
	v_min_i32_e32 v14, 31, v12
	v_dual_cndmask_b32 v13, 3, v13 :: v_dual_and_b32 v8, 0x80, v8
	s_delay_alu instid0(VALU_DEP_2) | instskip(NEXT) | instid1(VALU_DEP_2)
	v_lshlrev_b32_e32 v14, 2, v14
	v_or_b32_e32 v12, v12, v13
	s_delay_alu instid0(VALU_DEP_1) | instskip(SKIP_1) | instid1(VALU_DEP_1)
	v_cmp_ne_u32_e32 vcc_lo, 0, v12
	v_and_b32_e32 v15, 3, v13
	v_or3_b32 v8, v14, v8, v15
	s_delay_alu instid0(VALU_DEP_1)
	v_cndmask_b32_e32 v74, 0, v8, vcc_lo
.LBB6_8518:                             ;   in Loop: Header=BB6_8078 Depth=3
	s_or_b32 exec_lo, exec_lo, s31
.LBB6_8519:                             ;   in Loop: Header=BB6_8078 Depth=3
	s_delay_alu instid0(SALU_CYCLE_1) | instskip(SKIP_3) | instid1(VALU_DEP_1)
	s_or_b32 exec_lo, exec_lo, s30
	v_and_b32_e32 v12, 0xff, v9
	s_mov_b32 s13, 0
	s_mov_b32 s31, exec_lo
                                        ; implicit-def: $sgpr30
	v_cmpx_lt_i16_e32 0x7f, v12
	s_xor_b32 s31, exec_lo, s31
	s_cbranch_execnz .LBB6_10021
; %bb.8520:                             ;   in Loop: Header=BB6_8078 Depth=3
	s_or_saveexec_b32 s31, s31
	v_mov_b32_e32 v8, s30
	s_xor_b32 exec_lo, exec_lo, s31
	s_cbranch_execnz .LBB6_10024
.LBB6_8521:                             ;   in Loop: Header=BB6_8078 Depth=3
	s_or_b32 exec_lo, exec_lo, s31
	s_and_saveexec_b32 s30, s13
	s_cbranch_execz .LBB6_8523
.LBB6_8522:                             ;   in Loop: Header=BB6_8078 Depth=3
	v_and_b32_e32 v8, 3, v9
	v_bfe_u32 v14, v9, 2, 5
	v_lshlrev_b32_e32 v15, 24, v9
	s_delay_alu instid0(VALU_DEP_3) | instskip(NEXT) | instid1(VALU_DEP_3)
	v_clz_i32_u32_e32 v12, v8
	v_cmp_eq_u32_e32 vcc_lo, 0, v14
	s_delay_alu instid0(VALU_DEP_2) | instskip(NEXT) | instid1(VALU_DEP_1)
	v_min_u32_e32 v12, 32, v12
	v_subrev_nc_u32_e32 v13, 29, v12
	v_sub_nc_u32_e32 v12, 30, v12
	s_delay_alu instid0(VALU_DEP_1) | instskip(NEXT) | instid1(VALU_DEP_1)
	v_dual_cndmask_b32 v12, v14, v12 :: v_dual_lshlrev_b32 v13, v13, v9
	v_and_b32_e32 v13, 3, v13
	s_delay_alu instid0(VALU_DEP_2) | instskip(NEXT) | instid1(VALU_DEP_2)
	v_lshl_add_u32 v12, v12, 23, 0x37800000
	v_dual_cndmask_b32 v8, v8, v13 :: v_dual_and_b32 v13, 0x80000000, v15
	s_delay_alu instid0(VALU_DEP_1) | instskip(NEXT) | instid1(VALU_DEP_1)
	v_lshlrev_b32_e32 v8, 21, v8
	v_or3_b32 v8, v13, v12, v8
.LBB6_8523:                             ;   in Loop: Header=BB6_8078 Depth=3
	s_or_b32 exec_lo, exec_lo, s30
	s_delay_alu instid0(VALU_DEP_1) | instskip(SKIP_1) | instid1(VALU_DEP_1)
	v_dual_mul_f32 v8, s17, v8 :: v_dual_mov_b32 v73, 0x80
	s_mov_b32 s30, exec_lo
	v_and_b32_e32 v12, 0x7f800000, v8
	s_delay_alu instid0(VALU_DEP_1)
	v_cmpx_ne_u32_e32 0x7f800000, v12
	s_cbranch_execz .LBB6_8531
; %bb.8524:                             ;   in Loop: Header=BB6_8078 Depth=3
	v_mov_b32_e32 v73, 0
	s_mov_b32 s31, exec_lo
	v_cmpx_ne_u32_e32 0, v8
	s_cbranch_execz .LBB6_8530
; %bb.8525:                             ;   in Loop: Header=BB6_8078 Depth=3
	v_bfe_u32 v12, v8, 23, 8
	s_delay_alu instid0(VALU_DEP_1) | instskip(SKIP_1) | instid1(VALU_DEP_2)
	v_sub_nc_u32_e32 v14, 0x70, v12
	v_cmp_gt_u32_e32 vcc_lo, 0x71, v12
	v_dual_cndmask_b32 v14, 0, v14 :: v_dual_and_b32 v13, 0x7fffff, v8
	s_delay_alu instid0(VALU_DEP_1) | instskip(SKIP_2) | instid1(VALU_DEP_4)
	v_or_b32_e32 v15, 0x800000, v13
	v_cmp_eq_u32_e32 vcc_lo, 0, v12
	v_add_nc_u32_e32 v12, 0xffffff91, v12
	v_cndmask_b32_e64 v14, v14, 0x6f, vcc_lo
	s_delay_alu instid0(VALU_DEP_4) | instskip(NEXT) | instid1(VALU_DEP_3)
	v_cndmask_b32_e32 v13, v15, v13, vcc_lo
	v_cndmask_b32_e64 v12, v12, 0xffffff92, vcc_lo
	s_delay_alu instid0(VALU_DEP_3) | instskip(NEXT) | instid1(VALU_DEP_3)
	v_lshl_add_u32 v15, 0x200000, v14, -1
	v_lshrrev_b32_e32 v16, v14, v13
	v_lshlrev_b32_e64 v18, v14, 0x100000
	s_delay_alu instid0(VALU_DEP_4) | instskip(NEXT) | instid1(VALU_DEP_4)
	v_add_nc_u32_e32 v14, v14, v12
	v_and_b32_e32 v13, v15, v13
	s_delay_alu instid0(VALU_DEP_4) | instskip(NEXT) | instid1(VALU_DEP_2)
	v_bfe_u32 v17, v16, 21, 1
	v_cmp_eq_u32_e64 s13, v13, v18
	s_delay_alu instid0(VALU_DEP_2) | instskip(NEXT) | instid1(VALU_DEP_1)
	v_add_nc_u32_e32 v15, -1, v17
	v_cndmask_b32_e64 v13, 0, v15, s13
	v_lshrrev_b32_e32 v15, 23, v16
	s_mov_b32 s13, exec_lo
	s_delay_alu instid0(VALU_DEP_2) | instskip(NEXT) | instid1(VALU_DEP_2)
	v_add_nc_u32_e32 v13, v13, v16
	v_xor_b32_e32 v15, 1, v15
	s_delay_alu instid0(VALU_DEP_2) | instskip(NEXT) | instid1(VALU_DEP_1)
	v_and_b32_e32 v12, 0x1fffff, v13
	v_add_nc_u32_e32 v13, v12, v16
                                        ; implicit-def: $vgpr12
	s_delay_alu instid0(VALU_DEP_3)
	v_cmpx_ne_u32_e64 v14, v15
	s_xor_b32 s13, exec_lo, s13
; %bb.8526:                             ;   in Loop: Header=BB6_8078 Depth=3
	s_delay_alu instid0(VALU_DEP_2) | instskip(SKIP_2) | instid1(VALU_DEP_2)
	v_cmp_lt_u32_e32 vcc_lo, 0xffffff, v13
	v_sub_nc_u32_e32 v12, v14, v15
	v_cndmask_b32_e64 v14, 0, 1, vcc_lo
	v_add_co_ci_u32_e32 v12, vcc_lo, 0, v12, vcc_lo
	s_delay_alu instid0(VALU_DEP_2)
	v_lshrrev_b32_e32 v13, v14, v13
; %bb.8527:                             ;   in Loop: Header=BB6_8078 Depth=3
	s_and_not1_saveexec_b32 s13, s13
; %bb.8528:                             ;   in Loop: Header=BB6_8078 Depth=3
	s_delay_alu instid0(VALU_DEP_1)
	v_bfe_u32 v12, v13, 23, 1
; %bb.8529:                             ;   in Loop: Header=BB6_8078 Depth=3
	s_or_b32 exec_lo, exec_lo, s13
	v_lshrrev_b32_e32 v13, 21, v13
	s_delay_alu instid0(VALU_DEP_2) | instskip(SKIP_2) | instid1(VALU_DEP_2)
	v_cmp_gt_i32_e32 vcc_lo, 32, v12
	v_min_i32_e32 v14, 31, v12
	v_lshrrev_b32_e32 v8, 24, v8
	v_dual_cndmask_b32 v13, 3, v13 :: v_dual_lshlrev_b32 v14, 2, v14
	s_delay_alu instid0(VALU_DEP_2) | instskip(NEXT) | instid1(VALU_DEP_2)
	v_and_b32_e32 v8, 0x80, v8
	v_or_b32_e32 v12, v12, v13
	v_and_b32_e32 v15, 3, v13
	s_delay_alu instid0(VALU_DEP_2) | instskip(SKIP_1) | instid1(VALU_DEP_1)
	v_cmp_ne_u32_e32 vcc_lo, 0, v12
	v_and_b32_e32 v14, 0xfc, v14
	v_or3_b32 v8, v14, v8, v15
	s_delay_alu instid0(VALU_DEP_1)
	v_cndmask_b32_e32 v73, 0, v8, vcc_lo
.LBB6_8530:                             ;   in Loop: Header=BB6_8078 Depth=3
	s_or_b32 exec_lo, exec_lo, s31
.LBB6_8531:                             ;   in Loop: Header=BB6_8078 Depth=3
	s_delay_alu instid0(SALU_CYCLE_1) | instskip(SKIP_3) | instid1(VALU_DEP_1)
	s_or_b32 exec_lo, exec_lo, s30
	v_lshrrev_b16 v8, 8, v9
	s_mov_b32 s13, 0
	s_mov_b32 s31, exec_lo
                                        ; implicit-def: $sgpr30
	v_cmpx_lt_i16_e32 0x7f, v8
	s_xor_b32 s31, exec_lo, s31
	s_cbranch_execnz .LBB6_10025
; %bb.8532:                             ;   in Loop: Header=BB6_8078 Depth=3
	s_or_saveexec_b32 s31, s31
	v_mov_b32_e32 v12, s30
	s_xor_b32 exec_lo, exec_lo, s31
	s_cbranch_execnz .LBB6_10028
.LBB6_8533:                             ;   in Loop: Header=BB6_8078 Depth=3
	s_or_b32 exec_lo, exec_lo, s31
	s_and_saveexec_b32 s30, s13
	s_cbranch_execz .LBB6_8535
.LBB6_8534:                             ;   in Loop: Header=BB6_8078 Depth=3
	v_and_b32_e32 v12, 0xffff, v8
	v_lshlrev_b32_e32 v8, 24, v8
	s_delay_alu instid0(VALU_DEP_2) | instskip(NEXT) | instid1(VALU_DEP_2)
	v_and_b32_e32 v13, 3, v12
	v_and_b32_e32 v8, 0x80000000, v8
	s_delay_alu instid0(VALU_DEP_2) | instskip(NEXT) | instid1(VALU_DEP_1)
	v_clz_i32_u32_e32 v14, v13
	v_min_u32_e32 v14, 32, v14
	s_delay_alu instid0(VALU_DEP_1) | instskip(SKIP_1) | instid1(VALU_DEP_2)
	v_subrev_nc_u32_e32 v15, 29, v14
	v_sub_nc_u32_e32 v14, 30, v14
	v_lshlrev_b32_e32 v15, v15, v12
	v_bfe_u32 v12, v12, 2, 5
	s_delay_alu instid0(VALU_DEP_2) | instskip(NEXT) | instid1(VALU_DEP_2)
	v_and_b32_e32 v15, 3, v15
	v_cmp_eq_u32_e32 vcc_lo, 0, v12
	s_delay_alu instid0(VALU_DEP_2) | instskip(NEXT) | instid1(VALU_DEP_1)
	v_dual_cndmask_b32 v12, v12, v14 :: v_dual_cndmask_b32 v13, v13, v15
	v_lshl_add_u32 v12, v12, 23, 0x37800000
	s_delay_alu instid0(VALU_DEP_2) | instskip(NEXT) | instid1(VALU_DEP_1)
	v_lshlrev_b32_e32 v13, 21, v13
	v_or3_b32 v12, v8, v12, v13
.LBB6_8535:                             ;   in Loop: Header=BB6_8078 Depth=3
	s_or_b32 exec_lo, exec_lo, s30
	s_delay_alu instid0(VALU_DEP_1) | instskip(SKIP_1) | instid1(VALU_DEP_1)
	v_dual_mul_f32 v8, s17, v12 :: v_dual_mov_b32 v79, 0x8000
	s_mov_b32 s30, exec_lo
	v_and_b32_e32 v12, 0x7f800000, v8
	s_delay_alu instid0(VALU_DEP_1)
	v_cmpx_ne_u32_e32 0x7f800000, v12
	s_cbranch_execz .LBB6_8543
; %bb.8536:                             ;   in Loop: Header=BB6_8078 Depth=3
	v_mov_b32_e32 v79, 0
	s_mov_b32 s31, exec_lo
	v_cmpx_ne_u32_e32 0, v8
	s_cbranch_execz .LBB6_8542
; %bb.8537:                             ;   in Loop: Header=BB6_8078 Depth=3
	v_bfe_u32 v12, v8, 23, 8
	s_delay_alu instid0(VALU_DEP_1) | instskip(SKIP_1) | instid1(VALU_DEP_2)
	v_sub_nc_u32_e32 v14, 0x70, v12
	v_cmp_gt_u32_e32 vcc_lo, 0x71, v12
	v_dual_cndmask_b32 v14, 0, v14 :: v_dual_and_b32 v13, 0x7fffff, v8
	s_delay_alu instid0(VALU_DEP_1) | instskip(SKIP_2) | instid1(VALU_DEP_4)
	v_or_b32_e32 v15, 0x800000, v13
	v_cmp_eq_u32_e32 vcc_lo, 0, v12
	v_add_nc_u32_e32 v12, 0xffffff91, v12
	v_cndmask_b32_e64 v14, v14, 0x6f, vcc_lo
	s_delay_alu instid0(VALU_DEP_4) | instskip(NEXT) | instid1(VALU_DEP_3)
	v_cndmask_b32_e32 v13, v15, v13, vcc_lo
	v_cndmask_b32_e64 v12, v12, 0xffffff92, vcc_lo
	s_delay_alu instid0(VALU_DEP_3) | instskip(NEXT) | instid1(VALU_DEP_3)
	v_lshl_add_u32 v15, 0x200000, v14, -1
	v_lshrrev_b32_e32 v16, v14, v13
	v_lshlrev_b32_e64 v18, v14, 0x100000
	s_delay_alu instid0(VALU_DEP_4) | instskip(NEXT) | instid1(VALU_DEP_4)
	v_add_nc_u32_e32 v14, v14, v12
	v_and_b32_e32 v13, v15, v13
	s_delay_alu instid0(VALU_DEP_4) | instskip(NEXT) | instid1(VALU_DEP_2)
	v_bfe_u32 v17, v16, 21, 1
	v_cmp_eq_u32_e64 s13, v13, v18
	s_delay_alu instid0(VALU_DEP_2) | instskip(NEXT) | instid1(VALU_DEP_1)
	v_add_nc_u32_e32 v15, -1, v17
	v_cndmask_b32_e64 v13, 0, v15, s13
	v_lshrrev_b32_e32 v15, 23, v16
	s_mov_b32 s13, exec_lo
	s_delay_alu instid0(VALU_DEP_2) | instskip(NEXT) | instid1(VALU_DEP_2)
	v_add_nc_u32_e32 v13, v13, v16
	v_xor_b32_e32 v15, 1, v15
	s_delay_alu instid0(VALU_DEP_2) | instskip(NEXT) | instid1(VALU_DEP_1)
	v_and_b32_e32 v12, 0x1fffff, v13
	v_add_nc_u32_e32 v13, v12, v16
                                        ; implicit-def: $vgpr12
	s_delay_alu instid0(VALU_DEP_3)
	v_cmpx_ne_u32_e64 v14, v15
	s_xor_b32 s13, exec_lo, s13
; %bb.8538:                             ;   in Loop: Header=BB6_8078 Depth=3
	s_delay_alu instid0(VALU_DEP_2) | instskip(SKIP_2) | instid1(VALU_DEP_2)
	v_cmp_lt_u32_e32 vcc_lo, 0xffffff, v13
	v_sub_nc_u32_e32 v12, v14, v15
	v_cndmask_b32_e64 v14, 0, 1, vcc_lo
	v_add_co_ci_u32_e32 v12, vcc_lo, 0, v12, vcc_lo
	s_delay_alu instid0(VALU_DEP_2)
	v_lshrrev_b32_e32 v13, v14, v13
; %bb.8539:                             ;   in Loop: Header=BB6_8078 Depth=3
	s_and_not1_saveexec_b32 s13, s13
; %bb.8540:                             ;   in Loop: Header=BB6_8078 Depth=3
	s_delay_alu instid0(VALU_DEP_1)
	v_bfe_u32 v12, v13, 23, 1
; %bb.8541:                             ;   in Loop: Header=BB6_8078 Depth=3
	s_or_b32 exec_lo, exec_lo, s13
	v_lshrrev_b32_e32 v13, 21, v13
	s_delay_alu instid0(VALU_DEP_2) | instskip(SKIP_2) | instid1(VALU_DEP_2)
	v_cmp_gt_i32_e32 vcc_lo, 32, v12
	v_min_i32_e32 v14, 31, v12
	v_lshrrev_b32_e32 v8, 24, v8
	v_dual_cndmask_b32 v13, 3, v13 :: v_dual_lshlrev_b32 v14, 2, v14
	s_delay_alu instid0(VALU_DEP_2) | instskip(NEXT) | instid1(VALU_DEP_2)
	v_and_b32_e32 v8, 0x80, v8
	v_or_b32_e32 v12, v12, v13
	v_and_b32_e32 v15, 3, v13
	s_delay_alu instid0(VALU_DEP_2) | instskip(SKIP_1) | instid1(VALU_DEP_1)
	v_cmp_ne_u32_e32 vcc_lo, 0, v12
	v_and_b32_e32 v14, 0xfc, v14
	v_or3_b32 v8, v8, v14, v15
	s_delay_alu instid0(VALU_DEP_1) | instskip(NEXT) | instid1(VALU_DEP_1)
	v_lshlrev_b32_e32 v8, 8, v8
	v_cndmask_b32_e32 v79, 0, v8, vcc_lo
.LBB6_8542:                             ;   in Loop: Header=BB6_8078 Depth=3
	s_or_b32 exec_lo, exec_lo, s31
.LBB6_8543:                             ;   in Loop: Header=BB6_8078 Depth=3
	s_delay_alu instid0(SALU_CYCLE_1) | instskip(SKIP_3) | instid1(VALU_DEP_1)
	s_or_b32 exec_lo, exec_lo, s30
	v_lshrrev_b32_e32 v8, 16, v9
	s_mov_b32 s13, 0
	s_mov_b32 s31, exec_lo
                                        ; implicit-def: $sgpr30
	v_and_b32_e32 v13, 0xff, v8
	s_delay_alu instid0(VALU_DEP_1)
	v_cmpx_lt_i16_e32 0x7f, v13
	s_xor_b32 s31, exec_lo, s31
	s_cbranch_execnz .LBB6_10029
; %bb.8544:                             ;   in Loop: Header=BB6_8078 Depth=3
	s_or_saveexec_b32 s31, s31
	v_mov_b32_e32 v12, s30
	s_xor_b32 exec_lo, exec_lo, s31
	s_cbranch_execnz .LBB6_10032
.LBB6_8545:                             ;   in Loop: Header=BB6_8078 Depth=3
	s_or_b32 exec_lo, exec_lo, s31
	s_and_saveexec_b32 s30, s13
	s_cbranch_execz .LBB6_8547
.LBB6_8546:                             ;   in Loop: Header=BB6_8078 Depth=3
	v_bfe_u32 v12, v9, 16, 2
	s_delay_alu instid0(VALU_DEP_1) | instskip(NEXT) | instid1(VALU_DEP_1)
	v_clz_i32_u32_e32 v13, v12
	v_min_u32_e32 v13, 32, v13
	s_delay_alu instid0(VALU_DEP_1) | instskip(SKIP_1) | instid1(VALU_DEP_2)
	v_subrev_nc_u32_e32 v14, 29, v13
	v_sub_nc_u32_e32 v13, 30, v13
	v_lshlrev_b32_e32 v8, v14, v8
	v_bfe_u32 v14, v9, 18, 5
	s_delay_alu instid0(VALU_DEP_1) | instskip(NEXT) | instid1(VALU_DEP_3)
	v_cmp_eq_u32_e32 vcc_lo, 0, v14
	v_dual_cndmask_b32 v13, v14, v13 :: v_dual_and_b32 v8, 3, v8
	s_delay_alu instid0(VALU_DEP_1) | instskip(NEXT) | instid1(VALU_DEP_2)
	v_dual_cndmask_b32 v8, v12, v8 :: v_dual_lshlrev_b32 v15, 8, v9
	v_lshl_add_u32 v13, v13, 23, 0x37800000
	s_delay_alu instid0(VALU_DEP_2) | instskip(NEXT) | instid1(VALU_DEP_3)
	v_and_b32_e32 v12, 0x80000000, v15
	v_lshlrev_b32_e32 v8, 21, v8
	s_delay_alu instid0(VALU_DEP_1)
	v_or3_b32 v12, v12, v13, v8
.LBB6_8547:                             ;   in Loop: Header=BB6_8078 Depth=3
	s_or_b32 exec_lo, exec_lo, s30
	s_delay_alu instid0(VALU_DEP_1) | instskip(SKIP_1) | instid1(VALU_DEP_1)
	v_dual_mul_f32 v8, s17, v12 :: v_dual_mov_b32 v63, 0x80
	s_mov_b32 s30, exec_lo
	v_and_b32_e32 v12, 0x7f800000, v8
	s_delay_alu instid0(VALU_DEP_1)
	v_cmpx_ne_u32_e32 0x7f800000, v12
	s_cbranch_execz .LBB6_8555
; %bb.8548:                             ;   in Loop: Header=BB6_8078 Depth=3
	v_mov_b32_e32 v63, 0
	s_mov_b32 s31, exec_lo
	v_cmpx_ne_u32_e32 0, v8
	s_cbranch_execz .LBB6_8554
; %bb.8549:                             ;   in Loop: Header=BB6_8078 Depth=3
	v_bfe_u32 v12, v8, 23, 8
	s_delay_alu instid0(VALU_DEP_1) | instskip(SKIP_1) | instid1(VALU_DEP_2)
	v_sub_nc_u32_e32 v14, 0x70, v12
	v_cmp_gt_u32_e32 vcc_lo, 0x71, v12
	v_dual_cndmask_b32 v14, 0, v14 :: v_dual_and_b32 v13, 0x7fffff, v8
	s_delay_alu instid0(VALU_DEP_1) | instskip(SKIP_2) | instid1(VALU_DEP_4)
	v_or_b32_e32 v15, 0x800000, v13
	v_cmp_eq_u32_e32 vcc_lo, 0, v12
	v_add_nc_u32_e32 v12, 0xffffff91, v12
	v_cndmask_b32_e64 v14, v14, 0x6f, vcc_lo
	s_delay_alu instid0(VALU_DEP_4) | instskip(NEXT) | instid1(VALU_DEP_3)
	v_cndmask_b32_e32 v13, v15, v13, vcc_lo
	v_cndmask_b32_e64 v12, v12, 0xffffff92, vcc_lo
	s_delay_alu instid0(VALU_DEP_3) | instskip(NEXT) | instid1(VALU_DEP_3)
	v_lshl_add_u32 v15, 0x200000, v14, -1
	v_lshrrev_b32_e32 v16, v14, v13
	v_lshlrev_b32_e64 v18, v14, 0x100000
	s_delay_alu instid0(VALU_DEP_4) | instskip(NEXT) | instid1(VALU_DEP_4)
	v_add_nc_u32_e32 v14, v14, v12
	v_and_b32_e32 v13, v15, v13
	s_delay_alu instid0(VALU_DEP_4) | instskip(NEXT) | instid1(VALU_DEP_2)
	v_bfe_u32 v17, v16, 21, 1
	v_cmp_eq_u32_e64 s13, v13, v18
	s_delay_alu instid0(VALU_DEP_2) | instskip(NEXT) | instid1(VALU_DEP_1)
	v_add_nc_u32_e32 v15, -1, v17
	v_cndmask_b32_e64 v13, 0, v15, s13
	v_lshrrev_b32_e32 v15, 23, v16
	s_mov_b32 s13, exec_lo
	s_delay_alu instid0(VALU_DEP_2) | instskip(NEXT) | instid1(VALU_DEP_2)
	v_add_nc_u32_e32 v13, v13, v16
	v_xor_b32_e32 v15, 1, v15
	s_delay_alu instid0(VALU_DEP_2) | instskip(NEXT) | instid1(VALU_DEP_1)
	v_and_b32_e32 v12, 0x1fffff, v13
	v_add_nc_u32_e32 v13, v12, v16
                                        ; implicit-def: $vgpr12
	s_delay_alu instid0(VALU_DEP_3)
	v_cmpx_ne_u32_e64 v14, v15
	s_xor_b32 s13, exec_lo, s13
; %bb.8550:                             ;   in Loop: Header=BB6_8078 Depth=3
	s_delay_alu instid0(VALU_DEP_2) | instskip(SKIP_2) | instid1(VALU_DEP_2)
	v_cmp_lt_u32_e32 vcc_lo, 0xffffff, v13
	v_sub_nc_u32_e32 v12, v14, v15
	v_cndmask_b32_e64 v14, 0, 1, vcc_lo
	v_add_co_ci_u32_e32 v12, vcc_lo, 0, v12, vcc_lo
	s_delay_alu instid0(VALU_DEP_2)
	v_lshrrev_b32_e32 v13, v14, v13
; %bb.8551:                             ;   in Loop: Header=BB6_8078 Depth=3
	s_and_not1_saveexec_b32 s13, s13
; %bb.8552:                             ;   in Loop: Header=BB6_8078 Depth=3
	s_delay_alu instid0(VALU_DEP_1)
	v_bfe_u32 v12, v13, 23, 1
; %bb.8553:                             ;   in Loop: Header=BB6_8078 Depth=3
	s_or_b32 exec_lo, exec_lo, s13
	v_lshrrev_b32_e32 v13, 21, v13
	s_delay_alu instid0(VALU_DEP_2) | instskip(SKIP_2) | instid1(VALU_DEP_2)
	v_cmp_gt_i32_e32 vcc_lo, 32, v12
	v_min_i32_e32 v14, 31, v12
	v_lshrrev_b32_e32 v8, 24, v8
	v_dual_cndmask_b32 v13, 3, v13 :: v_dual_lshlrev_b32 v14, 2, v14
	s_delay_alu instid0(VALU_DEP_2) | instskip(NEXT) | instid1(VALU_DEP_2)
	v_and_b32_e32 v8, 0x80, v8
	v_or_b32_e32 v12, v12, v13
	v_and_b32_e32 v15, 3, v13
	s_delay_alu instid0(VALU_DEP_2) | instskip(SKIP_1) | instid1(VALU_DEP_1)
	v_cmp_ne_u32_e32 vcc_lo, 0, v12
	v_and_b32_e32 v14, 0xfc, v14
	v_or3_b32 v8, v14, v8, v15
	s_delay_alu instid0(VALU_DEP_1)
	v_cndmask_b32_e32 v63, 0, v8, vcc_lo
.LBB6_8554:                             ;   in Loop: Header=BB6_8078 Depth=3
	s_or_b32 exec_lo, exec_lo, s31
.LBB6_8555:                             ;   in Loop: Header=BB6_8078 Depth=3
	s_delay_alu instid0(SALU_CYCLE_1) | instskip(SKIP_3) | instid1(VALU_DEP_1)
	s_or_b32 exec_lo, exec_lo, s30
	v_lshrrev_b32_e32 v8, 24, v9
	s_mov_b32 s13, 0
	s_mov_b32 s31, exec_lo
                                        ; implicit-def: $sgpr30
	v_cmpx_lt_i16_e32 0x7f, v8
	s_xor_b32 s31, exec_lo, s31
	s_cbranch_execnz .LBB6_10033
; %bb.8556:                             ;   in Loop: Header=BB6_8078 Depth=3
	s_or_saveexec_b32 s31, s31
	v_mov_b32_e32 v12, s30
	s_xor_b32 exec_lo, exec_lo, s31
	s_cbranch_execnz .LBB6_10036
.LBB6_8557:                             ;   in Loop: Header=BB6_8078 Depth=3
	s_or_b32 exec_lo, exec_lo, s31
	s_and_saveexec_b32 s30, s13
	s_cbranch_execz .LBB6_8559
.LBB6_8558:                             ;   in Loop: Header=BB6_8078 Depth=3
	v_bfe_u32 v12, v9, 24, 2
	s_delay_alu instid0(VALU_DEP_1) | instskip(NEXT) | instid1(VALU_DEP_1)
	v_clz_i32_u32_e32 v13, v12
	v_min_u32_e32 v13, 32, v13
	s_delay_alu instid0(VALU_DEP_1) | instskip(SKIP_1) | instid1(VALU_DEP_2)
	v_subrev_nc_u32_e32 v14, 29, v13
	v_sub_nc_u32_e32 v13, 30, v13
	v_lshlrev_b32_e32 v8, v14, v8
	v_bfe_u32 v14, v9, 26, 5
	v_and_b32_e32 v9, 0x80000000, v9
	s_delay_alu instid0(VALU_DEP_2) | instskip(NEXT) | instid1(VALU_DEP_4)
	v_cmp_eq_u32_e32 vcc_lo, 0, v14
	v_dual_cndmask_b32 v13, v14, v13 :: v_dual_and_b32 v8, 3, v8
	s_delay_alu instid0(VALU_DEP_1) | instskip(NEXT) | instid1(VALU_DEP_2)
	v_cndmask_b32_e32 v8, v12, v8, vcc_lo
	v_lshl_add_u32 v12, v13, 23, 0x37800000
	s_delay_alu instid0(VALU_DEP_2) | instskip(NEXT) | instid1(VALU_DEP_1)
	v_lshlrev_b32_e32 v8, 21, v8
	v_or3_b32 v12, v9, v12, v8
.LBB6_8559:                             ;   in Loop: Header=BB6_8078 Depth=3
	s_or_b32 exec_lo, exec_lo, s30
	s_delay_alu instid0(VALU_DEP_1) | instskip(SKIP_1) | instid1(VALU_DEP_1)
	v_dual_mul_f32 v8, s17, v12 :: v_dual_mov_b32 v75, 0x8000
	s_mov_b32 s30, exec_lo
	v_and_b32_e32 v9, 0x7f800000, v8
	s_delay_alu instid0(VALU_DEP_1)
	v_cmpx_ne_u32_e32 0x7f800000, v9
	s_cbranch_execz .LBB6_8567
; %bb.8560:                             ;   in Loop: Header=BB6_8078 Depth=3
	v_mov_b32_e32 v75, 0
	s_mov_b32 s31, exec_lo
	v_cmpx_ne_u32_e32 0, v8
	s_cbranch_execz .LBB6_8566
; %bb.8561:                             ;   in Loop: Header=BB6_8078 Depth=3
	v_bfe_u32 v9, v8, 23, 8
	s_delay_alu instid0(VALU_DEP_1) | instskip(SKIP_1) | instid1(VALU_DEP_2)
	v_sub_nc_u32_e32 v13, 0x70, v9
	v_cmp_gt_u32_e32 vcc_lo, 0x71, v9
	v_dual_cndmask_b32 v13, 0, v13 :: v_dual_and_b32 v12, 0x7fffff, v8
	s_delay_alu instid0(VALU_DEP_1) | instskip(SKIP_2) | instid1(VALU_DEP_4)
	v_or_b32_e32 v14, 0x800000, v12
	v_cmp_eq_u32_e32 vcc_lo, 0, v9
	v_add_nc_u32_e32 v9, 0xffffff91, v9
	v_cndmask_b32_e64 v13, v13, 0x6f, vcc_lo
	s_delay_alu instid0(VALU_DEP_4) | instskip(NEXT) | instid1(VALU_DEP_3)
	v_cndmask_b32_e32 v12, v14, v12, vcc_lo
	v_cndmask_b32_e64 v9, v9, 0xffffff92, vcc_lo
	s_delay_alu instid0(VALU_DEP_3) | instskip(NEXT) | instid1(VALU_DEP_3)
	v_lshl_add_u32 v14, 0x200000, v13, -1
	v_lshrrev_b32_e32 v15, v13, v12
	v_lshlrev_b32_e64 v17, v13, 0x100000
	s_delay_alu instid0(VALU_DEP_4) | instskip(NEXT) | instid1(VALU_DEP_4)
	v_add_nc_u32_e32 v13, v13, v9
	v_and_b32_e32 v12, v14, v12
	s_delay_alu instid0(VALU_DEP_4) | instskip(NEXT) | instid1(VALU_DEP_2)
	v_bfe_u32 v16, v15, 21, 1
	v_cmp_eq_u32_e64 s13, v12, v17
	s_delay_alu instid0(VALU_DEP_2) | instskip(NEXT) | instid1(VALU_DEP_1)
	v_add_nc_u32_e32 v14, -1, v16
	v_cndmask_b32_e64 v12, 0, v14, s13
	v_lshrrev_b32_e32 v14, 23, v15
	s_mov_b32 s13, exec_lo
	s_delay_alu instid0(VALU_DEP_2) | instskip(NEXT) | instid1(VALU_DEP_2)
	v_add_nc_u32_e32 v12, v12, v15
	v_xor_b32_e32 v14, 1, v14
	s_delay_alu instid0(VALU_DEP_2) | instskip(NEXT) | instid1(VALU_DEP_1)
	v_and_b32_e32 v9, 0x1fffff, v12
	v_add_nc_u32_e32 v12, v9, v15
                                        ; implicit-def: $vgpr9
	s_delay_alu instid0(VALU_DEP_3)
	v_cmpx_ne_u32_e64 v13, v14
	s_xor_b32 s13, exec_lo, s13
; %bb.8562:                             ;   in Loop: Header=BB6_8078 Depth=3
	s_delay_alu instid0(VALU_DEP_2) | instskip(SKIP_2) | instid1(VALU_DEP_2)
	v_cmp_lt_u32_e32 vcc_lo, 0xffffff, v12
	v_sub_nc_u32_e32 v9, v13, v14
	v_cndmask_b32_e64 v13, 0, 1, vcc_lo
	v_add_co_ci_u32_e32 v9, vcc_lo, 0, v9, vcc_lo
	s_delay_alu instid0(VALU_DEP_2)
	v_lshrrev_b32_e32 v12, v13, v12
; %bb.8563:                             ;   in Loop: Header=BB6_8078 Depth=3
	s_and_not1_saveexec_b32 s13, s13
; %bb.8564:                             ;   in Loop: Header=BB6_8078 Depth=3
	s_delay_alu instid0(VALU_DEP_1)
	v_bfe_u32 v9, v12, 23, 1
; %bb.8565:                             ;   in Loop: Header=BB6_8078 Depth=3
	s_or_b32 exec_lo, exec_lo, s13
	v_lshrrev_b32_e32 v12, 21, v12
	s_delay_alu instid0(VALU_DEP_2) | instskip(SKIP_2) | instid1(VALU_DEP_3)
	v_min_i32_e32 v13, 31, v9
	v_cmp_gt_i32_e32 vcc_lo, 32, v9
	v_lshrrev_b32_e32 v8, 24, v8
	v_dual_cndmask_b32 v12, 3, v12 :: v_dual_lshlrev_b32 v13, 2, v13
	s_delay_alu instid0(VALU_DEP_2) | instskip(NEXT) | instid1(VALU_DEP_2)
	v_and_b32_e32 v8, 0x80, v8
	v_and_b32_e32 v13, 0xfc, v13
	s_delay_alu instid0(VALU_DEP_3) | instskip(SKIP_1) | instid1(VALU_DEP_2)
	v_and_b32_e32 v14, 3, v12
	v_or_b32_e32 v9, v9, v12
	v_or3_b32 v8, v8, v13, v14
	s_delay_alu instid0(VALU_DEP_2) | instskip(NEXT) | instid1(VALU_DEP_2)
	v_cmp_ne_u32_e32 vcc_lo, 0, v9
	v_lshlrev_b32_e32 v8, 8, v8
	s_delay_alu instid0(VALU_DEP_1)
	v_cndmask_b32_e32 v75, 0, v8, vcc_lo
.LBB6_8566:                             ;   in Loop: Header=BB6_8078 Depth=3
	s_or_b32 exec_lo, exec_lo, s31
.LBB6_8567:                             ;   in Loop: Header=BB6_8078 Depth=3
	s_delay_alu instid0(SALU_CYCLE_1) | instskip(SKIP_3) | instid1(VALU_DEP_1)
	s_or_b32 exec_lo, exec_lo, s30
	v_and_b32_e32 v9, 0xff, v10
	s_mov_b32 s13, 0
	s_mov_b32 s31, exec_lo
                                        ; implicit-def: $sgpr30
	v_cmpx_lt_i16_e32 0x7f, v9
	s_xor_b32 s31, exec_lo, s31
	s_cbranch_execnz .LBB6_10037
; %bb.8568:                             ;   in Loop: Header=BB6_8078 Depth=3
	s_or_saveexec_b32 s31, s31
	v_mov_b32_e32 v8, s30
	s_xor_b32 exec_lo, exec_lo, s31
	s_cbranch_execnz .LBB6_10040
.LBB6_8569:                             ;   in Loop: Header=BB6_8078 Depth=3
	s_or_b32 exec_lo, exec_lo, s31
	s_and_saveexec_b32 s30, s13
	s_cbranch_execz .LBB6_8571
.LBB6_8570:                             ;   in Loop: Header=BB6_8078 Depth=3
	v_bfe_u32 v13, v10, 2, 5
	v_lshlrev_b32_e32 v14, 24, v10
	s_delay_alu instid0(VALU_DEP_2) | instskip(SKIP_1) | instid1(VALU_DEP_1)
	v_cmp_eq_u32_e32 vcc_lo, 0, v13
	v_and_b32_e32 v8, 3, v10
	v_clz_i32_u32_e32 v9, v8
	s_delay_alu instid0(VALU_DEP_1) | instskip(NEXT) | instid1(VALU_DEP_1)
	v_min_u32_e32 v9, 32, v9
	v_subrev_nc_u32_e32 v12, 29, v9
	v_sub_nc_u32_e32 v9, 30, v9
	s_delay_alu instid0(VALU_DEP_1) | instskip(NEXT) | instid1(VALU_DEP_1)
	v_dual_cndmask_b32 v9, v13, v9 :: v_dual_lshlrev_b32 v12, v12, v10
	v_and_b32_e32 v12, 3, v12
	s_delay_alu instid0(VALU_DEP_2) | instskip(NEXT) | instid1(VALU_DEP_2)
	v_lshl_add_u32 v9, v9, 23, 0x37800000
	v_cndmask_b32_e32 v8, v8, v12, vcc_lo
	v_and_b32_e32 v12, 0x80000000, v14
	s_delay_alu instid0(VALU_DEP_2) | instskip(NEXT) | instid1(VALU_DEP_1)
	v_lshlrev_b32_e32 v8, 21, v8
	v_or3_b32 v8, v12, v9, v8
.LBB6_8571:                             ;   in Loop: Header=BB6_8078 Depth=3
	s_or_b32 exec_lo, exec_lo, s30
	s_delay_alu instid0(VALU_DEP_1) | instskip(SKIP_2) | instid1(VALU_DEP_2)
	v_mul_f32_e32 v8, s17, v8
	v_mov_b32_e32 v62, 0x80
	s_mov_b32 s30, exec_lo
	v_and_b32_e32 v9, 0x7f800000, v8
	s_delay_alu instid0(VALU_DEP_1)
	v_cmpx_ne_u32_e32 0x7f800000, v9
	s_cbranch_execz .LBB6_8579
; %bb.8572:                             ;   in Loop: Header=BB6_8078 Depth=3
	v_mov_b32_e32 v62, 0
	s_mov_b32 s31, exec_lo
	v_cmpx_ne_u32_e32 0, v8
	s_cbranch_execz .LBB6_8578
; %bb.8573:                             ;   in Loop: Header=BB6_8078 Depth=3
	v_bfe_u32 v9, v8, 23, 8
	s_delay_alu instid0(VALU_DEP_1) | instskip(SKIP_1) | instid1(VALU_DEP_2)
	v_sub_nc_u32_e32 v13, 0x70, v9
	v_cmp_gt_u32_e32 vcc_lo, 0x71, v9
	v_dual_cndmask_b32 v13, 0, v13 :: v_dual_and_b32 v12, 0x7fffff, v8
	s_delay_alu instid0(VALU_DEP_1) | instskip(SKIP_2) | instid1(VALU_DEP_4)
	v_or_b32_e32 v14, 0x800000, v12
	v_cmp_eq_u32_e32 vcc_lo, 0, v9
	v_add_nc_u32_e32 v9, 0xffffff91, v9
	v_cndmask_b32_e64 v13, v13, 0x6f, vcc_lo
	s_delay_alu instid0(VALU_DEP_4) | instskip(NEXT) | instid1(VALU_DEP_3)
	v_cndmask_b32_e32 v12, v14, v12, vcc_lo
	v_cndmask_b32_e64 v9, v9, 0xffffff92, vcc_lo
	s_delay_alu instid0(VALU_DEP_3) | instskip(NEXT) | instid1(VALU_DEP_3)
	v_lshl_add_u32 v14, 0x200000, v13, -1
	v_lshrrev_b32_e32 v15, v13, v12
	v_lshlrev_b32_e64 v17, v13, 0x100000
	s_delay_alu instid0(VALU_DEP_4) | instskip(NEXT) | instid1(VALU_DEP_4)
	v_add_nc_u32_e32 v13, v13, v9
	v_and_b32_e32 v12, v14, v12
	s_delay_alu instid0(VALU_DEP_4) | instskip(NEXT) | instid1(VALU_DEP_2)
	v_bfe_u32 v16, v15, 21, 1
	v_cmp_eq_u32_e64 s13, v12, v17
	s_delay_alu instid0(VALU_DEP_2) | instskip(NEXT) | instid1(VALU_DEP_1)
	v_add_nc_u32_e32 v14, -1, v16
	v_cndmask_b32_e64 v12, 0, v14, s13
	v_lshrrev_b32_e32 v14, 23, v15
	s_mov_b32 s13, exec_lo
	s_delay_alu instid0(VALU_DEP_2) | instskip(NEXT) | instid1(VALU_DEP_2)
	v_add_nc_u32_e32 v12, v12, v15
	v_xor_b32_e32 v14, 1, v14
	s_delay_alu instid0(VALU_DEP_2) | instskip(NEXT) | instid1(VALU_DEP_1)
	v_and_b32_e32 v9, 0x1fffff, v12
	v_add_nc_u32_e32 v12, v9, v15
                                        ; implicit-def: $vgpr9
	s_delay_alu instid0(VALU_DEP_3)
	v_cmpx_ne_u32_e64 v13, v14
	s_xor_b32 s13, exec_lo, s13
; %bb.8574:                             ;   in Loop: Header=BB6_8078 Depth=3
	s_delay_alu instid0(VALU_DEP_2) | instskip(SKIP_2) | instid1(VALU_DEP_2)
	v_cmp_lt_u32_e32 vcc_lo, 0xffffff, v12
	v_sub_nc_u32_e32 v9, v13, v14
	v_cndmask_b32_e64 v13, 0, 1, vcc_lo
	v_add_co_ci_u32_e32 v9, vcc_lo, 0, v9, vcc_lo
	s_delay_alu instid0(VALU_DEP_2)
	v_lshrrev_b32_e32 v12, v13, v12
; %bb.8575:                             ;   in Loop: Header=BB6_8078 Depth=3
	s_and_not1_saveexec_b32 s13, s13
; %bb.8576:                             ;   in Loop: Header=BB6_8078 Depth=3
	s_delay_alu instid0(VALU_DEP_1)
	v_bfe_u32 v9, v12, 23, 1
; %bb.8577:                             ;   in Loop: Header=BB6_8078 Depth=3
	s_or_b32 exec_lo, exec_lo, s13
	v_lshrrev_b32_e32 v12, 21, v12
	s_delay_alu instid0(VALU_DEP_2) | instskip(SKIP_2) | instid1(VALU_DEP_4)
	v_cmp_gt_i32_e32 vcc_lo, 32, v9
	v_lshrrev_b32_e32 v8, 24, v8
	v_min_i32_e32 v13, 31, v9
	v_cndmask_b32_e32 v12, 3, v12, vcc_lo
	s_delay_alu instid0(VALU_DEP_3) | instskip(NEXT) | instid1(VALU_DEP_3)
	v_and_b32_e32 v8, 0x80, v8
	v_lshlrev_b32_e32 v13, 2, v13
	s_delay_alu instid0(VALU_DEP_3) | instskip(SKIP_1) | instid1(VALU_DEP_2)
	v_and_b32_e32 v14, 3, v12
	v_or_b32_e32 v9, v9, v12
	v_or3_b32 v8, v13, v8, v14
	s_delay_alu instid0(VALU_DEP_2) | instskip(NEXT) | instid1(VALU_DEP_2)
	v_cmp_ne_u32_e32 vcc_lo, 0, v9
	v_cndmask_b32_e32 v62, 0, v8, vcc_lo
.LBB6_8578:                             ;   in Loop: Header=BB6_8078 Depth=3
	s_or_b32 exec_lo, exec_lo, s31
.LBB6_8579:                             ;   in Loop: Header=BB6_8078 Depth=3
	s_delay_alu instid0(SALU_CYCLE_1) | instskip(SKIP_3) | instid1(VALU_DEP_1)
	s_or_b32 exec_lo, exec_lo, s30
	v_lshrrev_b16 v8, 8, v10
	s_mov_b32 s13, 0
	s_mov_b32 s31, exec_lo
                                        ; implicit-def: $sgpr30
	v_cmpx_lt_i16_e32 0x7f, v8
	s_xor_b32 s31, exec_lo, s31
	s_cbranch_execnz .LBB6_10041
; %bb.8580:                             ;   in Loop: Header=BB6_8078 Depth=3
	s_or_saveexec_b32 s31, s31
	v_mov_b32_e32 v9, s30
	s_xor_b32 exec_lo, exec_lo, s31
	s_cbranch_execnz .LBB6_10044
.LBB6_8581:                             ;   in Loop: Header=BB6_8078 Depth=3
	s_or_b32 exec_lo, exec_lo, s31
	s_and_saveexec_b32 s30, s13
	s_cbranch_execz .LBB6_8583
.LBB6_8582:                             ;   in Loop: Header=BB6_8078 Depth=3
	v_and_b32_e32 v9, 0xffff, v8
	v_lshlrev_b32_e32 v8, 24, v8
	s_delay_alu instid0(VALU_DEP_2) | instskip(NEXT) | instid1(VALU_DEP_2)
	v_and_b32_e32 v12, 3, v9
	v_and_b32_e32 v8, 0x80000000, v8
	s_delay_alu instid0(VALU_DEP_2) | instskip(NEXT) | instid1(VALU_DEP_1)
	v_clz_i32_u32_e32 v13, v12
	v_min_u32_e32 v13, 32, v13
	s_delay_alu instid0(VALU_DEP_1) | instskip(SKIP_1) | instid1(VALU_DEP_2)
	v_subrev_nc_u32_e32 v14, 29, v13
	v_sub_nc_u32_e32 v13, 30, v13
	v_lshlrev_b32_e32 v14, v14, v9
	v_bfe_u32 v9, v9, 2, 5
	s_delay_alu instid0(VALU_DEP_1) | instskip(NEXT) | instid1(VALU_DEP_3)
	v_cmp_eq_u32_e32 vcc_lo, 0, v9
	v_dual_cndmask_b32 v9, v9, v13 :: v_dual_and_b32 v14, 3, v14
	s_delay_alu instid0(VALU_DEP_1) | instskip(NEXT) | instid1(VALU_DEP_2)
	v_cndmask_b32_e32 v12, v12, v14, vcc_lo
	v_lshl_add_u32 v9, v9, 23, 0x37800000
	s_delay_alu instid0(VALU_DEP_2) | instskip(NEXT) | instid1(VALU_DEP_1)
	v_lshlrev_b32_e32 v12, 21, v12
	v_or3_b32 v9, v8, v9, v12
.LBB6_8583:                             ;   in Loop: Header=BB6_8078 Depth=3
	s_or_b32 exec_lo, exec_lo, s30
	s_delay_alu instid0(VALU_DEP_1) | instskip(SKIP_2) | instid1(VALU_DEP_2)
	v_mul_f32_e32 v8, s17, v9
	v_mov_b32_e32 v60, 0x80
	s_mov_b32 s30, exec_lo
	v_and_b32_e32 v9, 0x7f800000, v8
	s_delay_alu instid0(VALU_DEP_1)
	v_cmpx_ne_u32_e32 0x7f800000, v9
	s_cbranch_execz .LBB6_8591
; %bb.8584:                             ;   in Loop: Header=BB6_8078 Depth=3
	v_mov_b32_e32 v60, 0
	s_mov_b32 s31, exec_lo
	v_cmpx_ne_u32_e32 0, v8
	s_cbranch_execz .LBB6_8590
; %bb.8585:                             ;   in Loop: Header=BB6_8078 Depth=3
	v_bfe_u32 v9, v8, 23, 8
	s_delay_alu instid0(VALU_DEP_1) | instskip(SKIP_1) | instid1(VALU_DEP_2)
	v_sub_nc_u32_e32 v13, 0x70, v9
	v_cmp_gt_u32_e32 vcc_lo, 0x71, v9
	v_dual_cndmask_b32 v13, 0, v13 :: v_dual_and_b32 v12, 0x7fffff, v8
	s_delay_alu instid0(VALU_DEP_1) | instskip(SKIP_2) | instid1(VALU_DEP_4)
	v_or_b32_e32 v14, 0x800000, v12
	v_cmp_eq_u32_e32 vcc_lo, 0, v9
	v_add_nc_u32_e32 v9, 0xffffff91, v9
	v_cndmask_b32_e64 v13, v13, 0x6f, vcc_lo
	s_delay_alu instid0(VALU_DEP_4) | instskip(NEXT) | instid1(VALU_DEP_3)
	v_cndmask_b32_e32 v12, v14, v12, vcc_lo
	v_cndmask_b32_e64 v9, v9, 0xffffff92, vcc_lo
	s_delay_alu instid0(VALU_DEP_3) | instskip(NEXT) | instid1(VALU_DEP_3)
	v_lshl_add_u32 v14, 0x200000, v13, -1
	v_lshrrev_b32_e32 v15, v13, v12
	v_lshlrev_b32_e64 v17, v13, 0x100000
	s_delay_alu instid0(VALU_DEP_4) | instskip(NEXT) | instid1(VALU_DEP_4)
	v_add_nc_u32_e32 v13, v13, v9
	v_and_b32_e32 v12, v14, v12
	s_delay_alu instid0(VALU_DEP_4) | instskip(NEXT) | instid1(VALU_DEP_2)
	v_bfe_u32 v16, v15, 21, 1
	v_cmp_eq_u32_e64 s13, v12, v17
	s_delay_alu instid0(VALU_DEP_2) | instskip(NEXT) | instid1(VALU_DEP_1)
	v_add_nc_u32_e32 v14, -1, v16
	v_cndmask_b32_e64 v12, 0, v14, s13
	v_lshrrev_b32_e32 v14, 23, v15
	s_mov_b32 s13, exec_lo
	s_delay_alu instid0(VALU_DEP_2) | instskip(NEXT) | instid1(VALU_DEP_2)
	v_add_nc_u32_e32 v12, v12, v15
	v_xor_b32_e32 v14, 1, v14
	s_delay_alu instid0(VALU_DEP_2) | instskip(NEXT) | instid1(VALU_DEP_1)
	v_and_b32_e32 v9, 0x1fffff, v12
	v_add_nc_u32_e32 v12, v9, v15
                                        ; implicit-def: $vgpr9
	s_delay_alu instid0(VALU_DEP_3)
	v_cmpx_ne_u32_e64 v13, v14
	s_xor_b32 s13, exec_lo, s13
; %bb.8586:                             ;   in Loop: Header=BB6_8078 Depth=3
	s_delay_alu instid0(VALU_DEP_2) | instskip(SKIP_2) | instid1(VALU_DEP_2)
	v_cmp_lt_u32_e32 vcc_lo, 0xffffff, v12
	v_sub_nc_u32_e32 v9, v13, v14
	v_cndmask_b32_e64 v13, 0, 1, vcc_lo
	v_add_co_ci_u32_e32 v9, vcc_lo, 0, v9, vcc_lo
	s_delay_alu instid0(VALU_DEP_2)
	v_lshrrev_b32_e32 v12, v13, v12
; %bb.8587:                             ;   in Loop: Header=BB6_8078 Depth=3
	s_and_not1_saveexec_b32 s13, s13
; %bb.8588:                             ;   in Loop: Header=BB6_8078 Depth=3
	s_delay_alu instid0(VALU_DEP_1)
	v_bfe_u32 v9, v12, 23, 1
; %bb.8589:                             ;   in Loop: Header=BB6_8078 Depth=3
	s_or_b32 exec_lo, exec_lo, s13
	v_lshrrev_b32_e32 v12, 21, v12
	s_delay_alu instid0(VALU_DEP_2) | instskip(SKIP_2) | instid1(VALU_DEP_4)
	v_cmp_gt_i32_e32 vcc_lo, 32, v9
	v_lshrrev_b32_e32 v8, 24, v8
	v_min_i32_e32 v13, 31, v9
	v_cndmask_b32_e32 v12, 3, v12, vcc_lo
	s_delay_alu instid0(VALU_DEP_3) | instskip(NEXT) | instid1(VALU_DEP_3)
	v_and_b32_e32 v8, 0x80, v8
	v_lshlrev_b32_e32 v13, 2, v13
	s_delay_alu instid0(VALU_DEP_3) | instskip(SKIP_1) | instid1(VALU_DEP_2)
	v_and_b32_e32 v14, 3, v12
	v_or_b32_e32 v9, v9, v12
	v_or3_b32 v8, v13, v8, v14
	s_delay_alu instid0(VALU_DEP_2) | instskip(NEXT) | instid1(VALU_DEP_2)
	v_cmp_ne_u32_e32 vcc_lo, 0, v9
	v_cndmask_b32_e32 v60, 0, v8, vcc_lo
.LBB6_8590:                             ;   in Loop: Header=BB6_8078 Depth=3
	s_or_b32 exec_lo, exec_lo, s31
.LBB6_8591:                             ;   in Loop: Header=BB6_8078 Depth=3
	s_delay_alu instid0(SALU_CYCLE_1) | instskip(SKIP_3) | instid1(VALU_DEP_1)
	s_or_b32 exec_lo, exec_lo, s30
	v_lshrrev_b32_e32 v8, 16, v10
	s_mov_b32 s13, 0
	s_mov_b32 s31, exec_lo
                                        ; implicit-def: $sgpr30
	v_and_b32_e32 v12, 0xff, v8
	s_delay_alu instid0(VALU_DEP_1)
	v_cmpx_lt_i16_e32 0x7f, v12
	s_xor_b32 s31, exec_lo, s31
	s_cbranch_execnz .LBB6_10045
; %bb.8592:                             ;   in Loop: Header=BB6_8078 Depth=3
	s_or_saveexec_b32 s31, s31
	v_mov_b32_e32 v9, s30
	s_xor_b32 exec_lo, exec_lo, s31
	s_cbranch_execnz .LBB6_10048
.LBB6_8593:                             ;   in Loop: Header=BB6_8078 Depth=3
	s_or_b32 exec_lo, exec_lo, s31
	s_and_saveexec_b32 s30, s13
	s_cbranch_execz .LBB6_8595
.LBB6_8594:                             ;   in Loop: Header=BB6_8078 Depth=3
	v_bfe_u32 v9, v10, 16, 2
	v_lshlrev_b32_e32 v14, 8, v10
	s_delay_alu instid0(VALU_DEP_2) | instskip(NEXT) | instid1(VALU_DEP_1)
	v_clz_i32_u32_e32 v12, v9
	v_min_u32_e32 v12, 32, v12
	s_delay_alu instid0(VALU_DEP_1) | instskip(SKIP_1) | instid1(VALU_DEP_2)
	v_subrev_nc_u32_e32 v13, 29, v12
	v_sub_nc_u32_e32 v12, 30, v12
	v_lshlrev_b32_e32 v8, v13, v8
	v_bfe_u32 v13, v10, 18, 5
	s_delay_alu instid0(VALU_DEP_2) | instskip(NEXT) | instid1(VALU_DEP_2)
	v_and_b32_e32 v8, 3, v8
	v_cmp_eq_u32_e32 vcc_lo, 0, v13
	v_cndmask_b32_e32 v12, v13, v12, vcc_lo
	s_delay_alu instid0(VALU_DEP_3) | instskip(NEXT) | instid1(VALU_DEP_2)
	v_dual_cndmask_b32 v8, v9, v8 :: v_dual_and_b32 v9, 0x80000000, v14
	v_lshl_add_u32 v12, v12, 23, 0x37800000
	s_delay_alu instid0(VALU_DEP_2) | instskip(NEXT) | instid1(VALU_DEP_1)
	v_lshlrev_b32_e32 v8, 21, v8
	v_or3_b32 v9, v9, v12, v8
.LBB6_8595:                             ;   in Loop: Header=BB6_8078 Depth=3
	s_or_b32 exec_lo, exec_lo, s30
	s_delay_alu instid0(VALU_DEP_1) | instskip(SKIP_1) | instid1(VALU_DEP_1)
	v_dual_mul_f32 v8, s17, v9 :: v_dual_mov_b32 v59, 0x80
	s_mov_b32 s30, exec_lo
	v_and_b32_e32 v9, 0x7f800000, v8
	s_delay_alu instid0(VALU_DEP_1)
	v_cmpx_ne_u32_e32 0x7f800000, v9
	s_cbranch_execz .LBB6_8603
; %bb.8596:                             ;   in Loop: Header=BB6_8078 Depth=3
	v_mov_b32_e32 v59, 0
	s_mov_b32 s31, exec_lo
	v_cmpx_ne_u32_e32 0, v8
	s_cbranch_execz .LBB6_8602
; %bb.8597:                             ;   in Loop: Header=BB6_8078 Depth=3
	v_bfe_u32 v9, v8, 23, 8
	s_delay_alu instid0(VALU_DEP_1) | instskip(SKIP_1) | instid1(VALU_DEP_2)
	v_sub_nc_u32_e32 v13, 0x70, v9
	v_cmp_gt_u32_e32 vcc_lo, 0x71, v9
	v_dual_cndmask_b32 v13, 0, v13 :: v_dual_and_b32 v12, 0x7fffff, v8
	s_delay_alu instid0(VALU_DEP_1) | instskip(SKIP_2) | instid1(VALU_DEP_4)
	v_or_b32_e32 v14, 0x800000, v12
	v_cmp_eq_u32_e32 vcc_lo, 0, v9
	v_add_nc_u32_e32 v9, 0xffffff91, v9
	v_cndmask_b32_e64 v13, v13, 0x6f, vcc_lo
	s_delay_alu instid0(VALU_DEP_4) | instskip(NEXT) | instid1(VALU_DEP_3)
	v_cndmask_b32_e32 v12, v14, v12, vcc_lo
	v_cndmask_b32_e64 v9, v9, 0xffffff92, vcc_lo
	s_delay_alu instid0(VALU_DEP_3) | instskip(NEXT) | instid1(VALU_DEP_3)
	v_lshl_add_u32 v14, 0x200000, v13, -1
	v_lshrrev_b32_e32 v15, v13, v12
	v_lshlrev_b32_e64 v17, v13, 0x100000
	s_delay_alu instid0(VALU_DEP_4) | instskip(NEXT) | instid1(VALU_DEP_4)
	v_add_nc_u32_e32 v13, v13, v9
	v_and_b32_e32 v12, v14, v12
	s_delay_alu instid0(VALU_DEP_4) | instskip(NEXT) | instid1(VALU_DEP_2)
	v_bfe_u32 v16, v15, 21, 1
	v_cmp_eq_u32_e64 s13, v12, v17
	s_delay_alu instid0(VALU_DEP_2) | instskip(NEXT) | instid1(VALU_DEP_1)
	v_add_nc_u32_e32 v14, -1, v16
	v_cndmask_b32_e64 v12, 0, v14, s13
	v_lshrrev_b32_e32 v14, 23, v15
	s_mov_b32 s13, exec_lo
	s_delay_alu instid0(VALU_DEP_2) | instskip(NEXT) | instid1(VALU_DEP_2)
	v_add_nc_u32_e32 v12, v12, v15
	v_xor_b32_e32 v14, 1, v14
	s_delay_alu instid0(VALU_DEP_2) | instskip(NEXT) | instid1(VALU_DEP_1)
	v_and_b32_e32 v9, 0x1fffff, v12
	v_add_nc_u32_e32 v12, v9, v15
                                        ; implicit-def: $vgpr9
	s_delay_alu instid0(VALU_DEP_3)
	v_cmpx_ne_u32_e64 v13, v14
	s_xor_b32 s13, exec_lo, s13
; %bb.8598:                             ;   in Loop: Header=BB6_8078 Depth=3
	s_delay_alu instid0(VALU_DEP_2) | instskip(SKIP_2) | instid1(VALU_DEP_2)
	v_cmp_lt_u32_e32 vcc_lo, 0xffffff, v12
	v_sub_nc_u32_e32 v9, v13, v14
	v_cndmask_b32_e64 v13, 0, 1, vcc_lo
	v_add_co_ci_u32_e32 v9, vcc_lo, 0, v9, vcc_lo
	s_delay_alu instid0(VALU_DEP_2)
	v_lshrrev_b32_e32 v12, v13, v12
; %bb.8599:                             ;   in Loop: Header=BB6_8078 Depth=3
	s_and_not1_saveexec_b32 s13, s13
; %bb.8600:                             ;   in Loop: Header=BB6_8078 Depth=3
	s_delay_alu instid0(VALU_DEP_1)
	v_bfe_u32 v9, v12, 23, 1
; %bb.8601:                             ;   in Loop: Header=BB6_8078 Depth=3
	s_or_b32 exec_lo, exec_lo, s13
	v_lshrrev_b32_e32 v12, 21, v12
	s_delay_alu instid0(VALU_DEP_2) | instskip(SKIP_2) | instid1(VALU_DEP_4)
	v_cmp_gt_i32_e32 vcc_lo, 32, v9
	v_lshrrev_b32_e32 v8, 24, v8
	v_min_i32_e32 v13, 31, v9
	v_cndmask_b32_e32 v12, 3, v12, vcc_lo
	s_delay_alu instid0(VALU_DEP_3) | instskip(NEXT) | instid1(VALU_DEP_3)
	v_and_b32_e32 v8, 0x80, v8
	v_lshlrev_b32_e32 v13, 2, v13
	s_delay_alu instid0(VALU_DEP_3) | instskip(SKIP_1) | instid1(VALU_DEP_2)
	v_and_b32_e32 v14, 3, v12
	v_or_b32_e32 v9, v9, v12
	v_or3_b32 v8, v13, v8, v14
	s_delay_alu instid0(VALU_DEP_2) | instskip(NEXT) | instid1(VALU_DEP_2)
	v_cmp_ne_u32_e32 vcc_lo, 0, v9
	v_cndmask_b32_e32 v59, 0, v8, vcc_lo
.LBB6_8602:                             ;   in Loop: Header=BB6_8078 Depth=3
	s_or_b32 exec_lo, exec_lo, s31
.LBB6_8603:                             ;   in Loop: Header=BB6_8078 Depth=3
	s_delay_alu instid0(SALU_CYCLE_1) | instskip(SKIP_3) | instid1(VALU_DEP_1)
	s_or_b32 exec_lo, exec_lo, s30
	v_lshrrev_b32_e32 v8, 24, v10
	s_mov_b32 s13, 0
	s_mov_b32 s31, exec_lo
                                        ; implicit-def: $sgpr30
	v_cmpx_lt_i16_e32 0x7f, v8
	s_xor_b32 s31, exec_lo, s31
	s_cbranch_execnz .LBB6_10049
; %bb.8604:                             ;   in Loop: Header=BB6_8078 Depth=3
	s_or_saveexec_b32 s31, s31
	v_mov_b32_e32 v9, s30
	s_xor_b32 exec_lo, exec_lo, s31
	s_cbranch_execnz .LBB6_10052
.LBB6_8605:                             ;   in Loop: Header=BB6_8078 Depth=3
	s_or_b32 exec_lo, exec_lo, s31
	s_and_saveexec_b32 s30, s13
	s_cbranch_execz .LBB6_8607
.LBB6_8606:                             ;   in Loop: Header=BB6_8078 Depth=3
	v_bfe_u32 v9, v10, 24, 2
	s_delay_alu instid0(VALU_DEP_1) | instskip(NEXT) | instid1(VALU_DEP_1)
	v_clz_i32_u32_e32 v12, v9
	v_min_u32_e32 v12, 32, v12
	s_delay_alu instid0(VALU_DEP_1) | instskip(SKIP_1) | instid1(VALU_DEP_2)
	v_subrev_nc_u32_e32 v13, 29, v12
	v_sub_nc_u32_e32 v12, 30, v12
	v_lshlrev_b32_e32 v8, v13, v8
	v_bfe_u32 v13, v10, 26, 5
	s_delay_alu instid0(VALU_DEP_2) | instskip(NEXT) | instid1(VALU_DEP_2)
	v_and_b32_e32 v8, 3, v8
	v_cmp_eq_u32_e32 vcc_lo, 0, v13
	v_cndmask_b32_e32 v12, v13, v12, vcc_lo
	s_delay_alu instid0(VALU_DEP_3) | instskip(NEXT) | instid1(VALU_DEP_2)
	v_dual_cndmask_b32 v8, v9, v8 :: v_dual_and_b32 v9, 0x80000000, v10
	v_lshl_add_u32 v10, v12, 23, 0x37800000
	s_delay_alu instid0(VALU_DEP_2) | instskip(NEXT) | instid1(VALU_DEP_1)
	v_lshlrev_b32_e32 v8, 21, v8
	v_or3_b32 v9, v9, v10, v8
.LBB6_8607:                             ;   in Loop: Header=BB6_8078 Depth=3
	s_or_b32 exec_lo, exec_lo, s30
	s_delay_alu instid0(VALU_DEP_1) | instskip(SKIP_2) | instid1(VALU_DEP_2)
	v_mul_f32_e32 v8, s17, v9
	v_mov_b32_e32 v56, 0x80
	s_mov_b32 s30, exec_lo
	v_and_b32_e32 v9, 0x7f800000, v8
	s_delay_alu instid0(VALU_DEP_1)
	v_cmpx_ne_u32_e32 0x7f800000, v9
	s_cbranch_execz .LBB6_8615
; %bb.8608:                             ;   in Loop: Header=BB6_8078 Depth=3
	v_mov_b32_e32 v56, 0
	s_mov_b32 s31, exec_lo
	v_cmpx_ne_u32_e32 0, v8
	s_cbranch_execz .LBB6_8614
; %bb.8609:                             ;   in Loop: Header=BB6_8078 Depth=3
	v_bfe_u32 v9, v8, 23, 8
	v_and_b32_e32 v10, 0x7fffff, v8
	s_delay_alu instid0(VALU_DEP_2) | instskip(SKIP_1) | instid1(VALU_DEP_3)
	v_sub_nc_u32_e32 v12, 0x70, v9
	v_cmp_gt_u32_e32 vcc_lo, 0x71, v9
	v_or_b32_e32 v13, 0x800000, v10
	s_delay_alu instid0(VALU_DEP_3) | instskip(SKIP_2) | instid1(VALU_DEP_3)
	v_cndmask_b32_e32 v12, 0, v12, vcc_lo
	v_cmp_eq_u32_e32 vcc_lo, 0, v9
	v_add_nc_u32_e32 v9, 0xffffff91, v9
	v_cndmask_b32_e64 v12, v12, 0x6f, vcc_lo
	v_cndmask_b32_e32 v10, v13, v10, vcc_lo
	s_delay_alu instid0(VALU_DEP_3) | instskip(NEXT) | instid1(VALU_DEP_3)
	v_cndmask_b32_e64 v9, v9, 0xffffff92, vcc_lo
	v_lshl_add_u32 v13, 0x200000, v12, -1
	s_delay_alu instid0(VALU_DEP_3) | instskip(SKIP_1) | instid1(VALU_DEP_4)
	v_lshrrev_b32_e32 v14, v12, v10
	v_lshlrev_b32_e64 v16, v12, 0x100000
	v_add_nc_u32_e32 v12, v12, v9
	s_delay_alu instid0(VALU_DEP_4) | instskip(NEXT) | instid1(VALU_DEP_4)
	v_and_b32_e32 v10, v13, v10
	v_bfe_u32 v15, v14, 21, 1
	s_delay_alu instid0(VALU_DEP_2) | instskip(NEXT) | instid1(VALU_DEP_2)
	v_cmp_eq_u32_e64 s13, v10, v16
	v_add_nc_u32_e32 v13, -1, v15
	s_delay_alu instid0(VALU_DEP_1) | instskip(SKIP_2) | instid1(VALU_DEP_2)
	v_cndmask_b32_e64 v10, 0, v13, s13
	v_lshrrev_b32_e32 v13, 23, v14
	s_mov_b32 s13, exec_lo
	v_add_nc_u32_e32 v10, v10, v14
	s_delay_alu instid0(VALU_DEP_2) | instskip(NEXT) | instid1(VALU_DEP_2)
	v_xor_b32_e32 v13, 1, v13
	v_and_b32_e32 v9, 0x1fffff, v10
	s_delay_alu instid0(VALU_DEP_1) | instskip(NEXT) | instid1(VALU_DEP_3)
	v_add_nc_u32_e32 v10, v9, v14
                                        ; implicit-def: $vgpr9
	v_cmpx_ne_u32_e64 v12, v13
	s_xor_b32 s13, exec_lo, s13
; %bb.8610:                             ;   in Loop: Header=BB6_8078 Depth=3
	s_delay_alu instid0(VALU_DEP_2) | instskip(SKIP_2) | instid1(VALU_DEP_2)
	v_cmp_lt_u32_e32 vcc_lo, 0xffffff, v10
	v_sub_nc_u32_e32 v9, v12, v13
	v_cndmask_b32_e64 v12, 0, 1, vcc_lo
	v_add_co_ci_u32_e32 v9, vcc_lo, 0, v9, vcc_lo
	s_delay_alu instid0(VALU_DEP_2)
	v_lshrrev_b32_e32 v10, v12, v10
; %bb.8611:                             ;   in Loop: Header=BB6_8078 Depth=3
	s_and_not1_saveexec_b32 s13, s13
; %bb.8612:                             ;   in Loop: Header=BB6_8078 Depth=3
	s_delay_alu instid0(VALU_DEP_1)
	v_bfe_u32 v9, v10, 23, 1
; %bb.8613:                             ;   in Loop: Header=BB6_8078 Depth=3
	s_or_b32 exec_lo, exec_lo, s13
	v_lshrrev_b32_e32 v10, 21, v10
	s_delay_alu instid0(VALU_DEP_2) | instskip(SKIP_2) | instid1(VALU_DEP_4)
	v_cmp_gt_i32_e32 vcc_lo, 32, v9
	v_lshrrev_b32_e32 v8, 24, v8
	v_min_i32_e32 v12, 31, v9
	v_cndmask_b32_e32 v10, 3, v10, vcc_lo
	s_delay_alu instid0(VALU_DEP_3) | instskip(NEXT) | instid1(VALU_DEP_3)
	v_and_b32_e32 v8, 0x80, v8
	v_lshlrev_b32_e32 v12, 2, v12
	s_delay_alu instid0(VALU_DEP_3) | instskip(NEXT) | instid1(VALU_DEP_1)
	v_or_b32_e32 v9, v9, v10
	v_cmp_ne_u32_e32 vcc_lo, 0, v9
	v_and_b32_e32 v13, 3, v10
	s_delay_alu instid0(VALU_DEP_1) | instskip(NEXT) | instid1(VALU_DEP_1)
	v_or3_b32 v8, v12, v8, v13
	v_cndmask_b32_e32 v56, 0, v8, vcc_lo
.LBB6_8614:                             ;   in Loop: Header=BB6_8078 Depth=3
	s_or_b32 exec_lo, exec_lo, s31
.LBB6_8615:                             ;   in Loop: Header=BB6_8078 Depth=3
	s_delay_alu instid0(SALU_CYCLE_1) | instskip(SKIP_3) | instid1(VALU_DEP_1)
	s_or_b32 exec_lo, exec_lo, s30
	v_and_b32_e32 v9, 0xff, v11
	s_mov_b32 s13, 0
	s_mov_b32 s31, exec_lo
                                        ; implicit-def: $sgpr30
	v_cmpx_lt_i16_e32 0x7f, v9
	s_xor_b32 s31, exec_lo, s31
	s_cbranch_execnz .LBB6_10053
; %bb.8616:                             ;   in Loop: Header=BB6_8078 Depth=3
	s_or_saveexec_b32 s31, s31
	v_mov_b32_e32 v8, s30
	s_xor_b32 exec_lo, exec_lo, s31
	s_cbranch_execnz .LBB6_10056
.LBB6_8617:                             ;   in Loop: Header=BB6_8078 Depth=3
	s_or_b32 exec_lo, exec_lo, s31
	s_and_saveexec_b32 s30, s13
	s_cbranch_execz .LBB6_8619
.LBB6_8618:                             ;   in Loop: Header=BB6_8078 Depth=3
	v_bfe_u32 v12, v11, 2, 5
	s_delay_alu instid0(VALU_DEP_1) | instskip(SKIP_1) | instid1(VALU_DEP_1)
	v_cmp_eq_u32_e32 vcc_lo, 0, v12
	v_and_b32_e32 v8, 3, v11
	v_clz_i32_u32_e32 v9, v8
	s_delay_alu instid0(VALU_DEP_1) | instskip(NEXT) | instid1(VALU_DEP_1)
	v_min_u32_e32 v9, 32, v9
	v_subrev_nc_u32_e32 v10, 29, v9
	v_sub_nc_u32_e32 v9, 30, v9
	s_delay_alu instid0(VALU_DEP_1) | instskip(NEXT) | instid1(VALU_DEP_1)
	v_dual_cndmask_b32 v9, v12, v9 :: v_dual_lshlrev_b32 v10, v10, v11
	v_and_b32_e32 v10, 3, v10
	v_lshlrev_b32_e32 v13, 24, v11
	s_delay_alu instid0(VALU_DEP_3) | instskip(NEXT) | instid1(VALU_DEP_3)
	v_lshl_add_u32 v9, v9, 23, 0x37800000
	v_cndmask_b32_e32 v8, v8, v10, vcc_lo
	s_delay_alu instid0(VALU_DEP_3) | instskip(NEXT) | instid1(VALU_DEP_2)
	v_and_b32_e32 v10, 0x80000000, v13
	v_lshlrev_b32_e32 v8, 21, v8
	s_delay_alu instid0(VALU_DEP_1)
	v_or3_b32 v8, v10, v9, v8
.LBB6_8619:                             ;   in Loop: Header=BB6_8078 Depth=3
	s_or_b32 exec_lo, exec_lo, s30
	s_delay_alu instid0(VALU_DEP_1) | instskip(SKIP_1) | instid1(VALU_DEP_1)
	v_dual_mul_f32 v8, s17, v8 :: v_dual_mov_b32 v47, 0x80
	s_mov_b32 s30, exec_lo
	v_and_b32_e32 v9, 0x7f800000, v8
	s_delay_alu instid0(VALU_DEP_1)
	v_cmpx_ne_u32_e32 0x7f800000, v9
	s_cbranch_execz .LBB6_8627
; %bb.8620:                             ;   in Loop: Header=BB6_8078 Depth=3
	v_mov_b32_e32 v47, 0
	s_mov_b32 s31, exec_lo
	v_cmpx_ne_u32_e32 0, v8
	s_cbranch_execz .LBB6_8626
; %bb.8621:                             ;   in Loop: Header=BB6_8078 Depth=3
	v_bfe_u32 v9, v8, 23, 8
	v_and_b32_e32 v10, 0x7fffff, v8
	s_delay_alu instid0(VALU_DEP_2) | instskip(SKIP_1) | instid1(VALU_DEP_3)
	v_sub_nc_u32_e32 v12, 0x70, v9
	v_cmp_gt_u32_e32 vcc_lo, 0x71, v9
	v_or_b32_e32 v13, 0x800000, v10
	s_delay_alu instid0(VALU_DEP_3) | instskip(SKIP_2) | instid1(VALU_DEP_3)
	v_cndmask_b32_e32 v12, 0, v12, vcc_lo
	v_cmp_eq_u32_e32 vcc_lo, 0, v9
	v_add_nc_u32_e32 v9, 0xffffff91, v9
	v_cndmask_b32_e64 v12, v12, 0x6f, vcc_lo
	v_cndmask_b32_e32 v10, v13, v10, vcc_lo
	s_delay_alu instid0(VALU_DEP_3) | instskip(NEXT) | instid1(VALU_DEP_3)
	v_cndmask_b32_e64 v9, v9, 0xffffff92, vcc_lo
	v_lshl_add_u32 v13, 0x200000, v12, -1
	s_delay_alu instid0(VALU_DEP_3) | instskip(SKIP_1) | instid1(VALU_DEP_4)
	v_lshrrev_b32_e32 v14, v12, v10
	v_lshlrev_b32_e64 v16, v12, 0x100000
	v_add_nc_u32_e32 v12, v12, v9
	s_delay_alu instid0(VALU_DEP_4) | instskip(NEXT) | instid1(VALU_DEP_4)
	v_and_b32_e32 v10, v13, v10
	v_bfe_u32 v15, v14, 21, 1
	s_delay_alu instid0(VALU_DEP_2) | instskip(NEXT) | instid1(VALU_DEP_2)
	v_cmp_eq_u32_e64 s13, v10, v16
	v_add_nc_u32_e32 v13, -1, v15
	s_delay_alu instid0(VALU_DEP_1) | instskip(SKIP_2) | instid1(VALU_DEP_2)
	v_cndmask_b32_e64 v10, 0, v13, s13
	v_lshrrev_b32_e32 v13, 23, v14
	s_mov_b32 s13, exec_lo
	v_add_nc_u32_e32 v10, v10, v14
	s_delay_alu instid0(VALU_DEP_2) | instskip(NEXT) | instid1(VALU_DEP_2)
	v_xor_b32_e32 v13, 1, v13
	v_and_b32_e32 v9, 0x1fffff, v10
	s_delay_alu instid0(VALU_DEP_1) | instskip(NEXT) | instid1(VALU_DEP_3)
	v_add_nc_u32_e32 v10, v9, v14
                                        ; implicit-def: $vgpr9
	v_cmpx_ne_u32_e64 v12, v13
	s_xor_b32 s13, exec_lo, s13
; %bb.8622:                             ;   in Loop: Header=BB6_8078 Depth=3
	s_delay_alu instid0(VALU_DEP_2) | instskip(SKIP_2) | instid1(VALU_DEP_2)
	v_cmp_lt_u32_e32 vcc_lo, 0xffffff, v10
	v_sub_nc_u32_e32 v9, v12, v13
	v_cndmask_b32_e64 v12, 0, 1, vcc_lo
	v_add_co_ci_u32_e32 v9, vcc_lo, 0, v9, vcc_lo
	s_delay_alu instid0(VALU_DEP_2)
	v_lshrrev_b32_e32 v10, v12, v10
; %bb.8623:                             ;   in Loop: Header=BB6_8078 Depth=3
	s_and_not1_saveexec_b32 s13, s13
; %bb.8624:                             ;   in Loop: Header=BB6_8078 Depth=3
	s_delay_alu instid0(VALU_DEP_1)
	v_bfe_u32 v9, v10, 23, 1
; %bb.8625:                             ;   in Loop: Header=BB6_8078 Depth=3
	s_or_b32 exec_lo, exec_lo, s13
	v_lshrrev_b32_e32 v10, 21, v10
	s_delay_alu instid0(VALU_DEP_2) | instskip(SKIP_2) | instid1(VALU_DEP_3)
	v_min_i32_e32 v12, 31, v9
	v_cmp_gt_i32_e32 vcc_lo, 32, v9
	v_lshrrev_b32_e32 v8, 24, v8
	v_lshlrev_b32_e32 v12, 2, v12
	v_cndmask_b32_e32 v10, 3, v10, vcc_lo
	s_delay_alu instid0(VALU_DEP_3) | instskip(NEXT) | instid1(VALU_DEP_3)
	v_and_b32_e32 v8, 0x80, v8
	v_and_b32_e32 v12, 0xfc, v12
	s_delay_alu instid0(VALU_DEP_3) | instskip(SKIP_1) | instid1(VALU_DEP_2)
	v_and_b32_e32 v13, 3, v10
	v_or_b32_e32 v9, v9, v10
	v_or3_b32 v8, v12, v8, v13
	s_delay_alu instid0(VALU_DEP_2) | instskip(NEXT) | instid1(VALU_DEP_2)
	v_cmp_ne_u32_e32 vcc_lo, 0, v9
	v_cndmask_b32_e32 v47, 0, v8, vcc_lo
.LBB6_8626:                             ;   in Loop: Header=BB6_8078 Depth=3
	s_or_b32 exec_lo, exec_lo, s31
.LBB6_8627:                             ;   in Loop: Header=BB6_8078 Depth=3
	s_delay_alu instid0(SALU_CYCLE_1) | instskip(SKIP_3) | instid1(VALU_DEP_1)
	s_or_b32 exec_lo, exec_lo, s30
	v_lshrrev_b16 v8, 8, v11
	s_mov_b32 s13, 0
	s_mov_b32 s31, exec_lo
                                        ; implicit-def: $sgpr30
	v_cmpx_lt_i16_e32 0x7f, v8
	s_xor_b32 s31, exec_lo, s31
	s_cbranch_execnz .LBB6_10057
; %bb.8628:                             ;   in Loop: Header=BB6_8078 Depth=3
	s_or_saveexec_b32 s31, s31
	v_mov_b32_e32 v9, s30
	s_xor_b32 exec_lo, exec_lo, s31
	s_cbranch_execnz .LBB6_10060
.LBB6_8629:                             ;   in Loop: Header=BB6_8078 Depth=3
	s_or_b32 exec_lo, exec_lo, s31
	s_and_saveexec_b32 s30, s13
	s_cbranch_execz .LBB6_8631
.LBB6_8630:                             ;   in Loop: Header=BB6_8078 Depth=3
	v_and_b32_e32 v9, 0xffff, v8
	v_lshlrev_b32_e32 v8, 24, v8
	s_delay_alu instid0(VALU_DEP_2) | instskip(NEXT) | instid1(VALU_DEP_2)
	v_and_b32_e32 v10, 3, v9
	v_and_b32_e32 v8, 0x80000000, v8
	s_delay_alu instid0(VALU_DEP_2) | instskip(NEXT) | instid1(VALU_DEP_1)
	v_clz_i32_u32_e32 v12, v10
	v_min_u32_e32 v12, 32, v12
	s_delay_alu instid0(VALU_DEP_1) | instskip(SKIP_1) | instid1(VALU_DEP_2)
	v_subrev_nc_u32_e32 v13, 29, v12
	v_sub_nc_u32_e32 v12, 30, v12
	v_lshlrev_b32_e32 v13, v13, v9
	v_bfe_u32 v9, v9, 2, 5
	s_delay_alu instid0(VALU_DEP_2) | instskip(NEXT) | instid1(VALU_DEP_2)
	v_and_b32_e32 v13, 3, v13
	v_cmp_eq_u32_e32 vcc_lo, 0, v9
	s_delay_alu instid0(VALU_DEP_2) | instskip(NEXT) | instid1(VALU_DEP_1)
	v_dual_cndmask_b32 v9, v9, v12 :: v_dual_cndmask_b32 v10, v10, v13
	v_lshl_add_u32 v9, v9, 23, 0x37800000
	s_delay_alu instid0(VALU_DEP_2) | instskip(NEXT) | instid1(VALU_DEP_1)
	v_lshlrev_b32_e32 v10, 21, v10
	v_or3_b32 v9, v8, v9, v10
.LBB6_8631:                             ;   in Loop: Header=BB6_8078 Depth=3
	s_or_b32 exec_lo, exec_lo, s30
	s_delay_alu instid0(VALU_DEP_1) | instskip(SKIP_1) | instid1(VALU_DEP_1)
	v_dual_mul_f32 v8, s17, v9 :: v_dual_mov_b32 v61, 0x8000
	s_mov_b32 s30, exec_lo
	v_and_b32_e32 v9, 0x7f800000, v8
	s_delay_alu instid0(VALU_DEP_1)
	v_cmpx_ne_u32_e32 0x7f800000, v9
	s_cbranch_execz .LBB6_8639
; %bb.8632:                             ;   in Loop: Header=BB6_8078 Depth=3
	v_mov_b32_e32 v61, 0
	s_mov_b32 s31, exec_lo
	v_cmpx_ne_u32_e32 0, v8
	s_cbranch_execz .LBB6_8638
; %bb.8633:                             ;   in Loop: Header=BB6_8078 Depth=3
	v_bfe_u32 v9, v8, 23, 8
	v_and_b32_e32 v10, 0x7fffff, v8
	s_delay_alu instid0(VALU_DEP_2) | instskip(SKIP_1) | instid1(VALU_DEP_3)
	v_sub_nc_u32_e32 v12, 0x70, v9
	v_cmp_gt_u32_e32 vcc_lo, 0x71, v9
	v_or_b32_e32 v13, 0x800000, v10
	s_delay_alu instid0(VALU_DEP_3) | instskip(SKIP_2) | instid1(VALU_DEP_3)
	v_cndmask_b32_e32 v12, 0, v12, vcc_lo
	v_cmp_eq_u32_e32 vcc_lo, 0, v9
	v_add_nc_u32_e32 v9, 0xffffff91, v9
	v_cndmask_b32_e64 v12, v12, 0x6f, vcc_lo
	v_cndmask_b32_e32 v10, v13, v10, vcc_lo
	s_delay_alu instid0(VALU_DEP_3) | instskip(NEXT) | instid1(VALU_DEP_3)
	v_cndmask_b32_e64 v9, v9, 0xffffff92, vcc_lo
	v_lshl_add_u32 v13, 0x200000, v12, -1
	s_delay_alu instid0(VALU_DEP_3) | instskip(SKIP_1) | instid1(VALU_DEP_4)
	v_lshrrev_b32_e32 v14, v12, v10
	v_lshlrev_b32_e64 v16, v12, 0x100000
	v_add_nc_u32_e32 v12, v12, v9
	s_delay_alu instid0(VALU_DEP_4) | instskip(NEXT) | instid1(VALU_DEP_4)
	v_and_b32_e32 v10, v13, v10
	v_bfe_u32 v15, v14, 21, 1
	s_delay_alu instid0(VALU_DEP_2) | instskip(NEXT) | instid1(VALU_DEP_2)
	v_cmp_eq_u32_e64 s13, v10, v16
	v_add_nc_u32_e32 v13, -1, v15
	s_delay_alu instid0(VALU_DEP_1) | instskip(SKIP_2) | instid1(VALU_DEP_2)
	v_cndmask_b32_e64 v10, 0, v13, s13
	v_lshrrev_b32_e32 v13, 23, v14
	s_mov_b32 s13, exec_lo
	v_add_nc_u32_e32 v10, v10, v14
	s_delay_alu instid0(VALU_DEP_2) | instskip(NEXT) | instid1(VALU_DEP_2)
	v_xor_b32_e32 v13, 1, v13
	v_and_b32_e32 v9, 0x1fffff, v10
	s_delay_alu instid0(VALU_DEP_1) | instskip(NEXT) | instid1(VALU_DEP_3)
	v_add_nc_u32_e32 v10, v9, v14
                                        ; implicit-def: $vgpr9
	v_cmpx_ne_u32_e64 v12, v13
	s_xor_b32 s13, exec_lo, s13
; %bb.8634:                             ;   in Loop: Header=BB6_8078 Depth=3
	s_delay_alu instid0(VALU_DEP_2) | instskip(SKIP_2) | instid1(VALU_DEP_2)
	v_cmp_lt_u32_e32 vcc_lo, 0xffffff, v10
	v_sub_nc_u32_e32 v9, v12, v13
	v_cndmask_b32_e64 v12, 0, 1, vcc_lo
	v_add_co_ci_u32_e32 v9, vcc_lo, 0, v9, vcc_lo
	s_delay_alu instid0(VALU_DEP_2)
	v_lshrrev_b32_e32 v10, v12, v10
; %bb.8635:                             ;   in Loop: Header=BB6_8078 Depth=3
	s_and_not1_saveexec_b32 s13, s13
; %bb.8636:                             ;   in Loop: Header=BB6_8078 Depth=3
	s_delay_alu instid0(VALU_DEP_1)
	v_bfe_u32 v9, v10, 23, 1
; %bb.8637:                             ;   in Loop: Header=BB6_8078 Depth=3
	s_or_b32 exec_lo, exec_lo, s13
	v_lshrrev_b32_e32 v10, 21, v10
	s_delay_alu instid0(VALU_DEP_2) | instskip(SKIP_2) | instid1(VALU_DEP_3)
	v_min_i32_e32 v12, 31, v9
	v_cmp_gt_i32_e32 vcc_lo, 32, v9
	v_lshrrev_b32_e32 v8, 24, v8
	v_lshlrev_b32_e32 v12, 2, v12
	v_cndmask_b32_e32 v10, 3, v10, vcc_lo
	s_delay_alu instid0(VALU_DEP_3) | instskip(NEXT) | instid1(VALU_DEP_3)
	v_and_b32_e32 v8, 0x80, v8
	v_and_b32_e32 v12, 0xfc, v12
	s_delay_alu instid0(VALU_DEP_3) | instskip(SKIP_1) | instid1(VALU_DEP_2)
	v_and_b32_e32 v13, 3, v10
	v_or_b32_e32 v9, v9, v10
	v_or3_b32 v8, v8, v12, v13
	s_delay_alu instid0(VALU_DEP_2) | instskip(NEXT) | instid1(VALU_DEP_2)
	v_cmp_ne_u32_e32 vcc_lo, 0, v9
	v_lshlrev_b32_e32 v8, 8, v8
	s_delay_alu instid0(VALU_DEP_1)
	v_cndmask_b32_e32 v61, 0, v8, vcc_lo
.LBB6_8638:                             ;   in Loop: Header=BB6_8078 Depth=3
	s_or_b32 exec_lo, exec_lo, s31
.LBB6_8639:                             ;   in Loop: Header=BB6_8078 Depth=3
	s_delay_alu instid0(SALU_CYCLE_1) | instskip(SKIP_3) | instid1(VALU_DEP_1)
	s_or_b32 exec_lo, exec_lo, s30
	v_lshrrev_b32_e32 v8, 16, v11
	s_mov_b32 s13, 0
	s_mov_b32 s31, exec_lo
                                        ; implicit-def: $sgpr30
	v_and_b32_e32 v10, 0xff, v8
	s_delay_alu instid0(VALU_DEP_1)
	v_cmpx_lt_i16_e32 0x7f, v10
	s_xor_b32 s31, exec_lo, s31
	s_cbranch_execnz .LBB6_10061
; %bb.8640:                             ;   in Loop: Header=BB6_8078 Depth=3
	s_or_saveexec_b32 s31, s31
	v_mov_b32_e32 v9, s30
	s_xor_b32 exec_lo, exec_lo, s31
	s_cbranch_execnz .LBB6_10064
.LBB6_8641:                             ;   in Loop: Header=BB6_8078 Depth=3
	s_or_b32 exec_lo, exec_lo, s31
	s_and_saveexec_b32 s30, s13
	s_cbranch_execz .LBB6_8643
.LBB6_8642:                             ;   in Loop: Header=BB6_8078 Depth=3
	v_bfe_u32 v9, v11, 16, 2
	s_delay_alu instid0(VALU_DEP_1) | instskip(NEXT) | instid1(VALU_DEP_1)
	v_clz_i32_u32_e32 v10, v9
	v_min_u32_e32 v10, 32, v10
	s_delay_alu instid0(VALU_DEP_1) | instskip(SKIP_1) | instid1(VALU_DEP_2)
	v_subrev_nc_u32_e32 v12, 29, v10
	v_sub_nc_u32_e32 v10, 30, v10
	v_lshlrev_b32_e32 v8, v12, v8
	v_bfe_u32 v12, v11, 18, 5
	s_delay_alu instid0(VALU_DEP_2) | instskip(NEXT) | instid1(VALU_DEP_2)
	v_and_b32_e32 v8, 3, v8
	v_cmp_eq_u32_e32 vcc_lo, 0, v12
	v_dual_cndmask_b32 v10, v12, v10 :: v_dual_lshlrev_b32 v13, 8, v11
	s_delay_alu instid0(VALU_DEP_1) | instskip(NEXT) | instid1(VALU_DEP_2)
	v_dual_cndmask_b32 v8, v9, v8 :: v_dual_and_b32 v9, 0x80000000, v13
	v_lshl_add_u32 v10, v10, 23, 0x37800000
	s_delay_alu instid0(VALU_DEP_2) | instskip(NEXT) | instid1(VALU_DEP_1)
	v_lshlrev_b32_e32 v8, 21, v8
	v_or3_b32 v9, v9, v10, v8
.LBB6_8643:                             ;   in Loop: Header=BB6_8078 Depth=3
	s_or_b32 exec_lo, exec_lo, s30
	s_delay_alu instid0(VALU_DEP_1) | instskip(SKIP_1) | instid1(VALU_DEP_1)
	v_dual_mul_f32 v8, s17, v9 :: v_dual_mov_b32 v55, 0x80
	s_mov_b32 s30, exec_lo
	v_and_b32_e32 v9, 0x7f800000, v8
	s_delay_alu instid0(VALU_DEP_1)
	v_cmpx_ne_u32_e32 0x7f800000, v9
	s_cbranch_execz .LBB6_8651
; %bb.8644:                             ;   in Loop: Header=BB6_8078 Depth=3
	v_mov_b32_e32 v55, 0
	s_mov_b32 s31, exec_lo
	v_cmpx_ne_u32_e32 0, v8
	s_cbranch_execz .LBB6_8650
; %bb.8645:                             ;   in Loop: Header=BB6_8078 Depth=3
	v_bfe_u32 v9, v8, 23, 8
	v_and_b32_e32 v10, 0x7fffff, v8
	s_delay_alu instid0(VALU_DEP_2) | instskip(SKIP_1) | instid1(VALU_DEP_3)
	v_sub_nc_u32_e32 v12, 0x70, v9
	v_cmp_gt_u32_e32 vcc_lo, 0x71, v9
	v_or_b32_e32 v13, 0x800000, v10
	s_delay_alu instid0(VALU_DEP_3) | instskip(SKIP_2) | instid1(VALU_DEP_3)
	v_cndmask_b32_e32 v12, 0, v12, vcc_lo
	v_cmp_eq_u32_e32 vcc_lo, 0, v9
	v_add_nc_u32_e32 v9, 0xffffff91, v9
	v_cndmask_b32_e64 v12, v12, 0x6f, vcc_lo
	v_cndmask_b32_e32 v10, v13, v10, vcc_lo
	s_delay_alu instid0(VALU_DEP_3) | instskip(NEXT) | instid1(VALU_DEP_3)
	v_cndmask_b32_e64 v9, v9, 0xffffff92, vcc_lo
	v_lshl_add_u32 v13, 0x200000, v12, -1
	s_delay_alu instid0(VALU_DEP_3) | instskip(SKIP_1) | instid1(VALU_DEP_4)
	v_lshrrev_b32_e32 v14, v12, v10
	v_lshlrev_b32_e64 v16, v12, 0x100000
	v_add_nc_u32_e32 v12, v12, v9
	s_delay_alu instid0(VALU_DEP_4) | instskip(NEXT) | instid1(VALU_DEP_4)
	v_and_b32_e32 v10, v13, v10
	v_bfe_u32 v15, v14, 21, 1
	s_delay_alu instid0(VALU_DEP_2) | instskip(NEXT) | instid1(VALU_DEP_2)
	v_cmp_eq_u32_e64 s13, v10, v16
	v_add_nc_u32_e32 v13, -1, v15
	s_delay_alu instid0(VALU_DEP_1) | instskip(SKIP_2) | instid1(VALU_DEP_2)
	v_cndmask_b32_e64 v10, 0, v13, s13
	v_lshrrev_b32_e32 v13, 23, v14
	s_mov_b32 s13, exec_lo
	v_add_nc_u32_e32 v10, v10, v14
	s_delay_alu instid0(VALU_DEP_2) | instskip(NEXT) | instid1(VALU_DEP_2)
	v_xor_b32_e32 v13, 1, v13
	v_and_b32_e32 v9, 0x1fffff, v10
	s_delay_alu instid0(VALU_DEP_1) | instskip(NEXT) | instid1(VALU_DEP_3)
	v_add_nc_u32_e32 v10, v9, v14
                                        ; implicit-def: $vgpr9
	v_cmpx_ne_u32_e64 v12, v13
	s_xor_b32 s13, exec_lo, s13
; %bb.8646:                             ;   in Loop: Header=BB6_8078 Depth=3
	s_delay_alu instid0(VALU_DEP_2) | instskip(SKIP_2) | instid1(VALU_DEP_2)
	v_cmp_lt_u32_e32 vcc_lo, 0xffffff, v10
	v_sub_nc_u32_e32 v9, v12, v13
	v_cndmask_b32_e64 v12, 0, 1, vcc_lo
	v_add_co_ci_u32_e32 v9, vcc_lo, 0, v9, vcc_lo
	s_delay_alu instid0(VALU_DEP_2)
	v_lshrrev_b32_e32 v10, v12, v10
; %bb.8647:                             ;   in Loop: Header=BB6_8078 Depth=3
	s_and_not1_saveexec_b32 s13, s13
; %bb.8648:                             ;   in Loop: Header=BB6_8078 Depth=3
	s_delay_alu instid0(VALU_DEP_1)
	v_bfe_u32 v9, v10, 23, 1
; %bb.8649:                             ;   in Loop: Header=BB6_8078 Depth=3
	s_or_b32 exec_lo, exec_lo, s13
	v_lshrrev_b32_e32 v10, 21, v10
	s_delay_alu instid0(VALU_DEP_2) | instskip(SKIP_2) | instid1(VALU_DEP_3)
	v_min_i32_e32 v12, 31, v9
	v_cmp_gt_i32_e32 vcc_lo, 32, v9
	v_lshrrev_b32_e32 v8, 24, v8
	v_lshlrev_b32_e32 v12, 2, v12
	v_cndmask_b32_e32 v10, 3, v10, vcc_lo
	s_delay_alu instid0(VALU_DEP_3) | instskip(NEXT) | instid1(VALU_DEP_3)
	v_and_b32_e32 v8, 0x80, v8
	v_and_b32_e32 v12, 0xfc, v12
	s_delay_alu instid0(VALU_DEP_3) | instskip(SKIP_1) | instid1(VALU_DEP_2)
	v_and_b32_e32 v13, 3, v10
	v_or_b32_e32 v9, v9, v10
	v_or3_b32 v8, v12, v8, v13
	s_delay_alu instid0(VALU_DEP_2) | instskip(NEXT) | instid1(VALU_DEP_2)
	v_cmp_ne_u32_e32 vcc_lo, 0, v9
	v_cndmask_b32_e32 v55, 0, v8, vcc_lo
.LBB6_8650:                             ;   in Loop: Header=BB6_8078 Depth=3
	s_or_b32 exec_lo, exec_lo, s31
.LBB6_8651:                             ;   in Loop: Header=BB6_8078 Depth=3
	s_delay_alu instid0(SALU_CYCLE_1) | instskip(SKIP_3) | instid1(VALU_DEP_1)
	s_or_b32 exec_lo, exec_lo, s30
	v_lshrrev_b32_e32 v8, 24, v11
	s_mov_b32 s13, 0
	s_mov_b32 s31, exec_lo
                                        ; implicit-def: $sgpr30
	v_cmpx_lt_i16_e32 0x7f, v8
	s_xor_b32 s31, exec_lo, s31
	s_cbranch_execnz .LBB6_10065
; %bb.8652:                             ;   in Loop: Header=BB6_8078 Depth=3
	s_or_saveexec_b32 s31, s31
	v_mov_b32_e32 v9, s30
	s_xor_b32 exec_lo, exec_lo, s31
	s_cbranch_execnz .LBB6_10068
.LBB6_8653:                             ;   in Loop: Header=BB6_8078 Depth=3
	s_or_b32 exec_lo, exec_lo, s31
	s_and_saveexec_b32 s30, s13
	s_cbranch_execz .LBB6_8655
.LBB6_8654:                             ;   in Loop: Header=BB6_8078 Depth=3
	v_bfe_u32 v9, v11, 24, 2
	s_delay_alu instid0(VALU_DEP_1) | instskip(NEXT) | instid1(VALU_DEP_1)
	v_clz_i32_u32_e32 v10, v9
	v_min_u32_e32 v10, 32, v10
	s_delay_alu instid0(VALU_DEP_1) | instskip(SKIP_1) | instid1(VALU_DEP_2)
	v_subrev_nc_u32_e32 v12, 29, v10
	v_sub_nc_u32_e32 v10, 30, v10
	v_lshlrev_b32_e32 v8, v12, v8
	v_bfe_u32 v12, v11, 26, 5
	s_delay_alu instid0(VALU_DEP_2) | instskip(NEXT) | instid1(VALU_DEP_2)
	v_and_b32_e32 v8, 3, v8
	v_cmp_eq_u32_e32 vcc_lo, 0, v12
	v_cndmask_b32_e32 v10, v12, v10, vcc_lo
	s_delay_alu instid0(VALU_DEP_3) | instskip(NEXT) | instid1(VALU_DEP_2)
	v_dual_cndmask_b32 v8, v9, v8 :: v_dual_and_b32 v9, 0x80000000, v11
	v_lshl_add_u32 v10, v10, 23, 0x37800000
	s_delay_alu instid0(VALU_DEP_2) | instskip(NEXT) | instid1(VALU_DEP_1)
	v_lshlrev_b32_e32 v8, 21, v8
	v_or3_b32 v9, v9, v10, v8
.LBB6_8655:                             ;   in Loop: Header=BB6_8078 Depth=3
	s_or_b32 exec_lo, exec_lo, s30
	s_delay_alu instid0(VALU_DEP_1) | instskip(SKIP_1) | instid1(VALU_DEP_1)
	v_dual_mul_f32 v8, s17, v9 :: v_dual_mov_b32 v57, 0x8000
	s_mov_b32 s30, exec_lo
	v_and_b32_e32 v9, 0x7f800000, v8
	s_delay_alu instid0(VALU_DEP_1)
	v_cmpx_ne_u32_e32 0x7f800000, v9
	s_cbranch_execz .LBB6_8663
; %bb.8656:                             ;   in Loop: Header=BB6_8078 Depth=3
	v_mov_b32_e32 v57, 0
	s_mov_b32 s31, exec_lo
	v_cmpx_ne_u32_e32 0, v8
	s_cbranch_execz .LBB6_8662
; %bb.8657:                             ;   in Loop: Header=BB6_8078 Depth=3
	v_bfe_u32 v9, v8, 23, 8
	s_delay_alu instid0(VALU_DEP_1) | instskip(SKIP_1) | instid1(VALU_DEP_2)
	v_sub_nc_u32_e32 v11, 0x70, v9
	v_cmp_gt_u32_e32 vcc_lo, 0x71, v9
	v_dual_cndmask_b32 v11, 0, v11 :: v_dual_and_b32 v10, 0x7fffff, v8
	s_delay_alu instid0(VALU_DEP_1) | instskip(SKIP_2) | instid1(VALU_DEP_4)
	v_or_b32_e32 v12, 0x800000, v10
	v_cmp_eq_u32_e32 vcc_lo, 0, v9
	v_add_nc_u32_e32 v9, 0xffffff91, v9
	v_cndmask_b32_e64 v11, v11, 0x6f, vcc_lo
	s_delay_alu instid0(VALU_DEP_4) | instskip(NEXT) | instid1(VALU_DEP_3)
	v_cndmask_b32_e32 v10, v12, v10, vcc_lo
	v_cndmask_b32_e64 v9, v9, 0xffffff92, vcc_lo
	s_delay_alu instid0(VALU_DEP_3) | instskip(NEXT) | instid1(VALU_DEP_3)
	v_lshl_add_u32 v12, 0x200000, v11, -1
	v_lshrrev_b32_e32 v13, v11, v10
	v_lshlrev_b32_e64 v15, v11, 0x100000
	s_delay_alu instid0(VALU_DEP_4) | instskip(NEXT) | instid1(VALU_DEP_4)
	v_add_nc_u32_e32 v11, v11, v9
	v_and_b32_e32 v10, v12, v10
	s_delay_alu instid0(VALU_DEP_4) | instskip(NEXT) | instid1(VALU_DEP_2)
	v_bfe_u32 v14, v13, 21, 1
	v_cmp_eq_u32_e64 s13, v10, v15
	s_delay_alu instid0(VALU_DEP_2) | instskip(NEXT) | instid1(VALU_DEP_1)
	v_add_nc_u32_e32 v12, -1, v14
	v_cndmask_b32_e64 v10, 0, v12, s13
	v_lshrrev_b32_e32 v12, 23, v13
	s_mov_b32 s13, exec_lo
	s_delay_alu instid0(VALU_DEP_2) | instskip(NEXT) | instid1(VALU_DEP_2)
	v_add_nc_u32_e32 v10, v10, v13
	v_xor_b32_e32 v12, 1, v12
	s_delay_alu instid0(VALU_DEP_2) | instskip(NEXT) | instid1(VALU_DEP_1)
	v_and_b32_e32 v9, 0x1fffff, v10
	v_add_nc_u32_e32 v10, v9, v13
                                        ; implicit-def: $vgpr9
	s_delay_alu instid0(VALU_DEP_3)
	v_cmpx_ne_u32_e64 v11, v12
	s_xor_b32 s13, exec_lo, s13
; %bb.8658:                             ;   in Loop: Header=BB6_8078 Depth=3
	s_delay_alu instid0(VALU_DEP_2) | instskip(SKIP_2) | instid1(VALU_DEP_2)
	v_cmp_lt_u32_e32 vcc_lo, 0xffffff, v10
	v_sub_nc_u32_e32 v9, v11, v12
	v_cndmask_b32_e64 v11, 0, 1, vcc_lo
	v_add_co_ci_u32_e32 v9, vcc_lo, 0, v9, vcc_lo
	s_delay_alu instid0(VALU_DEP_2)
	v_lshrrev_b32_e32 v10, v11, v10
; %bb.8659:                             ;   in Loop: Header=BB6_8078 Depth=3
	s_and_not1_saveexec_b32 s13, s13
; %bb.8660:                             ;   in Loop: Header=BB6_8078 Depth=3
	s_delay_alu instid0(VALU_DEP_1)
	v_bfe_u32 v9, v10, 23, 1
; %bb.8661:                             ;   in Loop: Header=BB6_8078 Depth=3
	s_or_b32 exec_lo, exec_lo, s13
	v_lshrrev_b32_e32 v10, 21, v10
	s_delay_alu instid0(VALU_DEP_2) | instskip(SKIP_2) | instid1(VALU_DEP_2)
	v_cmp_gt_i32_e32 vcc_lo, 32, v9
	v_min_i32_e32 v11, 31, v9
	v_lshrrev_b32_e32 v8, 24, v8
	v_dual_cndmask_b32 v10, 3, v10 :: v_dual_lshlrev_b32 v11, 2, v11
	s_delay_alu instid0(VALU_DEP_2) | instskip(NEXT) | instid1(VALU_DEP_2)
	v_and_b32_e32 v8, 0x80, v8
	v_or_b32_e32 v9, v9, v10
	s_delay_alu instid0(VALU_DEP_3) | instskip(NEXT) | instid1(VALU_DEP_2)
	v_and_b32_e32 v11, 0xfc, v11
	v_cmp_ne_u32_e32 vcc_lo, 0, v9
	v_and_b32_e32 v12, 3, v10
	s_delay_alu instid0(VALU_DEP_1) | instskip(NEXT) | instid1(VALU_DEP_1)
	v_or3_b32 v8, v8, v11, v12
	v_lshlrev_b32_e32 v8, 8, v8
	s_delay_alu instid0(VALU_DEP_1)
	v_cndmask_b32_e32 v57, 0, v8, vcc_lo
.LBB6_8662:                             ;   in Loop: Header=BB6_8078 Depth=3
	s_or_b32 exec_lo, exec_lo, s31
.LBB6_8663:                             ;   in Loop: Header=BB6_8078 Depth=3
	s_delay_alu instid0(SALU_CYCLE_1)
	s_or_b32 exec_lo, exec_lo, s30
	global_load_b128 v[8:11], v[69:70], off offset:1536 slc dlc
	s_mov_b32 s13, 0
	s_mov_b32 s31, exec_lo
                                        ; implicit-def: $sgpr30
	s_waitcnt vmcnt(0)
	v_and_b32_e32 v13, 0xff, v8
	s_delay_alu instid0(VALU_DEP_1)
	v_cmpx_lt_i16_e32 0x7f, v13
	s_xor_b32 s31, exec_lo, s31
	s_cbranch_execnz .LBB6_10069
; %bb.8664:                             ;   in Loop: Header=BB6_8078 Depth=3
	s_or_saveexec_b32 s31, s31
	v_mov_b32_e32 v12, s30
	s_xor_b32 exec_lo, exec_lo, s31
	s_cbranch_execnz .LBB6_10072
.LBB6_8665:                             ;   in Loop: Header=BB6_8078 Depth=3
	s_or_b32 exec_lo, exec_lo, s31
	s_and_saveexec_b32 s30, s13
	s_cbranch_execz .LBB6_8667
.LBB6_8666:                             ;   in Loop: Header=BB6_8078 Depth=3
	v_bfe_u32 v15, v8, 2, 5
	v_lshlrev_b32_e32 v16, 24, v8
	s_delay_alu instid0(VALU_DEP_2) | instskip(SKIP_1) | instid1(VALU_DEP_1)
	v_cmp_eq_u32_e32 vcc_lo, 0, v15
	v_and_b32_e32 v12, 3, v8
	v_clz_i32_u32_e32 v13, v12
	s_delay_alu instid0(VALU_DEP_1) | instskip(NEXT) | instid1(VALU_DEP_1)
	v_min_u32_e32 v13, 32, v13
	v_subrev_nc_u32_e32 v14, 29, v13
	v_sub_nc_u32_e32 v13, 30, v13
	s_delay_alu instid0(VALU_DEP_1) | instskip(NEXT) | instid1(VALU_DEP_1)
	v_dual_cndmask_b32 v13, v15, v13 :: v_dual_lshlrev_b32 v14, v14, v8
	v_and_b32_e32 v14, 3, v14
	s_delay_alu instid0(VALU_DEP_2) | instskip(NEXT) | instid1(VALU_DEP_2)
	v_lshl_add_u32 v13, v13, 23, 0x37800000
	v_cndmask_b32_e32 v12, v12, v14, vcc_lo
	v_and_b32_e32 v14, 0x80000000, v16
	s_delay_alu instid0(VALU_DEP_2) | instskip(NEXT) | instid1(VALU_DEP_1)
	v_lshlrev_b32_e32 v12, 21, v12
	v_or3_b32 v12, v14, v13, v12
.LBB6_8667:                             ;   in Loop: Header=BB6_8078 Depth=3
	s_or_b32 exec_lo, exec_lo, s30
	s_delay_alu instid0(VALU_DEP_1) | instskip(SKIP_2) | instid1(VALU_DEP_2)
	v_mul_f32_e32 v12, s17, v12
	v_mov_b32_e32 v44, 0x80
	s_mov_b32 s30, exec_lo
	v_and_b32_e32 v13, 0x7f800000, v12
	s_delay_alu instid0(VALU_DEP_1)
	v_cmpx_ne_u32_e32 0x7f800000, v13
	s_cbranch_execz .LBB6_8675
; %bb.8668:                             ;   in Loop: Header=BB6_8078 Depth=3
	v_mov_b32_e32 v44, 0
	s_mov_b32 s31, exec_lo
	v_cmpx_ne_u32_e32 0, v12
	s_cbranch_execz .LBB6_8674
; %bb.8669:                             ;   in Loop: Header=BB6_8078 Depth=3
	v_bfe_u32 v13, v12, 23, 8
	s_delay_alu instid0(VALU_DEP_1) | instskip(SKIP_1) | instid1(VALU_DEP_2)
	v_sub_nc_u32_e32 v15, 0x70, v13
	v_cmp_gt_u32_e32 vcc_lo, 0x71, v13
	v_dual_cndmask_b32 v15, 0, v15 :: v_dual_and_b32 v14, 0x7fffff, v12
	s_delay_alu instid0(VALU_DEP_1) | instskip(SKIP_2) | instid1(VALU_DEP_4)
	v_or_b32_e32 v16, 0x800000, v14
	v_cmp_eq_u32_e32 vcc_lo, 0, v13
	v_add_nc_u32_e32 v13, 0xffffff91, v13
	v_cndmask_b32_e64 v15, v15, 0x6f, vcc_lo
	s_delay_alu instid0(VALU_DEP_4) | instskip(NEXT) | instid1(VALU_DEP_3)
	v_cndmask_b32_e32 v14, v16, v14, vcc_lo
	v_cndmask_b32_e64 v13, v13, 0xffffff92, vcc_lo
	s_delay_alu instid0(VALU_DEP_3) | instskip(NEXT) | instid1(VALU_DEP_3)
	v_lshl_add_u32 v16, 0x200000, v15, -1
	v_lshrrev_b32_e32 v17, v15, v14
	v_lshlrev_b32_e64 v19, v15, 0x100000
	s_delay_alu instid0(VALU_DEP_4) | instskip(NEXT) | instid1(VALU_DEP_4)
	v_add_nc_u32_e32 v15, v15, v13
	v_and_b32_e32 v14, v16, v14
	s_delay_alu instid0(VALU_DEP_4) | instskip(NEXT) | instid1(VALU_DEP_2)
	v_bfe_u32 v18, v17, 21, 1
	v_cmp_eq_u32_e64 s13, v14, v19
	s_delay_alu instid0(VALU_DEP_2) | instskip(NEXT) | instid1(VALU_DEP_1)
	v_add_nc_u32_e32 v16, -1, v18
	v_cndmask_b32_e64 v14, 0, v16, s13
	v_lshrrev_b32_e32 v16, 23, v17
	s_mov_b32 s13, exec_lo
	s_delay_alu instid0(VALU_DEP_2) | instskip(NEXT) | instid1(VALU_DEP_2)
	v_add_nc_u32_e32 v14, v14, v17
	v_xor_b32_e32 v16, 1, v16
	s_delay_alu instid0(VALU_DEP_2) | instskip(NEXT) | instid1(VALU_DEP_1)
	v_and_b32_e32 v13, 0x1fffff, v14
	v_add_nc_u32_e32 v14, v13, v17
                                        ; implicit-def: $vgpr13
	s_delay_alu instid0(VALU_DEP_3)
	v_cmpx_ne_u32_e64 v15, v16
	s_xor_b32 s13, exec_lo, s13
; %bb.8670:                             ;   in Loop: Header=BB6_8078 Depth=3
	s_delay_alu instid0(VALU_DEP_2) | instskip(SKIP_2) | instid1(VALU_DEP_2)
	v_cmp_lt_u32_e32 vcc_lo, 0xffffff, v14
	v_sub_nc_u32_e32 v13, v15, v16
	v_cndmask_b32_e64 v15, 0, 1, vcc_lo
	v_add_co_ci_u32_e32 v13, vcc_lo, 0, v13, vcc_lo
	s_delay_alu instid0(VALU_DEP_2)
	v_lshrrev_b32_e32 v14, v15, v14
; %bb.8671:                             ;   in Loop: Header=BB6_8078 Depth=3
	s_and_not1_saveexec_b32 s13, s13
; %bb.8672:                             ;   in Loop: Header=BB6_8078 Depth=3
	s_delay_alu instid0(VALU_DEP_1)
	v_bfe_u32 v13, v14, 23, 1
; %bb.8673:                             ;   in Loop: Header=BB6_8078 Depth=3
	s_or_b32 exec_lo, exec_lo, s13
	v_lshrrev_b32_e32 v14, 21, v14
	s_delay_alu instid0(VALU_DEP_2) | instskip(SKIP_2) | instid1(VALU_DEP_4)
	v_cmp_gt_i32_e32 vcc_lo, 32, v13
	v_lshrrev_b32_e32 v12, 24, v12
	v_min_i32_e32 v15, 31, v13
	v_cndmask_b32_e32 v14, 3, v14, vcc_lo
	s_delay_alu instid0(VALU_DEP_3) | instskip(NEXT) | instid1(VALU_DEP_3)
	v_and_b32_e32 v12, 0x80, v12
	v_lshlrev_b32_e32 v15, 2, v15
	s_delay_alu instid0(VALU_DEP_3) | instskip(SKIP_1) | instid1(VALU_DEP_2)
	v_and_b32_e32 v16, 3, v14
	v_or_b32_e32 v13, v13, v14
	v_or3_b32 v12, v15, v12, v16
	s_delay_alu instid0(VALU_DEP_2) | instskip(NEXT) | instid1(VALU_DEP_2)
	v_cmp_ne_u32_e32 vcc_lo, 0, v13
	v_cndmask_b32_e32 v44, 0, v12, vcc_lo
.LBB6_8674:                             ;   in Loop: Header=BB6_8078 Depth=3
	s_or_b32 exec_lo, exec_lo, s31
.LBB6_8675:                             ;   in Loop: Header=BB6_8078 Depth=3
	s_delay_alu instid0(SALU_CYCLE_1) | instskip(SKIP_3) | instid1(VALU_DEP_1)
	s_or_b32 exec_lo, exec_lo, s30
	v_lshrrev_b16 v12, 8, v8
	s_mov_b32 s13, 0
	s_mov_b32 s31, exec_lo
                                        ; implicit-def: $sgpr30
	v_cmpx_lt_i16_e32 0x7f, v12
	s_xor_b32 s31, exec_lo, s31
	s_cbranch_execnz .LBB6_10073
; %bb.8676:                             ;   in Loop: Header=BB6_8078 Depth=3
	s_or_saveexec_b32 s31, s31
	v_mov_b32_e32 v13, s30
	s_xor_b32 exec_lo, exec_lo, s31
	s_cbranch_execnz .LBB6_10076
.LBB6_8677:                             ;   in Loop: Header=BB6_8078 Depth=3
	s_or_b32 exec_lo, exec_lo, s31
	s_and_saveexec_b32 s30, s13
	s_cbranch_execz .LBB6_8679
.LBB6_8678:                             ;   in Loop: Header=BB6_8078 Depth=3
	v_and_b32_e32 v13, 0xffff, v12
	v_lshlrev_b32_e32 v12, 24, v12
	s_delay_alu instid0(VALU_DEP_2) | instskip(NEXT) | instid1(VALU_DEP_2)
	v_and_b32_e32 v14, 3, v13
	v_and_b32_e32 v12, 0x80000000, v12
	s_delay_alu instid0(VALU_DEP_2) | instskip(NEXT) | instid1(VALU_DEP_1)
	v_clz_i32_u32_e32 v15, v14
	v_min_u32_e32 v15, 32, v15
	s_delay_alu instid0(VALU_DEP_1) | instskip(SKIP_1) | instid1(VALU_DEP_2)
	v_subrev_nc_u32_e32 v16, 29, v15
	v_sub_nc_u32_e32 v15, 30, v15
	v_lshlrev_b32_e32 v16, v16, v13
	v_bfe_u32 v13, v13, 2, 5
	s_delay_alu instid0(VALU_DEP_2) | instskip(NEXT) | instid1(VALU_DEP_2)
	v_and_b32_e32 v16, 3, v16
	v_cmp_eq_u32_e32 vcc_lo, 0, v13
	s_delay_alu instid0(VALU_DEP_2) | instskip(NEXT) | instid1(VALU_DEP_1)
	v_dual_cndmask_b32 v13, v13, v15 :: v_dual_cndmask_b32 v14, v14, v16
	v_lshl_add_u32 v13, v13, 23, 0x37800000
	s_delay_alu instid0(VALU_DEP_2) | instskip(NEXT) | instid1(VALU_DEP_1)
	v_lshlrev_b32_e32 v14, 21, v14
	v_or3_b32 v13, v12, v13, v14
.LBB6_8679:                             ;   in Loop: Header=BB6_8078 Depth=3
	s_or_b32 exec_lo, exec_lo, s30
	s_delay_alu instid0(VALU_DEP_1) | instskip(SKIP_2) | instid1(VALU_DEP_2)
	v_mul_f32_e32 v12, s17, v13
	v_mov_b32_e32 v42, 0x80
	s_mov_b32 s30, exec_lo
	v_and_b32_e32 v13, 0x7f800000, v12
	s_delay_alu instid0(VALU_DEP_1)
	v_cmpx_ne_u32_e32 0x7f800000, v13
	s_cbranch_execz .LBB6_8687
; %bb.8680:                             ;   in Loop: Header=BB6_8078 Depth=3
	v_mov_b32_e32 v42, 0
	s_mov_b32 s31, exec_lo
	v_cmpx_ne_u32_e32 0, v12
	s_cbranch_execz .LBB6_8686
; %bb.8681:                             ;   in Loop: Header=BB6_8078 Depth=3
	v_bfe_u32 v13, v12, 23, 8
	s_delay_alu instid0(VALU_DEP_1) | instskip(SKIP_1) | instid1(VALU_DEP_2)
	v_sub_nc_u32_e32 v15, 0x70, v13
	v_cmp_gt_u32_e32 vcc_lo, 0x71, v13
	v_dual_cndmask_b32 v15, 0, v15 :: v_dual_and_b32 v14, 0x7fffff, v12
	s_delay_alu instid0(VALU_DEP_1) | instskip(SKIP_2) | instid1(VALU_DEP_4)
	v_or_b32_e32 v16, 0x800000, v14
	v_cmp_eq_u32_e32 vcc_lo, 0, v13
	v_add_nc_u32_e32 v13, 0xffffff91, v13
	v_cndmask_b32_e64 v15, v15, 0x6f, vcc_lo
	s_delay_alu instid0(VALU_DEP_4) | instskip(NEXT) | instid1(VALU_DEP_3)
	v_cndmask_b32_e32 v14, v16, v14, vcc_lo
	v_cndmask_b32_e64 v13, v13, 0xffffff92, vcc_lo
	s_delay_alu instid0(VALU_DEP_3) | instskip(NEXT) | instid1(VALU_DEP_3)
	v_lshl_add_u32 v16, 0x200000, v15, -1
	v_lshrrev_b32_e32 v17, v15, v14
	v_lshlrev_b32_e64 v19, v15, 0x100000
	s_delay_alu instid0(VALU_DEP_4) | instskip(NEXT) | instid1(VALU_DEP_4)
	v_add_nc_u32_e32 v15, v15, v13
	v_and_b32_e32 v14, v16, v14
	s_delay_alu instid0(VALU_DEP_4) | instskip(NEXT) | instid1(VALU_DEP_2)
	v_bfe_u32 v18, v17, 21, 1
	v_cmp_eq_u32_e64 s13, v14, v19
	s_delay_alu instid0(VALU_DEP_2) | instskip(NEXT) | instid1(VALU_DEP_1)
	v_add_nc_u32_e32 v16, -1, v18
	v_cndmask_b32_e64 v14, 0, v16, s13
	v_lshrrev_b32_e32 v16, 23, v17
	s_mov_b32 s13, exec_lo
	s_delay_alu instid0(VALU_DEP_2) | instskip(NEXT) | instid1(VALU_DEP_2)
	v_add_nc_u32_e32 v14, v14, v17
	v_xor_b32_e32 v16, 1, v16
	s_delay_alu instid0(VALU_DEP_2) | instskip(NEXT) | instid1(VALU_DEP_1)
	v_and_b32_e32 v13, 0x1fffff, v14
	v_add_nc_u32_e32 v14, v13, v17
                                        ; implicit-def: $vgpr13
	s_delay_alu instid0(VALU_DEP_3)
	v_cmpx_ne_u32_e64 v15, v16
	s_xor_b32 s13, exec_lo, s13
; %bb.8682:                             ;   in Loop: Header=BB6_8078 Depth=3
	s_delay_alu instid0(VALU_DEP_2) | instskip(SKIP_2) | instid1(VALU_DEP_2)
	v_cmp_lt_u32_e32 vcc_lo, 0xffffff, v14
	v_sub_nc_u32_e32 v13, v15, v16
	v_cndmask_b32_e64 v15, 0, 1, vcc_lo
	v_add_co_ci_u32_e32 v13, vcc_lo, 0, v13, vcc_lo
	s_delay_alu instid0(VALU_DEP_2)
	v_lshrrev_b32_e32 v14, v15, v14
; %bb.8683:                             ;   in Loop: Header=BB6_8078 Depth=3
	s_and_not1_saveexec_b32 s13, s13
; %bb.8684:                             ;   in Loop: Header=BB6_8078 Depth=3
	s_delay_alu instid0(VALU_DEP_1)
	v_bfe_u32 v13, v14, 23, 1
; %bb.8685:                             ;   in Loop: Header=BB6_8078 Depth=3
	s_or_b32 exec_lo, exec_lo, s13
	v_lshrrev_b32_e32 v14, 21, v14
	s_delay_alu instid0(VALU_DEP_2) | instskip(SKIP_2) | instid1(VALU_DEP_4)
	v_cmp_gt_i32_e32 vcc_lo, 32, v13
	v_lshrrev_b32_e32 v12, 24, v12
	v_min_i32_e32 v15, 31, v13
	v_cndmask_b32_e32 v14, 3, v14, vcc_lo
	s_delay_alu instid0(VALU_DEP_3) | instskip(NEXT) | instid1(VALU_DEP_3)
	v_and_b32_e32 v12, 0x80, v12
	v_lshlrev_b32_e32 v15, 2, v15
	s_delay_alu instid0(VALU_DEP_3) | instskip(SKIP_1) | instid1(VALU_DEP_2)
	v_and_b32_e32 v16, 3, v14
	v_or_b32_e32 v13, v13, v14
	v_or3_b32 v12, v15, v12, v16
	s_delay_alu instid0(VALU_DEP_2) | instskip(NEXT) | instid1(VALU_DEP_2)
	v_cmp_ne_u32_e32 vcc_lo, 0, v13
	v_cndmask_b32_e32 v42, 0, v12, vcc_lo
.LBB6_8686:                             ;   in Loop: Header=BB6_8078 Depth=3
	s_or_b32 exec_lo, exec_lo, s31
.LBB6_8687:                             ;   in Loop: Header=BB6_8078 Depth=3
	s_delay_alu instid0(SALU_CYCLE_1) | instskip(SKIP_3) | instid1(VALU_DEP_1)
	s_or_b32 exec_lo, exec_lo, s30
	v_lshrrev_b32_e32 v12, 16, v8
	s_mov_b32 s13, 0
	s_mov_b32 s31, exec_lo
                                        ; implicit-def: $sgpr30
	v_and_b32_e32 v14, 0xff, v12
	s_delay_alu instid0(VALU_DEP_1)
	v_cmpx_lt_i16_e32 0x7f, v14
	s_xor_b32 s31, exec_lo, s31
	s_cbranch_execnz .LBB6_10077
; %bb.8688:                             ;   in Loop: Header=BB6_8078 Depth=3
	s_or_saveexec_b32 s31, s31
	v_mov_b32_e32 v13, s30
	s_xor_b32 exec_lo, exec_lo, s31
	s_cbranch_execnz .LBB6_10080
.LBB6_8689:                             ;   in Loop: Header=BB6_8078 Depth=3
	s_or_b32 exec_lo, exec_lo, s31
	s_and_saveexec_b32 s30, s13
	s_cbranch_execz .LBB6_8691
.LBB6_8690:                             ;   in Loop: Header=BB6_8078 Depth=3
	v_bfe_u32 v13, v8, 16, 2
	v_lshlrev_b32_e32 v16, 8, v8
	s_delay_alu instid0(VALU_DEP_2) | instskip(NEXT) | instid1(VALU_DEP_1)
	v_clz_i32_u32_e32 v14, v13
	v_min_u32_e32 v14, 32, v14
	s_delay_alu instid0(VALU_DEP_1) | instskip(SKIP_1) | instid1(VALU_DEP_2)
	v_subrev_nc_u32_e32 v15, 29, v14
	v_sub_nc_u32_e32 v14, 30, v14
	v_lshlrev_b32_e32 v12, v15, v12
	v_bfe_u32 v15, v8, 18, 5
	s_delay_alu instid0(VALU_DEP_2) | instskip(NEXT) | instid1(VALU_DEP_2)
	v_and_b32_e32 v12, 3, v12
	v_cmp_eq_u32_e32 vcc_lo, 0, v15
	v_cndmask_b32_e32 v14, v15, v14, vcc_lo
	s_delay_alu instid0(VALU_DEP_3) | instskip(SKIP_1) | instid1(VALU_DEP_3)
	v_cndmask_b32_e32 v12, v13, v12, vcc_lo
	v_and_b32_e32 v13, 0x80000000, v16
	v_lshl_add_u32 v14, v14, 23, 0x37800000
	s_delay_alu instid0(VALU_DEP_3) | instskip(NEXT) | instid1(VALU_DEP_1)
	v_lshlrev_b32_e32 v12, 21, v12
	v_or3_b32 v13, v13, v14, v12
.LBB6_8691:                             ;   in Loop: Header=BB6_8078 Depth=3
	s_or_b32 exec_lo, exec_lo, s30
	s_delay_alu instid0(VALU_DEP_1) | instskip(SKIP_2) | instid1(VALU_DEP_2)
	v_mul_f32_e32 v12, s17, v13
	v_mov_b32_e32 v40, 0x80
	s_mov_b32 s30, exec_lo
	v_and_b32_e32 v13, 0x7f800000, v12
	s_delay_alu instid0(VALU_DEP_1)
	v_cmpx_ne_u32_e32 0x7f800000, v13
	s_cbranch_execz .LBB6_8699
; %bb.8692:                             ;   in Loop: Header=BB6_8078 Depth=3
	v_mov_b32_e32 v40, 0
	s_mov_b32 s31, exec_lo
	v_cmpx_ne_u32_e32 0, v12
	s_cbranch_execz .LBB6_8698
; %bb.8693:                             ;   in Loop: Header=BB6_8078 Depth=3
	v_bfe_u32 v13, v12, 23, 8
	s_delay_alu instid0(VALU_DEP_1) | instskip(SKIP_1) | instid1(VALU_DEP_2)
	v_sub_nc_u32_e32 v15, 0x70, v13
	v_cmp_gt_u32_e32 vcc_lo, 0x71, v13
	v_dual_cndmask_b32 v15, 0, v15 :: v_dual_and_b32 v14, 0x7fffff, v12
	s_delay_alu instid0(VALU_DEP_1) | instskip(SKIP_2) | instid1(VALU_DEP_4)
	v_or_b32_e32 v16, 0x800000, v14
	v_cmp_eq_u32_e32 vcc_lo, 0, v13
	v_add_nc_u32_e32 v13, 0xffffff91, v13
	v_cndmask_b32_e64 v15, v15, 0x6f, vcc_lo
	s_delay_alu instid0(VALU_DEP_4) | instskip(NEXT) | instid1(VALU_DEP_3)
	v_cndmask_b32_e32 v14, v16, v14, vcc_lo
	v_cndmask_b32_e64 v13, v13, 0xffffff92, vcc_lo
	s_delay_alu instid0(VALU_DEP_3) | instskip(NEXT) | instid1(VALU_DEP_3)
	v_lshl_add_u32 v16, 0x200000, v15, -1
	v_lshrrev_b32_e32 v17, v15, v14
	v_lshlrev_b32_e64 v19, v15, 0x100000
	s_delay_alu instid0(VALU_DEP_4) | instskip(NEXT) | instid1(VALU_DEP_4)
	v_add_nc_u32_e32 v15, v15, v13
	v_and_b32_e32 v14, v16, v14
	s_delay_alu instid0(VALU_DEP_4) | instskip(NEXT) | instid1(VALU_DEP_2)
	v_bfe_u32 v18, v17, 21, 1
	v_cmp_eq_u32_e64 s13, v14, v19
	s_delay_alu instid0(VALU_DEP_2) | instskip(NEXT) | instid1(VALU_DEP_1)
	v_add_nc_u32_e32 v16, -1, v18
	v_cndmask_b32_e64 v14, 0, v16, s13
	v_lshrrev_b32_e32 v16, 23, v17
	s_mov_b32 s13, exec_lo
	s_delay_alu instid0(VALU_DEP_2) | instskip(NEXT) | instid1(VALU_DEP_2)
	v_add_nc_u32_e32 v14, v14, v17
	v_xor_b32_e32 v16, 1, v16
	s_delay_alu instid0(VALU_DEP_2) | instskip(NEXT) | instid1(VALU_DEP_1)
	v_and_b32_e32 v13, 0x1fffff, v14
	v_add_nc_u32_e32 v14, v13, v17
                                        ; implicit-def: $vgpr13
	s_delay_alu instid0(VALU_DEP_3)
	v_cmpx_ne_u32_e64 v15, v16
	s_xor_b32 s13, exec_lo, s13
; %bb.8694:                             ;   in Loop: Header=BB6_8078 Depth=3
	s_delay_alu instid0(VALU_DEP_2) | instskip(SKIP_2) | instid1(VALU_DEP_2)
	v_cmp_lt_u32_e32 vcc_lo, 0xffffff, v14
	v_sub_nc_u32_e32 v13, v15, v16
	v_cndmask_b32_e64 v15, 0, 1, vcc_lo
	v_add_co_ci_u32_e32 v13, vcc_lo, 0, v13, vcc_lo
	s_delay_alu instid0(VALU_DEP_2)
	v_lshrrev_b32_e32 v14, v15, v14
; %bb.8695:                             ;   in Loop: Header=BB6_8078 Depth=3
	s_and_not1_saveexec_b32 s13, s13
; %bb.8696:                             ;   in Loop: Header=BB6_8078 Depth=3
	s_delay_alu instid0(VALU_DEP_1)
	v_bfe_u32 v13, v14, 23, 1
; %bb.8697:                             ;   in Loop: Header=BB6_8078 Depth=3
	s_or_b32 exec_lo, exec_lo, s13
	v_lshrrev_b32_e32 v14, 21, v14
	s_delay_alu instid0(VALU_DEP_2) | instskip(SKIP_2) | instid1(VALU_DEP_4)
	v_cmp_gt_i32_e32 vcc_lo, 32, v13
	v_lshrrev_b32_e32 v12, 24, v12
	v_min_i32_e32 v15, 31, v13
	v_cndmask_b32_e32 v14, 3, v14, vcc_lo
	s_delay_alu instid0(VALU_DEP_3) | instskip(NEXT) | instid1(VALU_DEP_3)
	v_and_b32_e32 v12, 0x80, v12
	v_lshlrev_b32_e32 v15, 2, v15
	s_delay_alu instid0(VALU_DEP_3) | instskip(SKIP_1) | instid1(VALU_DEP_2)
	v_and_b32_e32 v16, 3, v14
	v_or_b32_e32 v13, v13, v14
	v_or3_b32 v12, v15, v12, v16
	s_delay_alu instid0(VALU_DEP_2) | instskip(NEXT) | instid1(VALU_DEP_2)
	v_cmp_ne_u32_e32 vcc_lo, 0, v13
	v_cndmask_b32_e32 v40, 0, v12, vcc_lo
.LBB6_8698:                             ;   in Loop: Header=BB6_8078 Depth=3
	s_or_b32 exec_lo, exec_lo, s31
.LBB6_8699:                             ;   in Loop: Header=BB6_8078 Depth=3
	s_delay_alu instid0(SALU_CYCLE_1) | instskip(SKIP_3) | instid1(VALU_DEP_1)
	s_or_b32 exec_lo, exec_lo, s30
	v_lshrrev_b32_e32 v12, 24, v8
	s_mov_b32 s13, 0
	s_mov_b32 s31, exec_lo
                                        ; implicit-def: $sgpr30
	v_cmpx_lt_i16_e32 0x7f, v12
	s_xor_b32 s31, exec_lo, s31
	s_cbranch_execnz .LBB6_10081
; %bb.8700:                             ;   in Loop: Header=BB6_8078 Depth=3
	s_or_saveexec_b32 s31, s31
	v_mov_b32_e32 v13, s30
	s_xor_b32 exec_lo, exec_lo, s31
	s_cbranch_execnz .LBB6_10084
.LBB6_8701:                             ;   in Loop: Header=BB6_8078 Depth=3
	s_or_b32 exec_lo, exec_lo, s31
	s_and_saveexec_b32 s30, s13
	s_cbranch_execz .LBB6_8703
.LBB6_8702:                             ;   in Loop: Header=BB6_8078 Depth=3
	v_bfe_u32 v13, v8, 24, 2
	s_delay_alu instid0(VALU_DEP_1) | instskip(NEXT) | instid1(VALU_DEP_1)
	v_clz_i32_u32_e32 v14, v13
	v_min_u32_e32 v14, 32, v14
	s_delay_alu instid0(VALU_DEP_1) | instskip(SKIP_1) | instid1(VALU_DEP_2)
	v_subrev_nc_u32_e32 v15, 29, v14
	v_sub_nc_u32_e32 v14, 30, v14
	v_lshlrev_b32_e32 v12, v15, v12
	v_bfe_u32 v15, v8, 26, 5
	v_and_b32_e32 v8, 0x80000000, v8
	s_delay_alu instid0(VALU_DEP_3) | instskip(NEXT) | instid1(VALU_DEP_3)
	v_and_b32_e32 v12, 3, v12
	v_cmp_eq_u32_e32 vcc_lo, 0, v15
	v_cndmask_b32_e32 v14, v15, v14, vcc_lo
	s_delay_alu instid0(VALU_DEP_3) | instskip(NEXT) | instid1(VALU_DEP_2)
	v_cndmask_b32_e32 v12, v13, v12, vcc_lo
	v_lshl_add_u32 v13, v14, 23, 0x37800000
	s_delay_alu instid0(VALU_DEP_2) | instskip(NEXT) | instid1(VALU_DEP_1)
	v_lshlrev_b32_e32 v12, 21, v12
	v_or3_b32 v13, v8, v13, v12
.LBB6_8703:                             ;   in Loop: Header=BB6_8078 Depth=3
	s_or_b32 exec_lo, exec_lo, s30
	s_delay_alu instid0(VALU_DEP_1) | instskip(SKIP_2) | instid1(VALU_DEP_2)
	v_mul_f32_e32 v8, s17, v13
	v_mov_b32_e32 v182, 0x80
	s_mov_b32 s30, exec_lo
	v_and_b32_e32 v12, 0x7f800000, v8
	s_delay_alu instid0(VALU_DEP_1)
	v_cmpx_ne_u32_e32 0x7f800000, v12
	s_cbranch_execz .LBB6_8711
; %bb.8704:                             ;   in Loop: Header=BB6_8078 Depth=3
	v_mov_b32_e32 v182, 0
	s_mov_b32 s31, exec_lo
	v_cmpx_ne_u32_e32 0, v8
	s_cbranch_execz .LBB6_8710
; %bb.8705:                             ;   in Loop: Header=BB6_8078 Depth=3
	v_bfe_u32 v12, v8, 23, 8
	s_delay_alu instid0(VALU_DEP_1) | instskip(SKIP_1) | instid1(VALU_DEP_2)
	v_sub_nc_u32_e32 v14, 0x70, v12
	v_cmp_gt_u32_e32 vcc_lo, 0x71, v12
	v_dual_cndmask_b32 v14, 0, v14 :: v_dual_and_b32 v13, 0x7fffff, v8
	s_delay_alu instid0(VALU_DEP_1) | instskip(SKIP_2) | instid1(VALU_DEP_4)
	v_or_b32_e32 v15, 0x800000, v13
	v_cmp_eq_u32_e32 vcc_lo, 0, v12
	v_add_nc_u32_e32 v12, 0xffffff91, v12
	v_cndmask_b32_e64 v14, v14, 0x6f, vcc_lo
	s_delay_alu instid0(VALU_DEP_4) | instskip(NEXT) | instid1(VALU_DEP_3)
	v_cndmask_b32_e32 v13, v15, v13, vcc_lo
	v_cndmask_b32_e64 v12, v12, 0xffffff92, vcc_lo
	s_delay_alu instid0(VALU_DEP_3) | instskip(NEXT) | instid1(VALU_DEP_3)
	v_lshl_add_u32 v15, 0x200000, v14, -1
	v_lshrrev_b32_e32 v16, v14, v13
	v_lshlrev_b32_e64 v18, v14, 0x100000
	s_delay_alu instid0(VALU_DEP_4) | instskip(NEXT) | instid1(VALU_DEP_4)
	v_add_nc_u32_e32 v14, v14, v12
	v_and_b32_e32 v13, v15, v13
	s_delay_alu instid0(VALU_DEP_4) | instskip(NEXT) | instid1(VALU_DEP_2)
	v_bfe_u32 v17, v16, 21, 1
	v_cmp_eq_u32_e64 s13, v13, v18
	s_delay_alu instid0(VALU_DEP_2) | instskip(NEXT) | instid1(VALU_DEP_1)
	v_add_nc_u32_e32 v15, -1, v17
	v_cndmask_b32_e64 v13, 0, v15, s13
	v_lshrrev_b32_e32 v15, 23, v16
	s_mov_b32 s13, exec_lo
	s_delay_alu instid0(VALU_DEP_2) | instskip(NEXT) | instid1(VALU_DEP_2)
	v_add_nc_u32_e32 v13, v13, v16
	v_xor_b32_e32 v15, 1, v15
	s_delay_alu instid0(VALU_DEP_2) | instskip(NEXT) | instid1(VALU_DEP_1)
	v_and_b32_e32 v12, 0x1fffff, v13
	v_add_nc_u32_e32 v13, v12, v16
                                        ; implicit-def: $vgpr12
	s_delay_alu instid0(VALU_DEP_3)
	v_cmpx_ne_u32_e64 v14, v15
	s_xor_b32 s13, exec_lo, s13
; %bb.8706:                             ;   in Loop: Header=BB6_8078 Depth=3
	s_delay_alu instid0(VALU_DEP_2) | instskip(SKIP_2) | instid1(VALU_DEP_2)
	v_cmp_lt_u32_e32 vcc_lo, 0xffffff, v13
	v_sub_nc_u32_e32 v12, v14, v15
	v_cndmask_b32_e64 v14, 0, 1, vcc_lo
	v_add_co_ci_u32_e32 v12, vcc_lo, 0, v12, vcc_lo
	s_delay_alu instid0(VALU_DEP_2)
	v_lshrrev_b32_e32 v13, v14, v13
; %bb.8707:                             ;   in Loop: Header=BB6_8078 Depth=3
	s_and_not1_saveexec_b32 s13, s13
; %bb.8708:                             ;   in Loop: Header=BB6_8078 Depth=3
	s_delay_alu instid0(VALU_DEP_1)
	v_bfe_u32 v12, v13, 23, 1
; %bb.8709:                             ;   in Loop: Header=BB6_8078 Depth=3
	s_or_b32 exec_lo, exec_lo, s13
	v_lshrrev_b32_e32 v13, 21, v13
	s_delay_alu instid0(VALU_DEP_2) | instskip(SKIP_2) | instid1(VALU_DEP_2)
	v_cmp_gt_i32_e32 vcc_lo, 32, v12
	v_lshrrev_b32_e32 v8, 24, v8
	v_min_i32_e32 v14, 31, v12
	v_dual_cndmask_b32 v13, 3, v13 :: v_dual_and_b32 v8, 0x80, v8
	s_delay_alu instid0(VALU_DEP_2) | instskip(NEXT) | instid1(VALU_DEP_2)
	v_lshlrev_b32_e32 v14, 2, v14
	v_or_b32_e32 v12, v12, v13
	s_delay_alu instid0(VALU_DEP_1) | instskip(SKIP_1) | instid1(VALU_DEP_1)
	v_cmp_ne_u32_e32 vcc_lo, 0, v12
	v_and_b32_e32 v15, 3, v13
	v_or3_b32 v8, v14, v8, v15
	s_delay_alu instid0(VALU_DEP_1)
	v_cndmask_b32_e32 v182, 0, v8, vcc_lo
.LBB6_8710:                             ;   in Loop: Header=BB6_8078 Depth=3
	s_or_b32 exec_lo, exec_lo, s31
.LBB6_8711:                             ;   in Loop: Header=BB6_8078 Depth=3
	s_delay_alu instid0(SALU_CYCLE_1) | instskip(SKIP_3) | instid1(VALU_DEP_1)
	s_or_b32 exec_lo, exec_lo, s30
	v_and_b32_e32 v12, 0xff, v9
	s_mov_b32 s13, 0
	s_mov_b32 s31, exec_lo
                                        ; implicit-def: $sgpr30
	v_cmpx_lt_i16_e32 0x7f, v12
	s_xor_b32 s31, exec_lo, s31
	s_cbranch_execnz .LBB6_10085
; %bb.8712:                             ;   in Loop: Header=BB6_8078 Depth=3
	s_or_saveexec_b32 s31, s31
	v_mov_b32_e32 v8, s30
	s_xor_b32 exec_lo, exec_lo, s31
	s_cbranch_execnz .LBB6_10088
.LBB6_8713:                             ;   in Loop: Header=BB6_8078 Depth=3
	s_or_b32 exec_lo, exec_lo, s31
	s_and_saveexec_b32 s30, s13
	s_cbranch_execz .LBB6_8715
.LBB6_8714:                             ;   in Loop: Header=BB6_8078 Depth=3
	v_and_b32_e32 v8, 3, v9
	v_bfe_u32 v14, v9, 2, 5
	v_lshlrev_b32_e32 v15, 24, v9
	s_delay_alu instid0(VALU_DEP_3) | instskip(NEXT) | instid1(VALU_DEP_3)
	v_clz_i32_u32_e32 v12, v8
	v_cmp_eq_u32_e32 vcc_lo, 0, v14
	s_delay_alu instid0(VALU_DEP_2) | instskip(NEXT) | instid1(VALU_DEP_1)
	v_min_u32_e32 v12, 32, v12
	v_subrev_nc_u32_e32 v13, 29, v12
	v_sub_nc_u32_e32 v12, 30, v12
	s_delay_alu instid0(VALU_DEP_1) | instskip(NEXT) | instid1(VALU_DEP_1)
	v_dual_cndmask_b32 v12, v14, v12 :: v_dual_lshlrev_b32 v13, v13, v9
	v_and_b32_e32 v13, 3, v13
	s_delay_alu instid0(VALU_DEP_2) | instskip(NEXT) | instid1(VALU_DEP_2)
	v_lshl_add_u32 v12, v12, 23, 0x37800000
	v_dual_cndmask_b32 v8, v8, v13 :: v_dual_and_b32 v13, 0x80000000, v15
	s_delay_alu instid0(VALU_DEP_1) | instskip(NEXT) | instid1(VALU_DEP_1)
	v_lshlrev_b32_e32 v8, 21, v8
	v_or3_b32 v8, v13, v12, v8
.LBB6_8715:                             ;   in Loop: Header=BB6_8078 Depth=3
	s_or_b32 exec_lo, exec_lo, s30
	s_delay_alu instid0(VALU_DEP_1) | instskip(SKIP_2) | instid1(VALU_DEP_2)
	v_mul_f32_e32 v8, s17, v8
	v_mov_b32_e32 v52, 0x80
	s_mov_b32 s30, exec_lo
	v_and_b32_e32 v12, 0x7f800000, v8
	s_delay_alu instid0(VALU_DEP_1)
	v_cmpx_ne_u32_e32 0x7f800000, v12
	s_cbranch_execz .LBB6_8723
; %bb.8716:                             ;   in Loop: Header=BB6_8078 Depth=3
	v_mov_b32_e32 v52, 0
	s_mov_b32 s31, exec_lo
	v_cmpx_ne_u32_e32 0, v8
	s_cbranch_execz .LBB6_8722
; %bb.8717:                             ;   in Loop: Header=BB6_8078 Depth=3
	v_bfe_u32 v12, v8, 23, 8
	s_delay_alu instid0(VALU_DEP_1) | instskip(SKIP_1) | instid1(VALU_DEP_2)
	v_sub_nc_u32_e32 v14, 0x70, v12
	v_cmp_gt_u32_e32 vcc_lo, 0x71, v12
	v_dual_cndmask_b32 v14, 0, v14 :: v_dual_and_b32 v13, 0x7fffff, v8
	s_delay_alu instid0(VALU_DEP_1) | instskip(SKIP_2) | instid1(VALU_DEP_4)
	v_or_b32_e32 v15, 0x800000, v13
	v_cmp_eq_u32_e32 vcc_lo, 0, v12
	v_add_nc_u32_e32 v12, 0xffffff91, v12
	v_cndmask_b32_e64 v14, v14, 0x6f, vcc_lo
	s_delay_alu instid0(VALU_DEP_4) | instskip(NEXT) | instid1(VALU_DEP_3)
	v_cndmask_b32_e32 v13, v15, v13, vcc_lo
	v_cndmask_b32_e64 v12, v12, 0xffffff92, vcc_lo
	s_delay_alu instid0(VALU_DEP_3) | instskip(NEXT) | instid1(VALU_DEP_3)
	v_lshl_add_u32 v15, 0x200000, v14, -1
	v_lshrrev_b32_e32 v16, v14, v13
	v_lshlrev_b32_e64 v18, v14, 0x100000
	s_delay_alu instid0(VALU_DEP_4) | instskip(NEXT) | instid1(VALU_DEP_4)
	v_add_nc_u32_e32 v14, v14, v12
	v_and_b32_e32 v13, v15, v13
	s_delay_alu instid0(VALU_DEP_4) | instskip(NEXT) | instid1(VALU_DEP_2)
	v_bfe_u32 v17, v16, 21, 1
	v_cmp_eq_u32_e64 s13, v13, v18
	s_delay_alu instid0(VALU_DEP_2) | instskip(NEXT) | instid1(VALU_DEP_1)
	v_add_nc_u32_e32 v15, -1, v17
	v_cndmask_b32_e64 v13, 0, v15, s13
	v_lshrrev_b32_e32 v15, 23, v16
	s_mov_b32 s13, exec_lo
	s_delay_alu instid0(VALU_DEP_2) | instskip(NEXT) | instid1(VALU_DEP_2)
	v_add_nc_u32_e32 v13, v13, v16
	v_xor_b32_e32 v15, 1, v15
	s_delay_alu instid0(VALU_DEP_2) | instskip(NEXT) | instid1(VALU_DEP_1)
	v_and_b32_e32 v12, 0x1fffff, v13
	v_add_nc_u32_e32 v13, v12, v16
                                        ; implicit-def: $vgpr12
	s_delay_alu instid0(VALU_DEP_3)
	v_cmpx_ne_u32_e64 v14, v15
	s_xor_b32 s13, exec_lo, s13
; %bb.8718:                             ;   in Loop: Header=BB6_8078 Depth=3
	s_delay_alu instid0(VALU_DEP_2) | instskip(SKIP_2) | instid1(VALU_DEP_2)
	v_cmp_lt_u32_e32 vcc_lo, 0xffffff, v13
	v_sub_nc_u32_e32 v12, v14, v15
	v_cndmask_b32_e64 v14, 0, 1, vcc_lo
	v_add_co_ci_u32_e32 v12, vcc_lo, 0, v12, vcc_lo
	s_delay_alu instid0(VALU_DEP_2)
	v_lshrrev_b32_e32 v13, v14, v13
; %bb.8719:                             ;   in Loop: Header=BB6_8078 Depth=3
	s_and_not1_saveexec_b32 s13, s13
; %bb.8720:                             ;   in Loop: Header=BB6_8078 Depth=3
	s_delay_alu instid0(VALU_DEP_1)
	v_bfe_u32 v12, v13, 23, 1
; %bb.8721:                             ;   in Loop: Header=BB6_8078 Depth=3
	s_or_b32 exec_lo, exec_lo, s13
	v_lshrrev_b32_e32 v13, 21, v13
	s_delay_alu instid0(VALU_DEP_2) | instskip(SKIP_2) | instid1(VALU_DEP_2)
	v_cmp_gt_i32_e32 vcc_lo, 32, v12
	v_min_i32_e32 v14, 31, v12
	v_lshrrev_b32_e32 v8, 24, v8
	v_dual_cndmask_b32 v13, 3, v13 :: v_dual_lshlrev_b32 v14, 2, v14
	s_delay_alu instid0(VALU_DEP_2) | instskip(NEXT) | instid1(VALU_DEP_2)
	v_and_b32_e32 v8, 0x80, v8
	v_or_b32_e32 v12, v12, v13
	s_delay_alu instid0(VALU_DEP_3) | instskip(NEXT) | instid1(VALU_DEP_2)
	v_and_b32_e32 v14, 0xfc, v14
	v_cmp_ne_u32_e32 vcc_lo, 0, v12
	v_and_b32_e32 v15, 3, v13
	s_delay_alu instid0(VALU_DEP_1) | instskip(NEXT) | instid1(VALU_DEP_1)
	v_or3_b32 v8, v14, v8, v15
	v_cndmask_b32_e32 v52, 0, v8, vcc_lo
.LBB6_8722:                             ;   in Loop: Header=BB6_8078 Depth=3
	s_or_b32 exec_lo, exec_lo, s31
.LBB6_8723:                             ;   in Loop: Header=BB6_8078 Depth=3
	s_delay_alu instid0(SALU_CYCLE_1) | instskip(SKIP_3) | instid1(VALU_DEP_1)
	s_or_b32 exec_lo, exec_lo, s30
	v_lshrrev_b16 v8, 8, v9
	s_mov_b32 s13, 0
	s_mov_b32 s31, exec_lo
                                        ; implicit-def: $sgpr30
	v_cmpx_lt_i16_e32 0x7f, v8
	s_xor_b32 s31, exec_lo, s31
	s_cbranch_execnz .LBB6_10089
; %bb.8724:                             ;   in Loop: Header=BB6_8078 Depth=3
	s_or_saveexec_b32 s31, s31
	v_mov_b32_e32 v12, s30
	s_xor_b32 exec_lo, exec_lo, s31
	s_cbranch_execnz .LBB6_10092
.LBB6_8725:                             ;   in Loop: Header=BB6_8078 Depth=3
	s_or_b32 exec_lo, exec_lo, s31
	s_and_saveexec_b32 s30, s13
	s_cbranch_execz .LBB6_8727
.LBB6_8726:                             ;   in Loop: Header=BB6_8078 Depth=3
	v_and_b32_e32 v12, 0xffff, v8
	v_lshlrev_b32_e32 v8, 24, v8
	s_delay_alu instid0(VALU_DEP_2) | instskip(NEXT) | instid1(VALU_DEP_2)
	v_and_b32_e32 v13, 3, v12
	v_and_b32_e32 v8, 0x80000000, v8
	s_delay_alu instid0(VALU_DEP_2) | instskip(NEXT) | instid1(VALU_DEP_1)
	v_clz_i32_u32_e32 v14, v13
	v_min_u32_e32 v14, 32, v14
	s_delay_alu instid0(VALU_DEP_1) | instskip(SKIP_1) | instid1(VALU_DEP_2)
	v_subrev_nc_u32_e32 v15, 29, v14
	v_sub_nc_u32_e32 v14, 30, v14
	v_lshlrev_b32_e32 v15, v15, v12
	v_bfe_u32 v12, v12, 2, 5
	s_delay_alu instid0(VALU_DEP_2) | instskip(NEXT) | instid1(VALU_DEP_2)
	v_and_b32_e32 v15, 3, v15
	v_cmp_eq_u32_e32 vcc_lo, 0, v12
	s_delay_alu instid0(VALU_DEP_2) | instskip(NEXT) | instid1(VALU_DEP_1)
	v_dual_cndmask_b32 v12, v12, v14 :: v_dual_cndmask_b32 v13, v13, v15
	v_lshl_add_u32 v12, v12, 23, 0x37800000
	s_delay_alu instid0(VALU_DEP_2) | instskip(NEXT) | instid1(VALU_DEP_1)
	v_lshlrev_b32_e32 v13, 21, v13
	v_or3_b32 v12, v8, v12, v13
.LBB6_8727:                             ;   in Loop: Header=BB6_8078 Depth=3
	s_or_b32 exec_lo, exec_lo, s30
	s_delay_alu instid0(VALU_DEP_1) | instskip(SKIP_2) | instid1(VALU_DEP_2)
	v_mul_f32_e32 v8, s17, v12
	v_mov_b32_e32 v54, 0x8000
	s_mov_b32 s30, exec_lo
	v_and_b32_e32 v12, 0x7f800000, v8
	s_delay_alu instid0(VALU_DEP_1)
	v_cmpx_ne_u32_e32 0x7f800000, v12
	s_cbranch_execz .LBB6_8735
; %bb.8728:                             ;   in Loop: Header=BB6_8078 Depth=3
	v_mov_b32_e32 v54, 0
	s_mov_b32 s31, exec_lo
	v_cmpx_ne_u32_e32 0, v8
	s_cbranch_execz .LBB6_8734
; %bb.8729:                             ;   in Loop: Header=BB6_8078 Depth=3
	v_bfe_u32 v12, v8, 23, 8
	s_delay_alu instid0(VALU_DEP_1) | instskip(SKIP_1) | instid1(VALU_DEP_2)
	v_sub_nc_u32_e32 v14, 0x70, v12
	v_cmp_gt_u32_e32 vcc_lo, 0x71, v12
	v_dual_cndmask_b32 v14, 0, v14 :: v_dual_and_b32 v13, 0x7fffff, v8
	s_delay_alu instid0(VALU_DEP_1) | instskip(SKIP_2) | instid1(VALU_DEP_4)
	v_or_b32_e32 v15, 0x800000, v13
	v_cmp_eq_u32_e32 vcc_lo, 0, v12
	v_add_nc_u32_e32 v12, 0xffffff91, v12
	v_cndmask_b32_e64 v14, v14, 0x6f, vcc_lo
	s_delay_alu instid0(VALU_DEP_4) | instskip(NEXT) | instid1(VALU_DEP_3)
	v_cndmask_b32_e32 v13, v15, v13, vcc_lo
	v_cndmask_b32_e64 v12, v12, 0xffffff92, vcc_lo
	s_delay_alu instid0(VALU_DEP_3) | instskip(NEXT) | instid1(VALU_DEP_3)
	v_lshl_add_u32 v15, 0x200000, v14, -1
	v_lshrrev_b32_e32 v16, v14, v13
	v_lshlrev_b32_e64 v18, v14, 0x100000
	s_delay_alu instid0(VALU_DEP_4) | instskip(NEXT) | instid1(VALU_DEP_4)
	v_add_nc_u32_e32 v14, v14, v12
	v_and_b32_e32 v13, v15, v13
	s_delay_alu instid0(VALU_DEP_4) | instskip(NEXT) | instid1(VALU_DEP_2)
	v_bfe_u32 v17, v16, 21, 1
	v_cmp_eq_u32_e64 s13, v13, v18
	s_delay_alu instid0(VALU_DEP_2) | instskip(NEXT) | instid1(VALU_DEP_1)
	v_add_nc_u32_e32 v15, -1, v17
	v_cndmask_b32_e64 v13, 0, v15, s13
	v_lshrrev_b32_e32 v15, 23, v16
	s_mov_b32 s13, exec_lo
	s_delay_alu instid0(VALU_DEP_2) | instskip(NEXT) | instid1(VALU_DEP_2)
	v_add_nc_u32_e32 v13, v13, v16
	v_xor_b32_e32 v15, 1, v15
	s_delay_alu instid0(VALU_DEP_2) | instskip(NEXT) | instid1(VALU_DEP_1)
	v_and_b32_e32 v12, 0x1fffff, v13
	v_add_nc_u32_e32 v13, v12, v16
                                        ; implicit-def: $vgpr12
	s_delay_alu instid0(VALU_DEP_3)
	v_cmpx_ne_u32_e64 v14, v15
	s_xor_b32 s13, exec_lo, s13
; %bb.8730:                             ;   in Loop: Header=BB6_8078 Depth=3
	s_delay_alu instid0(VALU_DEP_2) | instskip(SKIP_2) | instid1(VALU_DEP_2)
	v_cmp_lt_u32_e32 vcc_lo, 0xffffff, v13
	v_sub_nc_u32_e32 v12, v14, v15
	v_cndmask_b32_e64 v14, 0, 1, vcc_lo
	v_add_co_ci_u32_e32 v12, vcc_lo, 0, v12, vcc_lo
	s_delay_alu instid0(VALU_DEP_2)
	v_lshrrev_b32_e32 v13, v14, v13
; %bb.8731:                             ;   in Loop: Header=BB6_8078 Depth=3
	s_and_not1_saveexec_b32 s13, s13
; %bb.8732:                             ;   in Loop: Header=BB6_8078 Depth=3
	s_delay_alu instid0(VALU_DEP_1)
	v_bfe_u32 v12, v13, 23, 1
; %bb.8733:                             ;   in Loop: Header=BB6_8078 Depth=3
	s_or_b32 exec_lo, exec_lo, s13
	v_lshrrev_b32_e32 v13, 21, v13
	s_delay_alu instid0(VALU_DEP_2) | instskip(SKIP_2) | instid1(VALU_DEP_2)
	v_cmp_gt_i32_e32 vcc_lo, 32, v12
	v_min_i32_e32 v14, 31, v12
	v_lshrrev_b32_e32 v8, 24, v8
	v_dual_cndmask_b32 v13, 3, v13 :: v_dual_lshlrev_b32 v14, 2, v14
	s_delay_alu instid0(VALU_DEP_2) | instskip(NEXT) | instid1(VALU_DEP_2)
	v_and_b32_e32 v8, 0x80, v8
	v_or_b32_e32 v12, v12, v13
	s_delay_alu instid0(VALU_DEP_3) | instskip(NEXT) | instid1(VALU_DEP_2)
	v_and_b32_e32 v14, 0xfc, v14
	v_cmp_ne_u32_e32 vcc_lo, 0, v12
	v_and_b32_e32 v15, 3, v13
	s_delay_alu instid0(VALU_DEP_1) | instskip(NEXT) | instid1(VALU_DEP_1)
	v_or3_b32 v8, v8, v14, v15
	v_lshlrev_b32_e32 v8, 8, v8
	s_delay_alu instid0(VALU_DEP_1)
	v_cndmask_b32_e32 v54, 0, v8, vcc_lo
.LBB6_8734:                             ;   in Loop: Header=BB6_8078 Depth=3
	s_or_b32 exec_lo, exec_lo, s31
.LBB6_8735:                             ;   in Loop: Header=BB6_8078 Depth=3
	s_delay_alu instid0(SALU_CYCLE_1) | instskip(SKIP_3) | instid1(VALU_DEP_1)
	s_or_b32 exec_lo, exec_lo, s30
	v_lshrrev_b32_e32 v8, 16, v9
	s_mov_b32 s13, 0
	s_mov_b32 s31, exec_lo
                                        ; implicit-def: $sgpr30
	v_and_b32_e32 v13, 0xff, v8
	s_delay_alu instid0(VALU_DEP_1)
	v_cmpx_lt_i16_e32 0x7f, v13
	s_xor_b32 s31, exec_lo, s31
	s_cbranch_execnz .LBB6_10093
; %bb.8736:                             ;   in Loop: Header=BB6_8078 Depth=3
	s_or_saveexec_b32 s31, s31
	v_mov_b32_e32 v12, s30
	s_xor_b32 exec_lo, exec_lo, s31
	s_cbranch_execnz .LBB6_10096
.LBB6_8737:                             ;   in Loop: Header=BB6_8078 Depth=3
	s_or_b32 exec_lo, exec_lo, s31
	s_and_saveexec_b32 s30, s13
	s_cbranch_execz .LBB6_8739
.LBB6_8738:                             ;   in Loop: Header=BB6_8078 Depth=3
	v_bfe_u32 v12, v9, 16, 2
	s_delay_alu instid0(VALU_DEP_1) | instskip(NEXT) | instid1(VALU_DEP_1)
	v_clz_i32_u32_e32 v13, v12
	v_min_u32_e32 v13, 32, v13
	s_delay_alu instid0(VALU_DEP_1) | instskip(SKIP_1) | instid1(VALU_DEP_2)
	v_subrev_nc_u32_e32 v14, 29, v13
	v_sub_nc_u32_e32 v13, 30, v13
	v_lshlrev_b32_e32 v8, v14, v8
	v_bfe_u32 v14, v9, 18, 5
	s_delay_alu instid0(VALU_DEP_1) | instskip(NEXT) | instid1(VALU_DEP_3)
	v_cmp_eq_u32_e32 vcc_lo, 0, v14
	v_dual_cndmask_b32 v13, v14, v13 :: v_dual_and_b32 v8, 3, v8
	s_delay_alu instid0(VALU_DEP_1) | instskip(NEXT) | instid1(VALU_DEP_2)
	v_dual_cndmask_b32 v8, v12, v8 :: v_dual_lshlrev_b32 v15, 8, v9
	v_lshl_add_u32 v13, v13, 23, 0x37800000
	s_delay_alu instid0(VALU_DEP_2) | instskip(NEXT) | instid1(VALU_DEP_3)
	v_and_b32_e32 v12, 0x80000000, v15
	v_lshlrev_b32_e32 v8, 21, v8
	s_delay_alu instid0(VALU_DEP_1)
	v_or3_b32 v12, v12, v13, v8
.LBB6_8739:                             ;   in Loop: Header=BB6_8078 Depth=3
	s_or_b32 exec_lo, exec_lo, s30
	s_delay_alu instid0(VALU_DEP_1) | instskip(SKIP_1) | instid1(VALU_DEP_1)
	v_dual_mul_f32 v8, s17, v12 :: v_dual_mov_b32 v51, 0x80
	s_mov_b32 s30, exec_lo
	v_and_b32_e32 v12, 0x7f800000, v8
	s_delay_alu instid0(VALU_DEP_1)
	v_cmpx_ne_u32_e32 0x7f800000, v12
	s_cbranch_execz .LBB6_8747
; %bb.8740:                             ;   in Loop: Header=BB6_8078 Depth=3
	v_mov_b32_e32 v51, 0
	s_mov_b32 s31, exec_lo
	v_cmpx_ne_u32_e32 0, v8
	s_cbranch_execz .LBB6_8746
; %bb.8741:                             ;   in Loop: Header=BB6_8078 Depth=3
	v_bfe_u32 v12, v8, 23, 8
	s_delay_alu instid0(VALU_DEP_1) | instskip(SKIP_1) | instid1(VALU_DEP_2)
	v_sub_nc_u32_e32 v14, 0x70, v12
	v_cmp_gt_u32_e32 vcc_lo, 0x71, v12
	v_dual_cndmask_b32 v14, 0, v14 :: v_dual_and_b32 v13, 0x7fffff, v8
	s_delay_alu instid0(VALU_DEP_1) | instskip(SKIP_2) | instid1(VALU_DEP_4)
	v_or_b32_e32 v15, 0x800000, v13
	v_cmp_eq_u32_e32 vcc_lo, 0, v12
	v_add_nc_u32_e32 v12, 0xffffff91, v12
	v_cndmask_b32_e64 v14, v14, 0x6f, vcc_lo
	s_delay_alu instid0(VALU_DEP_4) | instskip(NEXT) | instid1(VALU_DEP_3)
	v_cndmask_b32_e32 v13, v15, v13, vcc_lo
	v_cndmask_b32_e64 v12, v12, 0xffffff92, vcc_lo
	s_delay_alu instid0(VALU_DEP_3) | instskip(NEXT) | instid1(VALU_DEP_3)
	v_lshl_add_u32 v15, 0x200000, v14, -1
	v_lshrrev_b32_e32 v16, v14, v13
	v_lshlrev_b32_e64 v18, v14, 0x100000
	s_delay_alu instid0(VALU_DEP_4) | instskip(NEXT) | instid1(VALU_DEP_4)
	v_add_nc_u32_e32 v14, v14, v12
	v_and_b32_e32 v13, v15, v13
	s_delay_alu instid0(VALU_DEP_4) | instskip(NEXT) | instid1(VALU_DEP_2)
	v_bfe_u32 v17, v16, 21, 1
	v_cmp_eq_u32_e64 s13, v13, v18
	s_delay_alu instid0(VALU_DEP_2) | instskip(NEXT) | instid1(VALU_DEP_1)
	v_add_nc_u32_e32 v15, -1, v17
	v_cndmask_b32_e64 v13, 0, v15, s13
	v_lshrrev_b32_e32 v15, 23, v16
	s_mov_b32 s13, exec_lo
	s_delay_alu instid0(VALU_DEP_2) | instskip(NEXT) | instid1(VALU_DEP_2)
	v_add_nc_u32_e32 v13, v13, v16
	v_xor_b32_e32 v15, 1, v15
	s_delay_alu instid0(VALU_DEP_2) | instskip(NEXT) | instid1(VALU_DEP_1)
	v_and_b32_e32 v12, 0x1fffff, v13
	v_add_nc_u32_e32 v13, v12, v16
                                        ; implicit-def: $vgpr12
	s_delay_alu instid0(VALU_DEP_3)
	v_cmpx_ne_u32_e64 v14, v15
	s_xor_b32 s13, exec_lo, s13
; %bb.8742:                             ;   in Loop: Header=BB6_8078 Depth=3
	s_delay_alu instid0(VALU_DEP_2) | instskip(SKIP_2) | instid1(VALU_DEP_2)
	v_cmp_lt_u32_e32 vcc_lo, 0xffffff, v13
	v_sub_nc_u32_e32 v12, v14, v15
	v_cndmask_b32_e64 v14, 0, 1, vcc_lo
	v_add_co_ci_u32_e32 v12, vcc_lo, 0, v12, vcc_lo
	s_delay_alu instid0(VALU_DEP_2)
	v_lshrrev_b32_e32 v13, v14, v13
; %bb.8743:                             ;   in Loop: Header=BB6_8078 Depth=3
	s_and_not1_saveexec_b32 s13, s13
; %bb.8744:                             ;   in Loop: Header=BB6_8078 Depth=3
	s_delay_alu instid0(VALU_DEP_1)
	v_bfe_u32 v12, v13, 23, 1
; %bb.8745:                             ;   in Loop: Header=BB6_8078 Depth=3
	s_or_b32 exec_lo, exec_lo, s13
	v_lshrrev_b32_e32 v13, 21, v13
	s_delay_alu instid0(VALU_DEP_2) | instskip(SKIP_2) | instid1(VALU_DEP_2)
	v_cmp_gt_i32_e32 vcc_lo, 32, v12
	v_min_i32_e32 v14, 31, v12
	v_lshrrev_b32_e32 v8, 24, v8
	v_dual_cndmask_b32 v13, 3, v13 :: v_dual_lshlrev_b32 v14, 2, v14
	s_delay_alu instid0(VALU_DEP_2) | instskip(NEXT) | instid1(VALU_DEP_2)
	v_and_b32_e32 v8, 0x80, v8
	v_or_b32_e32 v12, v12, v13
	v_and_b32_e32 v15, 3, v13
	s_delay_alu instid0(VALU_DEP_2) | instskip(SKIP_1) | instid1(VALU_DEP_1)
	v_cmp_ne_u32_e32 vcc_lo, 0, v12
	v_and_b32_e32 v14, 0xfc, v14
	v_or3_b32 v8, v14, v8, v15
	s_delay_alu instid0(VALU_DEP_1)
	v_cndmask_b32_e32 v51, 0, v8, vcc_lo
.LBB6_8746:                             ;   in Loop: Header=BB6_8078 Depth=3
	s_or_b32 exec_lo, exec_lo, s31
.LBB6_8747:                             ;   in Loop: Header=BB6_8078 Depth=3
	s_delay_alu instid0(SALU_CYCLE_1) | instskip(SKIP_3) | instid1(VALU_DEP_1)
	s_or_b32 exec_lo, exec_lo, s30
	v_lshrrev_b32_e32 v8, 24, v9
	s_mov_b32 s13, 0
	s_mov_b32 s31, exec_lo
                                        ; implicit-def: $sgpr30
	v_cmpx_lt_i16_e32 0x7f, v8
	s_xor_b32 s31, exec_lo, s31
	s_cbranch_execnz .LBB6_10097
; %bb.8748:                             ;   in Loop: Header=BB6_8078 Depth=3
	s_or_saveexec_b32 s31, s31
	v_mov_b32_e32 v12, s30
	s_xor_b32 exec_lo, exec_lo, s31
	s_cbranch_execnz .LBB6_10100
.LBB6_8749:                             ;   in Loop: Header=BB6_8078 Depth=3
	s_or_b32 exec_lo, exec_lo, s31
	s_and_saveexec_b32 s30, s13
	s_cbranch_execz .LBB6_8751
.LBB6_8750:                             ;   in Loop: Header=BB6_8078 Depth=3
	v_bfe_u32 v12, v9, 24, 2
	s_delay_alu instid0(VALU_DEP_1) | instskip(NEXT) | instid1(VALU_DEP_1)
	v_clz_i32_u32_e32 v13, v12
	v_min_u32_e32 v13, 32, v13
	s_delay_alu instid0(VALU_DEP_1) | instskip(SKIP_1) | instid1(VALU_DEP_2)
	v_subrev_nc_u32_e32 v14, 29, v13
	v_sub_nc_u32_e32 v13, 30, v13
	v_lshlrev_b32_e32 v8, v14, v8
	v_bfe_u32 v14, v9, 26, 5
	v_and_b32_e32 v9, 0x80000000, v9
	s_delay_alu instid0(VALU_DEP_2) | instskip(NEXT) | instid1(VALU_DEP_4)
	v_cmp_eq_u32_e32 vcc_lo, 0, v14
	v_dual_cndmask_b32 v13, v14, v13 :: v_dual_and_b32 v8, 3, v8
	s_delay_alu instid0(VALU_DEP_1) | instskip(NEXT) | instid1(VALU_DEP_2)
	v_cndmask_b32_e32 v8, v12, v8, vcc_lo
	v_lshl_add_u32 v12, v13, 23, 0x37800000
	s_delay_alu instid0(VALU_DEP_2) | instskip(NEXT) | instid1(VALU_DEP_1)
	v_lshlrev_b32_e32 v8, 21, v8
	v_or3_b32 v12, v9, v12, v8
.LBB6_8751:                             ;   in Loop: Header=BB6_8078 Depth=3
	s_or_b32 exec_lo, exec_lo, s30
	s_delay_alu instid0(VALU_DEP_1) | instskip(SKIP_1) | instid1(VALU_DEP_1)
	v_dual_mul_f32 v8, s17, v12 :: v_dual_mov_b32 v53, 0x8000
	s_mov_b32 s30, exec_lo
	v_and_b32_e32 v9, 0x7f800000, v8
	s_delay_alu instid0(VALU_DEP_1)
	v_cmpx_ne_u32_e32 0x7f800000, v9
	s_cbranch_execz .LBB6_8759
; %bb.8752:                             ;   in Loop: Header=BB6_8078 Depth=3
	v_mov_b32_e32 v53, 0
	s_mov_b32 s31, exec_lo
	v_cmpx_ne_u32_e32 0, v8
	s_cbranch_execz .LBB6_8758
; %bb.8753:                             ;   in Loop: Header=BB6_8078 Depth=3
	v_bfe_u32 v9, v8, 23, 8
	s_delay_alu instid0(VALU_DEP_1) | instskip(SKIP_1) | instid1(VALU_DEP_2)
	v_sub_nc_u32_e32 v13, 0x70, v9
	v_cmp_gt_u32_e32 vcc_lo, 0x71, v9
	v_dual_cndmask_b32 v13, 0, v13 :: v_dual_and_b32 v12, 0x7fffff, v8
	s_delay_alu instid0(VALU_DEP_1) | instskip(SKIP_2) | instid1(VALU_DEP_4)
	v_or_b32_e32 v14, 0x800000, v12
	v_cmp_eq_u32_e32 vcc_lo, 0, v9
	v_add_nc_u32_e32 v9, 0xffffff91, v9
	v_cndmask_b32_e64 v13, v13, 0x6f, vcc_lo
	s_delay_alu instid0(VALU_DEP_4) | instskip(NEXT) | instid1(VALU_DEP_3)
	v_cndmask_b32_e32 v12, v14, v12, vcc_lo
	v_cndmask_b32_e64 v9, v9, 0xffffff92, vcc_lo
	s_delay_alu instid0(VALU_DEP_3) | instskip(NEXT) | instid1(VALU_DEP_3)
	v_lshl_add_u32 v14, 0x200000, v13, -1
	v_lshrrev_b32_e32 v15, v13, v12
	v_lshlrev_b32_e64 v17, v13, 0x100000
	s_delay_alu instid0(VALU_DEP_4) | instskip(NEXT) | instid1(VALU_DEP_4)
	v_add_nc_u32_e32 v13, v13, v9
	v_and_b32_e32 v12, v14, v12
	s_delay_alu instid0(VALU_DEP_4) | instskip(NEXT) | instid1(VALU_DEP_2)
	v_bfe_u32 v16, v15, 21, 1
	v_cmp_eq_u32_e64 s13, v12, v17
	s_delay_alu instid0(VALU_DEP_2) | instskip(NEXT) | instid1(VALU_DEP_1)
	v_add_nc_u32_e32 v14, -1, v16
	v_cndmask_b32_e64 v12, 0, v14, s13
	v_lshrrev_b32_e32 v14, 23, v15
	s_mov_b32 s13, exec_lo
	s_delay_alu instid0(VALU_DEP_2) | instskip(NEXT) | instid1(VALU_DEP_2)
	v_add_nc_u32_e32 v12, v12, v15
	v_xor_b32_e32 v14, 1, v14
	s_delay_alu instid0(VALU_DEP_2) | instskip(NEXT) | instid1(VALU_DEP_1)
	v_and_b32_e32 v9, 0x1fffff, v12
	v_add_nc_u32_e32 v12, v9, v15
                                        ; implicit-def: $vgpr9
	s_delay_alu instid0(VALU_DEP_3)
	v_cmpx_ne_u32_e64 v13, v14
	s_xor_b32 s13, exec_lo, s13
; %bb.8754:                             ;   in Loop: Header=BB6_8078 Depth=3
	s_delay_alu instid0(VALU_DEP_2) | instskip(SKIP_2) | instid1(VALU_DEP_2)
	v_cmp_lt_u32_e32 vcc_lo, 0xffffff, v12
	v_sub_nc_u32_e32 v9, v13, v14
	v_cndmask_b32_e64 v13, 0, 1, vcc_lo
	v_add_co_ci_u32_e32 v9, vcc_lo, 0, v9, vcc_lo
	s_delay_alu instid0(VALU_DEP_2)
	v_lshrrev_b32_e32 v12, v13, v12
; %bb.8755:                             ;   in Loop: Header=BB6_8078 Depth=3
	s_and_not1_saveexec_b32 s13, s13
; %bb.8756:                             ;   in Loop: Header=BB6_8078 Depth=3
	s_delay_alu instid0(VALU_DEP_1)
	v_bfe_u32 v9, v12, 23, 1
; %bb.8757:                             ;   in Loop: Header=BB6_8078 Depth=3
	s_or_b32 exec_lo, exec_lo, s13
	v_lshrrev_b32_e32 v12, 21, v12
	s_delay_alu instid0(VALU_DEP_2) | instskip(SKIP_2) | instid1(VALU_DEP_3)
	v_min_i32_e32 v13, 31, v9
	v_cmp_gt_i32_e32 vcc_lo, 32, v9
	v_lshrrev_b32_e32 v8, 24, v8
	v_dual_cndmask_b32 v12, 3, v12 :: v_dual_lshlrev_b32 v13, 2, v13
	s_delay_alu instid0(VALU_DEP_2) | instskip(NEXT) | instid1(VALU_DEP_2)
	v_and_b32_e32 v8, 0x80, v8
	v_and_b32_e32 v13, 0xfc, v13
	s_delay_alu instid0(VALU_DEP_3) | instskip(SKIP_1) | instid1(VALU_DEP_2)
	v_and_b32_e32 v14, 3, v12
	v_or_b32_e32 v9, v9, v12
	v_or3_b32 v8, v8, v13, v14
	s_delay_alu instid0(VALU_DEP_2) | instskip(NEXT) | instid1(VALU_DEP_2)
	v_cmp_ne_u32_e32 vcc_lo, 0, v9
	v_lshlrev_b32_e32 v8, 8, v8
	s_delay_alu instid0(VALU_DEP_1)
	v_cndmask_b32_e32 v53, 0, v8, vcc_lo
.LBB6_8758:                             ;   in Loop: Header=BB6_8078 Depth=3
	s_or_b32 exec_lo, exec_lo, s31
.LBB6_8759:                             ;   in Loop: Header=BB6_8078 Depth=3
	s_delay_alu instid0(SALU_CYCLE_1) | instskip(SKIP_3) | instid1(VALU_DEP_1)
	s_or_b32 exec_lo, exec_lo, s30
	v_and_b32_e32 v9, 0xff, v10
	s_mov_b32 s13, 0
	s_mov_b32 s31, exec_lo
                                        ; implicit-def: $sgpr30
	v_cmpx_lt_i16_e32 0x7f, v9
	s_xor_b32 s31, exec_lo, s31
	s_cbranch_execnz .LBB6_10101
; %bb.8760:                             ;   in Loop: Header=BB6_8078 Depth=3
	s_or_saveexec_b32 s31, s31
	v_mov_b32_e32 v8, s30
	s_xor_b32 exec_lo, exec_lo, s31
	s_cbranch_execnz .LBB6_10104
.LBB6_8761:                             ;   in Loop: Header=BB6_8078 Depth=3
	s_or_b32 exec_lo, exec_lo, s31
	s_and_saveexec_b32 s30, s13
	s_cbranch_execz .LBB6_8763
.LBB6_8762:                             ;   in Loop: Header=BB6_8078 Depth=3
	v_bfe_u32 v13, v10, 2, 5
	v_lshlrev_b32_e32 v14, 24, v10
	s_delay_alu instid0(VALU_DEP_2) | instskip(SKIP_1) | instid1(VALU_DEP_1)
	v_cmp_eq_u32_e32 vcc_lo, 0, v13
	v_and_b32_e32 v8, 3, v10
	v_clz_i32_u32_e32 v9, v8
	s_delay_alu instid0(VALU_DEP_1) | instskip(NEXT) | instid1(VALU_DEP_1)
	v_min_u32_e32 v9, 32, v9
	v_subrev_nc_u32_e32 v12, 29, v9
	v_sub_nc_u32_e32 v9, 30, v9
	s_delay_alu instid0(VALU_DEP_1) | instskip(NEXT) | instid1(VALU_DEP_1)
	v_dual_cndmask_b32 v9, v13, v9 :: v_dual_lshlrev_b32 v12, v12, v10
	v_and_b32_e32 v12, 3, v12
	s_delay_alu instid0(VALU_DEP_2) | instskip(NEXT) | instid1(VALU_DEP_2)
	v_lshl_add_u32 v9, v9, 23, 0x37800000
	v_cndmask_b32_e32 v8, v8, v12, vcc_lo
	v_and_b32_e32 v12, 0x80000000, v14
	s_delay_alu instid0(VALU_DEP_2) | instskip(NEXT) | instid1(VALU_DEP_1)
	v_lshlrev_b32_e32 v8, 21, v8
	v_or3_b32 v8, v12, v9, v8
.LBB6_8763:                             ;   in Loop: Header=BB6_8078 Depth=3
	s_or_b32 exec_lo, exec_lo, s30
	s_delay_alu instid0(VALU_DEP_1) | instskip(SKIP_1) | instid1(VALU_DEP_1)
	v_dual_mul_f32 v8, s17, v8 :: v_dual_mov_b32 v179, 0x80
	s_mov_b32 s30, exec_lo
	v_and_b32_e32 v9, 0x7f800000, v8
	s_delay_alu instid0(VALU_DEP_1)
	v_cmpx_ne_u32_e32 0x7f800000, v9
	s_cbranch_execz .LBB6_8771
; %bb.8764:                             ;   in Loop: Header=BB6_8078 Depth=3
	v_mov_b32_e32 v179, 0
	s_mov_b32 s31, exec_lo
	v_cmpx_ne_u32_e32 0, v8
	s_cbranch_execz .LBB6_8770
; %bb.8765:                             ;   in Loop: Header=BB6_8078 Depth=3
	v_bfe_u32 v9, v8, 23, 8
	s_delay_alu instid0(VALU_DEP_1) | instskip(SKIP_1) | instid1(VALU_DEP_2)
	v_sub_nc_u32_e32 v13, 0x70, v9
	v_cmp_gt_u32_e32 vcc_lo, 0x71, v9
	v_dual_cndmask_b32 v13, 0, v13 :: v_dual_and_b32 v12, 0x7fffff, v8
	s_delay_alu instid0(VALU_DEP_1) | instskip(SKIP_2) | instid1(VALU_DEP_4)
	v_or_b32_e32 v14, 0x800000, v12
	v_cmp_eq_u32_e32 vcc_lo, 0, v9
	v_add_nc_u32_e32 v9, 0xffffff91, v9
	v_cndmask_b32_e64 v13, v13, 0x6f, vcc_lo
	s_delay_alu instid0(VALU_DEP_4) | instskip(NEXT) | instid1(VALU_DEP_3)
	v_cndmask_b32_e32 v12, v14, v12, vcc_lo
	v_cndmask_b32_e64 v9, v9, 0xffffff92, vcc_lo
	s_delay_alu instid0(VALU_DEP_3) | instskip(NEXT) | instid1(VALU_DEP_3)
	v_lshl_add_u32 v14, 0x200000, v13, -1
	v_lshrrev_b32_e32 v15, v13, v12
	v_lshlrev_b32_e64 v17, v13, 0x100000
	s_delay_alu instid0(VALU_DEP_4) | instskip(NEXT) | instid1(VALU_DEP_4)
	v_add_nc_u32_e32 v13, v13, v9
	v_and_b32_e32 v12, v14, v12
	s_delay_alu instid0(VALU_DEP_4) | instskip(NEXT) | instid1(VALU_DEP_2)
	v_bfe_u32 v16, v15, 21, 1
	v_cmp_eq_u32_e64 s13, v12, v17
	s_delay_alu instid0(VALU_DEP_2) | instskip(NEXT) | instid1(VALU_DEP_1)
	v_add_nc_u32_e32 v14, -1, v16
	v_cndmask_b32_e64 v12, 0, v14, s13
	v_lshrrev_b32_e32 v14, 23, v15
	s_mov_b32 s13, exec_lo
	s_delay_alu instid0(VALU_DEP_2) | instskip(NEXT) | instid1(VALU_DEP_2)
	v_add_nc_u32_e32 v12, v12, v15
	v_xor_b32_e32 v14, 1, v14
	s_delay_alu instid0(VALU_DEP_2) | instskip(NEXT) | instid1(VALU_DEP_1)
	v_and_b32_e32 v9, 0x1fffff, v12
	v_add_nc_u32_e32 v12, v9, v15
                                        ; implicit-def: $vgpr9
	s_delay_alu instid0(VALU_DEP_3)
	v_cmpx_ne_u32_e64 v13, v14
	s_xor_b32 s13, exec_lo, s13
; %bb.8766:                             ;   in Loop: Header=BB6_8078 Depth=3
	s_delay_alu instid0(VALU_DEP_2) | instskip(SKIP_2) | instid1(VALU_DEP_2)
	v_cmp_lt_u32_e32 vcc_lo, 0xffffff, v12
	v_sub_nc_u32_e32 v9, v13, v14
	v_cndmask_b32_e64 v13, 0, 1, vcc_lo
	v_add_co_ci_u32_e32 v9, vcc_lo, 0, v9, vcc_lo
	s_delay_alu instid0(VALU_DEP_2)
	v_lshrrev_b32_e32 v12, v13, v12
; %bb.8767:                             ;   in Loop: Header=BB6_8078 Depth=3
	s_and_not1_saveexec_b32 s13, s13
; %bb.8768:                             ;   in Loop: Header=BB6_8078 Depth=3
	s_delay_alu instid0(VALU_DEP_1)
	v_bfe_u32 v9, v12, 23, 1
; %bb.8769:                             ;   in Loop: Header=BB6_8078 Depth=3
	s_or_b32 exec_lo, exec_lo, s13
	v_lshrrev_b32_e32 v12, 21, v12
	s_delay_alu instid0(VALU_DEP_2) | instskip(SKIP_2) | instid1(VALU_DEP_4)
	v_cmp_gt_i32_e32 vcc_lo, 32, v9
	v_lshrrev_b32_e32 v8, 24, v8
	v_min_i32_e32 v13, 31, v9
	v_cndmask_b32_e32 v12, 3, v12, vcc_lo
	s_delay_alu instid0(VALU_DEP_3) | instskip(NEXT) | instid1(VALU_DEP_3)
	v_and_b32_e32 v8, 0x80, v8
	v_lshlrev_b32_e32 v13, 2, v13
	s_delay_alu instid0(VALU_DEP_3) | instskip(SKIP_1) | instid1(VALU_DEP_2)
	v_and_b32_e32 v14, 3, v12
	v_or_b32_e32 v9, v9, v12
	v_or3_b32 v8, v13, v8, v14
	s_delay_alu instid0(VALU_DEP_2) | instskip(NEXT) | instid1(VALU_DEP_2)
	v_cmp_ne_u32_e32 vcc_lo, 0, v9
	v_cndmask_b32_e32 v179, 0, v8, vcc_lo
.LBB6_8770:                             ;   in Loop: Header=BB6_8078 Depth=3
	s_or_b32 exec_lo, exec_lo, s31
.LBB6_8771:                             ;   in Loop: Header=BB6_8078 Depth=3
	s_delay_alu instid0(SALU_CYCLE_1) | instskip(SKIP_3) | instid1(VALU_DEP_1)
	s_or_b32 exec_lo, exec_lo, s30
	v_lshrrev_b16 v8, 8, v10
	s_mov_b32 s13, 0
	s_mov_b32 s31, exec_lo
                                        ; implicit-def: $sgpr30
	v_cmpx_lt_i16_e32 0x7f, v8
	s_xor_b32 s31, exec_lo, s31
	s_cbranch_execnz .LBB6_10105
; %bb.8772:                             ;   in Loop: Header=BB6_8078 Depth=3
	s_or_saveexec_b32 s31, s31
	v_mov_b32_e32 v9, s30
	s_xor_b32 exec_lo, exec_lo, s31
	s_cbranch_execnz .LBB6_10108
.LBB6_8773:                             ;   in Loop: Header=BB6_8078 Depth=3
	s_or_b32 exec_lo, exec_lo, s31
	s_and_saveexec_b32 s30, s13
	s_cbranch_execz .LBB6_8775
.LBB6_8774:                             ;   in Loop: Header=BB6_8078 Depth=3
	v_and_b32_e32 v9, 0xffff, v8
	v_lshlrev_b32_e32 v8, 24, v8
	s_delay_alu instid0(VALU_DEP_2) | instskip(NEXT) | instid1(VALU_DEP_2)
	v_and_b32_e32 v12, 3, v9
	v_and_b32_e32 v8, 0x80000000, v8
	s_delay_alu instid0(VALU_DEP_2) | instskip(NEXT) | instid1(VALU_DEP_1)
	v_clz_i32_u32_e32 v13, v12
	v_min_u32_e32 v13, 32, v13
	s_delay_alu instid0(VALU_DEP_1) | instskip(SKIP_1) | instid1(VALU_DEP_2)
	v_subrev_nc_u32_e32 v14, 29, v13
	v_sub_nc_u32_e32 v13, 30, v13
	v_lshlrev_b32_e32 v14, v14, v9
	v_bfe_u32 v9, v9, 2, 5
	s_delay_alu instid0(VALU_DEP_1) | instskip(NEXT) | instid1(VALU_DEP_3)
	v_cmp_eq_u32_e32 vcc_lo, 0, v9
	v_dual_cndmask_b32 v9, v9, v13 :: v_dual_and_b32 v14, 3, v14
	s_delay_alu instid0(VALU_DEP_1) | instskip(NEXT) | instid1(VALU_DEP_2)
	v_cndmask_b32_e32 v12, v12, v14, vcc_lo
	v_lshl_add_u32 v9, v9, 23, 0x37800000
	s_delay_alu instid0(VALU_DEP_2) | instskip(NEXT) | instid1(VALU_DEP_1)
	v_lshlrev_b32_e32 v12, 21, v12
	v_or3_b32 v9, v8, v9, v12
.LBB6_8775:                             ;   in Loop: Header=BB6_8078 Depth=3
	s_or_b32 exec_lo, exec_lo, s30
	s_delay_alu instid0(VALU_DEP_1) | instskip(SKIP_2) | instid1(VALU_DEP_2)
	v_mul_f32_e32 v8, s17, v9
	v_mov_b32_e32 v176, 0x80
	s_mov_b32 s30, exec_lo
	v_and_b32_e32 v9, 0x7f800000, v8
	s_delay_alu instid0(VALU_DEP_1)
	v_cmpx_ne_u32_e32 0x7f800000, v9
	s_cbranch_execz .LBB6_8783
; %bb.8776:                             ;   in Loop: Header=BB6_8078 Depth=3
	v_mov_b32_e32 v176, 0
	s_mov_b32 s31, exec_lo
	v_cmpx_ne_u32_e32 0, v8
	s_cbranch_execz .LBB6_8782
; %bb.8777:                             ;   in Loop: Header=BB6_8078 Depth=3
	v_bfe_u32 v9, v8, 23, 8
	s_delay_alu instid0(VALU_DEP_1) | instskip(SKIP_1) | instid1(VALU_DEP_2)
	v_sub_nc_u32_e32 v13, 0x70, v9
	v_cmp_gt_u32_e32 vcc_lo, 0x71, v9
	v_dual_cndmask_b32 v13, 0, v13 :: v_dual_and_b32 v12, 0x7fffff, v8
	s_delay_alu instid0(VALU_DEP_1) | instskip(SKIP_2) | instid1(VALU_DEP_4)
	v_or_b32_e32 v14, 0x800000, v12
	v_cmp_eq_u32_e32 vcc_lo, 0, v9
	v_add_nc_u32_e32 v9, 0xffffff91, v9
	v_cndmask_b32_e64 v13, v13, 0x6f, vcc_lo
	s_delay_alu instid0(VALU_DEP_4) | instskip(NEXT) | instid1(VALU_DEP_3)
	v_cndmask_b32_e32 v12, v14, v12, vcc_lo
	v_cndmask_b32_e64 v9, v9, 0xffffff92, vcc_lo
	s_delay_alu instid0(VALU_DEP_3) | instskip(NEXT) | instid1(VALU_DEP_3)
	v_lshl_add_u32 v14, 0x200000, v13, -1
	v_lshrrev_b32_e32 v15, v13, v12
	v_lshlrev_b32_e64 v17, v13, 0x100000
	s_delay_alu instid0(VALU_DEP_4) | instskip(NEXT) | instid1(VALU_DEP_4)
	v_add_nc_u32_e32 v13, v13, v9
	v_and_b32_e32 v12, v14, v12
	s_delay_alu instid0(VALU_DEP_4) | instskip(NEXT) | instid1(VALU_DEP_2)
	v_bfe_u32 v16, v15, 21, 1
	v_cmp_eq_u32_e64 s13, v12, v17
	s_delay_alu instid0(VALU_DEP_2) | instskip(NEXT) | instid1(VALU_DEP_1)
	v_add_nc_u32_e32 v14, -1, v16
	v_cndmask_b32_e64 v12, 0, v14, s13
	v_lshrrev_b32_e32 v14, 23, v15
	s_mov_b32 s13, exec_lo
	s_delay_alu instid0(VALU_DEP_2) | instskip(NEXT) | instid1(VALU_DEP_2)
	v_add_nc_u32_e32 v12, v12, v15
	v_xor_b32_e32 v14, 1, v14
	s_delay_alu instid0(VALU_DEP_2) | instskip(NEXT) | instid1(VALU_DEP_1)
	v_and_b32_e32 v9, 0x1fffff, v12
	v_add_nc_u32_e32 v12, v9, v15
                                        ; implicit-def: $vgpr9
	s_delay_alu instid0(VALU_DEP_3)
	v_cmpx_ne_u32_e64 v13, v14
	s_xor_b32 s13, exec_lo, s13
; %bb.8778:                             ;   in Loop: Header=BB6_8078 Depth=3
	s_delay_alu instid0(VALU_DEP_2) | instskip(SKIP_2) | instid1(VALU_DEP_2)
	v_cmp_lt_u32_e32 vcc_lo, 0xffffff, v12
	v_sub_nc_u32_e32 v9, v13, v14
	v_cndmask_b32_e64 v13, 0, 1, vcc_lo
	v_add_co_ci_u32_e32 v9, vcc_lo, 0, v9, vcc_lo
	s_delay_alu instid0(VALU_DEP_2)
	v_lshrrev_b32_e32 v12, v13, v12
; %bb.8779:                             ;   in Loop: Header=BB6_8078 Depth=3
	s_and_not1_saveexec_b32 s13, s13
; %bb.8780:                             ;   in Loop: Header=BB6_8078 Depth=3
	s_delay_alu instid0(VALU_DEP_1)
	v_bfe_u32 v9, v12, 23, 1
; %bb.8781:                             ;   in Loop: Header=BB6_8078 Depth=3
	s_or_b32 exec_lo, exec_lo, s13
	v_lshrrev_b32_e32 v12, 21, v12
	s_delay_alu instid0(VALU_DEP_2) | instskip(SKIP_2) | instid1(VALU_DEP_4)
	v_cmp_gt_i32_e32 vcc_lo, 32, v9
	v_lshrrev_b32_e32 v8, 24, v8
	v_min_i32_e32 v13, 31, v9
	v_cndmask_b32_e32 v12, 3, v12, vcc_lo
	s_delay_alu instid0(VALU_DEP_3) | instskip(NEXT) | instid1(VALU_DEP_3)
	v_and_b32_e32 v8, 0x80, v8
	v_lshlrev_b32_e32 v13, 2, v13
	s_delay_alu instid0(VALU_DEP_3) | instskip(SKIP_1) | instid1(VALU_DEP_2)
	v_and_b32_e32 v14, 3, v12
	v_or_b32_e32 v9, v9, v12
	v_or3_b32 v8, v13, v8, v14
	s_delay_alu instid0(VALU_DEP_2) | instskip(NEXT) | instid1(VALU_DEP_2)
	v_cmp_ne_u32_e32 vcc_lo, 0, v9
	v_cndmask_b32_e32 v176, 0, v8, vcc_lo
.LBB6_8782:                             ;   in Loop: Header=BB6_8078 Depth=3
	s_or_b32 exec_lo, exec_lo, s31
.LBB6_8783:                             ;   in Loop: Header=BB6_8078 Depth=3
	s_delay_alu instid0(SALU_CYCLE_1) | instskip(SKIP_3) | instid1(VALU_DEP_1)
	s_or_b32 exec_lo, exec_lo, s30
	v_lshrrev_b32_e32 v8, 16, v10
	s_mov_b32 s13, 0
	s_mov_b32 s31, exec_lo
                                        ; implicit-def: $sgpr30
	v_and_b32_e32 v12, 0xff, v8
	s_delay_alu instid0(VALU_DEP_1)
	v_cmpx_lt_i16_e32 0x7f, v12
	s_xor_b32 s31, exec_lo, s31
	s_cbranch_execnz .LBB6_10109
; %bb.8784:                             ;   in Loop: Header=BB6_8078 Depth=3
	s_or_saveexec_b32 s31, s31
	v_mov_b32_e32 v9, s30
	s_xor_b32 exec_lo, exec_lo, s31
	s_cbranch_execnz .LBB6_10112
.LBB6_8785:                             ;   in Loop: Header=BB6_8078 Depth=3
	s_or_b32 exec_lo, exec_lo, s31
	s_and_saveexec_b32 s30, s13
	s_cbranch_execz .LBB6_8787
.LBB6_8786:                             ;   in Loop: Header=BB6_8078 Depth=3
	v_bfe_u32 v9, v10, 16, 2
	v_lshlrev_b32_e32 v14, 8, v10
	s_delay_alu instid0(VALU_DEP_2) | instskip(NEXT) | instid1(VALU_DEP_1)
	v_clz_i32_u32_e32 v12, v9
	v_min_u32_e32 v12, 32, v12
	s_delay_alu instid0(VALU_DEP_1) | instskip(SKIP_1) | instid1(VALU_DEP_2)
	v_subrev_nc_u32_e32 v13, 29, v12
	v_sub_nc_u32_e32 v12, 30, v12
	v_lshlrev_b32_e32 v8, v13, v8
	v_bfe_u32 v13, v10, 18, 5
	s_delay_alu instid0(VALU_DEP_2) | instskip(NEXT) | instid1(VALU_DEP_2)
	v_and_b32_e32 v8, 3, v8
	v_cmp_eq_u32_e32 vcc_lo, 0, v13
	v_cndmask_b32_e32 v12, v13, v12, vcc_lo
	s_delay_alu instid0(VALU_DEP_3) | instskip(NEXT) | instid1(VALU_DEP_2)
	v_dual_cndmask_b32 v8, v9, v8 :: v_dual_and_b32 v9, 0x80000000, v14
	v_lshl_add_u32 v12, v12, 23, 0x37800000
	s_delay_alu instid0(VALU_DEP_2) | instskip(NEXT) | instid1(VALU_DEP_1)
	v_lshlrev_b32_e32 v8, 21, v8
	v_or3_b32 v9, v9, v12, v8
.LBB6_8787:                             ;   in Loop: Header=BB6_8078 Depth=3
	s_or_b32 exec_lo, exec_lo, s30
	s_delay_alu instid0(VALU_DEP_1) | instskip(SKIP_1) | instid1(VALU_DEP_1)
	v_dual_mul_f32 v8, s17, v9 :: v_dual_mov_b32 v167, 0x80
	s_mov_b32 s30, exec_lo
	v_and_b32_e32 v9, 0x7f800000, v8
	s_delay_alu instid0(VALU_DEP_1)
	v_cmpx_ne_u32_e32 0x7f800000, v9
	s_cbranch_execz .LBB6_8795
; %bb.8788:                             ;   in Loop: Header=BB6_8078 Depth=3
	v_mov_b32_e32 v167, 0
	s_mov_b32 s31, exec_lo
	v_cmpx_ne_u32_e32 0, v8
	s_cbranch_execz .LBB6_8794
; %bb.8789:                             ;   in Loop: Header=BB6_8078 Depth=3
	v_bfe_u32 v9, v8, 23, 8
	s_delay_alu instid0(VALU_DEP_1) | instskip(SKIP_1) | instid1(VALU_DEP_2)
	v_sub_nc_u32_e32 v13, 0x70, v9
	v_cmp_gt_u32_e32 vcc_lo, 0x71, v9
	v_dual_cndmask_b32 v13, 0, v13 :: v_dual_and_b32 v12, 0x7fffff, v8
	s_delay_alu instid0(VALU_DEP_1) | instskip(SKIP_2) | instid1(VALU_DEP_4)
	v_or_b32_e32 v14, 0x800000, v12
	v_cmp_eq_u32_e32 vcc_lo, 0, v9
	v_add_nc_u32_e32 v9, 0xffffff91, v9
	v_cndmask_b32_e64 v13, v13, 0x6f, vcc_lo
	s_delay_alu instid0(VALU_DEP_4) | instskip(NEXT) | instid1(VALU_DEP_3)
	v_cndmask_b32_e32 v12, v14, v12, vcc_lo
	v_cndmask_b32_e64 v9, v9, 0xffffff92, vcc_lo
	s_delay_alu instid0(VALU_DEP_3) | instskip(NEXT) | instid1(VALU_DEP_3)
	v_lshl_add_u32 v14, 0x200000, v13, -1
	v_lshrrev_b32_e32 v15, v13, v12
	v_lshlrev_b32_e64 v17, v13, 0x100000
	s_delay_alu instid0(VALU_DEP_4) | instskip(NEXT) | instid1(VALU_DEP_4)
	v_add_nc_u32_e32 v13, v13, v9
	v_and_b32_e32 v12, v14, v12
	s_delay_alu instid0(VALU_DEP_4) | instskip(NEXT) | instid1(VALU_DEP_2)
	v_bfe_u32 v16, v15, 21, 1
	v_cmp_eq_u32_e64 s13, v12, v17
	s_delay_alu instid0(VALU_DEP_2) | instskip(NEXT) | instid1(VALU_DEP_1)
	v_add_nc_u32_e32 v14, -1, v16
	v_cndmask_b32_e64 v12, 0, v14, s13
	v_lshrrev_b32_e32 v14, 23, v15
	s_mov_b32 s13, exec_lo
	s_delay_alu instid0(VALU_DEP_2) | instskip(NEXT) | instid1(VALU_DEP_2)
	v_add_nc_u32_e32 v12, v12, v15
	v_xor_b32_e32 v14, 1, v14
	s_delay_alu instid0(VALU_DEP_2) | instskip(NEXT) | instid1(VALU_DEP_1)
	v_and_b32_e32 v9, 0x1fffff, v12
	v_add_nc_u32_e32 v12, v9, v15
                                        ; implicit-def: $vgpr9
	s_delay_alu instid0(VALU_DEP_3)
	v_cmpx_ne_u32_e64 v13, v14
	s_xor_b32 s13, exec_lo, s13
; %bb.8790:                             ;   in Loop: Header=BB6_8078 Depth=3
	s_delay_alu instid0(VALU_DEP_2) | instskip(SKIP_2) | instid1(VALU_DEP_2)
	v_cmp_lt_u32_e32 vcc_lo, 0xffffff, v12
	v_sub_nc_u32_e32 v9, v13, v14
	v_cndmask_b32_e64 v13, 0, 1, vcc_lo
	v_add_co_ci_u32_e32 v9, vcc_lo, 0, v9, vcc_lo
	s_delay_alu instid0(VALU_DEP_2)
	v_lshrrev_b32_e32 v12, v13, v12
; %bb.8791:                             ;   in Loop: Header=BB6_8078 Depth=3
	s_and_not1_saveexec_b32 s13, s13
; %bb.8792:                             ;   in Loop: Header=BB6_8078 Depth=3
	s_delay_alu instid0(VALU_DEP_1)
	v_bfe_u32 v9, v12, 23, 1
; %bb.8793:                             ;   in Loop: Header=BB6_8078 Depth=3
	s_or_b32 exec_lo, exec_lo, s13
	v_lshrrev_b32_e32 v12, 21, v12
	s_delay_alu instid0(VALU_DEP_2) | instskip(SKIP_2) | instid1(VALU_DEP_4)
	v_cmp_gt_i32_e32 vcc_lo, 32, v9
	v_lshrrev_b32_e32 v8, 24, v8
	v_min_i32_e32 v13, 31, v9
	v_cndmask_b32_e32 v12, 3, v12, vcc_lo
	s_delay_alu instid0(VALU_DEP_3) | instskip(NEXT) | instid1(VALU_DEP_3)
	v_and_b32_e32 v8, 0x80, v8
	v_lshlrev_b32_e32 v13, 2, v13
	s_delay_alu instid0(VALU_DEP_3) | instskip(SKIP_1) | instid1(VALU_DEP_2)
	v_and_b32_e32 v14, 3, v12
	v_or_b32_e32 v9, v9, v12
	v_or3_b32 v8, v13, v8, v14
	s_delay_alu instid0(VALU_DEP_2) | instskip(NEXT) | instid1(VALU_DEP_2)
	v_cmp_ne_u32_e32 vcc_lo, 0, v9
	v_cndmask_b32_e32 v167, 0, v8, vcc_lo
.LBB6_8794:                             ;   in Loop: Header=BB6_8078 Depth=3
	s_or_b32 exec_lo, exec_lo, s31
.LBB6_8795:                             ;   in Loop: Header=BB6_8078 Depth=3
	s_delay_alu instid0(SALU_CYCLE_1) | instskip(SKIP_3) | instid1(VALU_DEP_1)
	s_or_b32 exec_lo, exec_lo, s30
	v_lshrrev_b32_e32 v8, 24, v10
	s_mov_b32 s13, 0
	s_mov_b32 s31, exec_lo
                                        ; implicit-def: $sgpr30
	v_cmpx_lt_i16_e32 0x7f, v8
	s_xor_b32 s31, exec_lo, s31
	s_cbranch_execnz .LBB6_10113
; %bb.8796:                             ;   in Loop: Header=BB6_8078 Depth=3
	s_or_saveexec_b32 s31, s31
	v_mov_b32_e32 v9, s30
	s_xor_b32 exec_lo, exec_lo, s31
	s_cbranch_execnz .LBB6_10116
.LBB6_8797:                             ;   in Loop: Header=BB6_8078 Depth=3
	s_or_b32 exec_lo, exec_lo, s31
	s_and_saveexec_b32 s30, s13
	s_cbranch_execz .LBB6_8799
.LBB6_8798:                             ;   in Loop: Header=BB6_8078 Depth=3
	v_bfe_u32 v9, v10, 24, 2
	s_delay_alu instid0(VALU_DEP_1) | instskip(NEXT) | instid1(VALU_DEP_1)
	v_clz_i32_u32_e32 v12, v9
	v_min_u32_e32 v12, 32, v12
	s_delay_alu instid0(VALU_DEP_1) | instskip(SKIP_1) | instid1(VALU_DEP_2)
	v_subrev_nc_u32_e32 v13, 29, v12
	v_sub_nc_u32_e32 v12, 30, v12
	v_lshlrev_b32_e32 v8, v13, v8
	v_bfe_u32 v13, v10, 26, 5
	s_delay_alu instid0(VALU_DEP_2) | instskip(NEXT) | instid1(VALU_DEP_2)
	v_and_b32_e32 v8, 3, v8
	v_cmp_eq_u32_e32 vcc_lo, 0, v13
	v_cndmask_b32_e32 v12, v13, v12, vcc_lo
	s_delay_alu instid0(VALU_DEP_3) | instskip(NEXT) | instid1(VALU_DEP_2)
	v_dual_cndmask_b32 v8, v9, v8 :: v_dual_and_b32 v9, 0x80000000, v10
	v_lshl_add_u32 v10, v12, 23, 0x37800000
	s_delay_alu instid0(VALU_DEP_2) | instskip(NEXT) | instid1(VALU_DEP_1)
	v_lshlrev_b32_e32 v8, 21, v8
	v_or3_b32 v9, v9, v10, v8
.LBB6_8799:                             ;   in Loop: Header=BB6_8078 Depth=3
	s_or_b32 exec_lo, exec_lo, s30
	s_delay_alu instid0(VALU_DEP_1) | instskip(SKIP_1) | instid1(VALU_DEP_1)
	v_dual_mul_f32 v8, s17, v9 :: v_dual_mov_b32 v165, 0x80
	s_mov_b32 s30, exec_lo
	v_and_b32_e32 v9, 0x7f800000, v8
	s_delay_alu instid0(VALU_DEP_1)
	v_cmpx_ne_u32_e32 0x7f800000, v9
	s_cbranch_execz .LBB6_8807
; %bb.8800:                             ;   in Loop: Header=BB6_8078 Depth=3
	v_mov_b32_e32 v165, 0
	s_mov_b32 s31, exec_lo
	v_cmpx_ne_u32_e32 0, v8
	s_cbranch_execz .LBB6_8806
; %bb.8801:                             ;   in Loop: Header=BB6_8078 Depth=3
	v_bfe_u32 v9, v8, 23, 8
	v_and_b32_e32 v10, 0x7fffff, v8
	s_delay_alu instid0(VALU_DEP_2) | instskip(SKIP_1) | instid1(VALU_DEP_3)
	v_sub_nc_u32_e32 v12, 0x70, v9
	v_cmp_gt_u32_e32 vcc_lo, 0x71, v9
	v_or_b32_e32 v13, 0x800000, v10
	s_delay_alu instid0(VALU_DEP_3) | instskip(SKIP_2) | instid1(VALU_DEP_3)
	v_cndmask_b32_e32 v12, 0, v12, vcc_lo
	v_cmp_eq_u32_e32 vcc_lo, 0, v9
	v_add_nc_u32_e32 v9, 0xffffff91, v9
	v_cndmask_b32_e64 v12, v12, 0x6f, vcc_lo
	v_cndmask_b32_e32 v10, v13, v10, vcc_lo
	s_delay_alu instid0(VALU_DEP_3) | instskip(NEXT) | instid1(VALU_DEP_3)
	v_cndmask_b32_e64 v9, v9, 0xffffff92, vcc_lo
	v_lshl_add_u32 v13, 0x200000, v12, -1
	s_delay_alu instid0(VALU_DEP_3) | instskip(SKIP_1) | instid1(VALU_DEP_4)
	v_lshrrev_b32_e32 v14, v12, v10
	v_lshlrev_b32_e64 v16, v12, 0x100000
	v_add_nc_u32_e32 v12, v12, v9
	s_delay_alu instid0(VALU_DEP_4) | instskip(NEXT) | instid1(VALU_DEP_4)
	v_and_b32_e32 v10, v13, v10
	v_bfe_u32 v15, v14, 21, 1
	s_delay_alu instid0(VALU_DEP_2) | instskip(NEXT) | instid1(VALU_DEP_2)
	v_cmp_eq_u32_e64 s13, v10, v16
	v_add_nc_u32_e32 v13, -1, v15
	s_delay_alu instid0(VALU_DEP_1) | instskip(SKIP_2) | instid1(VALU_DEP_2)
	v_cndmask_b32_e64 v10, 0, v13, s13
	v_lshrrev_b32_e32 v13, 23, v14
	s_mov_b32 s13, exec_lo
	v_add_nc_u32_e32 v10, v10, v14
	s_delay_alu instid0(VALU_DEP_2) | instskip(NEXT) | instid1(VALU_DEP_2)
	v_xor_b32_e32 v13, 1, v13
	v_and_b32_e32 v9, 0x1fffff, v10
	s_delay_alu instid0(VALU_DEP_1) | instskip(NEXT) | instid1(VALU_DEP_3)
	v_add_nc_u32_e32 v10, v9, v14
                                        ; implicit-def: $vgpr9
	v_cmpx_ne_u32_e64 v12, v13
	s_xor_b32 s13, exec_lo, s13
; %bb.8802:                             ;   in Loop: Header=BB6_8078 Depth=3
	s_delay_alu instid0(VALU_DEP_2) | instskip(SKIP_2) | instid1(VALU_DEP_2)
	v_cmp_lt_u32_e32 vcc_lo, 0xffffff, v10
	v_sub_nc_u32_e32 v9, v12, v13
	v_cndmask_b32_e64 v12, 0, 1, vcc_lo
	v_add_co_ci_u32_e32 v9, vcc_lo, 0, v9, vcc_lo
	s_delay_alu instid0(VALU_DEP_2)
	v_lshrrev_b32_e32 v10, v12, v10
; %bb.8803:                             ;   in Loop: Header=BB6_8078 Depth=3
	s_and_not1_saveexec_b32 s13, s13
; %bb.8804:                             ;   in Loop: Header=BB6_8078 Depth=3
	s_delay_alu instid0(VALU_DEP_1)
	v_bfe_u32 v9, v10, 23, 1
; %bb.8805:                             ;   in Loop: Header=BB6_8078 Depth=3
	s_or_b32 exec_lo, exec_lo, s13
	v_lshrrev_b32_e32 v10, 21, v10
	s_delay_alu instid0(VALU_DEP_2) | instskip(SKIP_2) | instid1(VALU_DEP_4)
	v_cmp_gt_i32_e32 vcc_lo, 32, v9
	v_lshrrev_b32_e32 v8, 24, v8
	v_min_i32_e32 v12, 31, v9
	v_cndmask_b32_e32 v10, 3, v10, vcc_lo
	s_delay_alu instid0(VALU_DEP_3) | instskip(NEXT) | instid1(VALU_DEP_3)
	v_and_b32_e32 v8, 0x80, v8
	v_lshlrev_b32_e32 v12, 2, v12
	s_delay_alu instid0(VALU_DEP_3) | instskip(SKIP_1) | instid1(VALU_DEP_2)
	v_and_b32_e32 v13, 3, v10
	v_or_b32_e32 v9, v9, v10
	v_or3_b32 v8, v12, v8, v13
	s_delay_alu instid0(VALU_DEP_2) | instskip(NEXT) | instid1(VALU_DEP_2)
	v_cmp_ne_u32_e32 vcc_lo, 0, v9
	v_cndmask_b32_e32 v165, 0, v8, vcc_lo
.LBB6_8806:                             ;   in Loop: Header=BB6_8078 Depth=3
	s_or_b32 exec_lo, exec_lo, s31
.LBB6_8807:                             ;   in Loop: Header=BB6_8078 Depth=3
	s_delay_alu instid0(SALU_CYCLE_1) | instskip(SKIP_3) | instid1(VALU_DEP_1)
	s_or_b32 exec_lo, exec_lo, s30
	v_and_b32_e32 v9, 0xff, v11
	s_mov_b32 s13, 0
	s_mov_b32 s31, exec_lo
                                        ; implicit-def: $sgpr30
	v_cmpx_lt_i16_e32 0x7f, v9
	s_xor_b32 s31, exec_lo, s31
	s_cbranch_execnz .LBB6_10117
; %bb.8808:                             ;   in Loop: Header=BB6_8078 Depth=3
	s_or_saveexec_b32 s31, s31
	v_mov_b32_e32 v8, s30
	s_xor_b32 exec_lo, exec_lo, s31
	s_cbranch_execnz .LBB6_10120
.LBB6_8809:                             ;   in Loop: Header=BB6_8078 Depth=3
	s_or_b32 exec_lo, exec_lo, s31
	s_and_saveexec_b32 s30, s13
	s_cbranch_execz .LBB6_8811
.LBB6_8810:                             ;   in Loop: Header=BB6_8078 Depth=3
	v_bfe_u32 v12, v11, 2, 5
	s_delay_alu instid0(VALU_DEP_1) | instskip(SKIP_1) | instid1(VALU_DEP_1)
	v_cmp_eq_u32_e32 vcc_lo, 0, v12
	v_and_b32_e32 v8, 3, v11
	v_clz_i32_u32_e32 v9, v8
	s_delay_alu instid0(VALU_DEP_1) | instskip(NEXT) | instid1(VALU_DEP_1)
	v_min_u32_e32 v9, 32, v9
	v_subrev_nc_u32_e32 v10, 29, v9
	v_sub_nc_u32_e32 v9, 30, v9
	s_delay_alu instid0(VALU_DEP_1) | instskip(NEXT) | instid1(VALU_DEP_1)
	v_dual_cndmask_b32 v9, v12, v9 :: v_dual_lshlrev_b32 v10, v10, v11
	v_and_b32_e32 v10, 3, v10
	v_lshlrev_b32_e32 v13, 24, v11
	s_delay_alu instid0(VALU_DEP_3) | instskip(NEXT) | instid1(VALU_DEP_3)
	v_lshl_add_u32 v9, v9, 23, 0x37800000
	v_cndmask_b32_e32 v8, v8, v10, vcc_lo
	s_delay_alu instid0(VALU_DEP_3) | instskip(NEXT) | instid1(VALU_DEP_2)
	v_and_b32_e32 v10, 0x80000000, v13
	v_lshlrev_b32_e32 v8, 21, v8
	s_delay_alu instid0(VALU_DEP_1)
	v_or3_b32 v8, v10, v9, v8
.LBB6_8811:                             ;   in Loop: Header=BB6_8078 Depth=3
	s_or_b32 exec_lo, exec_lo, s30
	s_delay_alu instid0(VALU_DEP_1) | instskip(SKIP_2) | instid1(VALU_DEP_2)
	v_mul_f32_e32 v8, s17, v8
	v_mov_b32_e32 v164, 0x80
	s_mov_b32 s30, exec_lo
	v_and_b32_e32 v9, 0x7f800000, v8
	s_delay_alu instid0(VALU_DEP_1)
	v_cmpx_ne_u32_e32 0x7f800000, v9
	s_cbranch_execz .LBB6_8819
; %bb.8812:                             ;   in Loop: Header=BB6_8078 Depth=3
	v_mov_b32_e32 v164, 0
	s_mov_b32 s31, exec_lo
	v_cmpx_ne_u32_e32 0, v8
	s_cbranch_execz .LBB6_8818
; %bb.8813:                             ;   in Loop: Header=BB6_8078 Depth=3
	v_bfe_u32 v9, v8, 23, 8
	v_and_b32_e32 v10, 0x7fffff, v8
	s_delay_alu instid0(VALU_DEP_2) | instskip(SKIP_1) | instid1(VALU_DEP_3)
	v_sub_nc_u32_e32 v12, 0x70, v9
	v_cmp_gt_u32_e32 vcc_lo, 0x71, v9
	v_or_b32_e32 v13, 0x800000, v10
	s_delay_alu instid0(VALU_DEP_3) | instskip(SKIP_2) | instid1(VALU_DEP_3)
	v_cndmask_b32_e32 v12, 0, v12, vcc_lo
	v_cmp_eq_u32_e32 vcc_lo, 0, v9
	v_add_nc_u32_e32 v9, 0xffffff91, v9
	v_cndmask_b32_e64 v12, v12, 0x6f, vcc_lo
	v_cndmask_b32_e32 v10, v13, v10, vcc_lo
	s_delay_alu instid0(VALU_DEP_3) | instskip(NEXT) | instid1(VALU_DEP_3)
	v_cndmask_b32_e64 v9, v9, 0xffffff92, vcc_lo
	v_lshl_add_u32 v13, 0x200000, v12, -1
	s_delay_alu instid0(VALU_DEP_3) | instskip(SKIP_1) | instid1(VALU_DEP_4)
	v_lshrrev_b32_e32 v14, v12, v10
	v_lshlrev_b32_e64 v16, v12, 0x100000
	v_add_nc_u32_e32 v12, v12, v9
	s_delay_alu instid0(VALU_DEP_4) | instskip(NEXT) | instid1(VALU_DEP_4)
	v_and_b32_e32 v10, v13, v10
	v_bfe_u32 v15, v14, 21, 1
	s_delay_alu instid0(VALU_DEP_2) | instskip(NEXT) | instid1(VALU_DEP_2)
	v_cmp_eq_u32_e64 s13, v10, v16
	v_add_nc_u32_e32 v13, -1, v15
	s_delay_alu instid0(VALU_DEP_1) | instskip(SKIP_2) | instid1(VALU_DEP_2)
	v_cndmask_b32_e64 v10, 0, v13, s13
	v_lshrrev_b32_e32 v13, 23, v14
	s_mov_b32 s13, exec_lo
	v_add_nc_u32_e32 v10, v10, v14
	s_delay_alu instid0(VALU_DEP_2) | instskip(NEXT) | instid1(VALU_DEP_2)
	v_xor_b32_e32 v13, 1, v13
	v_and_b32_e32 v9, 0x1fffff, v10
	s_delay_alu instid0(VALU_DEP_1) | instskip(NEXT) | instid1(VALU_DEP_3)
	v_add_nc_u32_e32 v10, v9, v14
                                        ; implicit-def: $vgpr9
	v_cmpx_ne_u32_e64 v12, v13
	s_xor_b32 s13, exec_lo, s13
; %bb.8814:                             ;   in Loop: Header=BB6_8078 Depth=3
	s_delay_alu instid0(VALU_DEP_2) | instskip(SKIP_2) | instid1(VALU_DEP_2)
	v_cmp_lt_u32_e32 vcc_lo, 0xffffff, v10
	v_sub_nc_u32_e32 v9, v12, v13
	v_cndmask_b32_e64 v12, 0, 1, vcc_lo
	v_add_co_ci_u32_e32 v9, vcc_lo, 0, v9, vcc_lo
	s_delay_alu instid0(VALU_DEP_2)
	v_lshrrev_b32_e32 v10, v12, v10
; %bb.8815:                             ;   in Loop: Header=BB6_8078 Depth=3
	s_and_not1_saveexec_b32 s13, s13
; %bb.8816:                             ;   in Loop: Header=BB6_8078 Depth=3
	s_delay_alu instid0(VALU_DEP_1)
	v_bfe_u32 v9, v10, 23, 1
; %bb.8817:                             ;   in Loop: Header=BB6_8078 Depth=3
	s_or_b32 exec_lo, exec_lo, s13
	v_lshrrev_b32_e32 v10, 21, v10
	s_delay_alu instid0(VALU_DEP_2) | instskip(SKIP_2) | instid1(VALU_DEP_4)
	v_cmp_gt_i32_e32 vcc_lo, 32, v9
	v_min_i32_e32 v12, 31, v9
	v_lshrrev_b32_e32 v8, 24, v8
	v_cndmask_b32_e32 v10, 3, v10, vcc_lo
	s_delay_alu instid0(VALU_DEP_3) | instskip(NEXT) | instid1(VALU_DEP_3)
	v_lshlrev_b32_e32 v12, 2, v12
	v_and_b32_e32 v8, 0x80, v8
	s_delay_alu instid0(VALU_DEP_3) | instskip(NEXT) | instid1(VALU_DEP_3)
	v_or_b32_e32 v9, v9, v10
	v_and_b32_e32 v12, 0xfc, v12
	s_delay_alu instid0(VALU_DEP_2) | instskip(SKIP_1) | instid1(VALU_DEP_1)
	v_cmp_ne_u32_e32 vcc_lo, 0, v9
	v_and_b32_e32 v13, 3, v10
	v_or3_b32 v8, v12, v8, v13
	s_delay_alu instid0(VALU_DEP_1)
	v_cndmask_b32_e32 v164, 0, v8, vcc_lo
.LBB6_8818:                             ;   in Loop: Header=BB6_8078 Depth=3
	s_or_b32 exec_lo, exec_lo, s31
.LBB6_8819:                             ;   in Loop: Header=BB6_8078 Depth=3
	s_delay_alu instid0(SALU_CYCLE_1) | instskip(SKIP_3) | instid1(VALU_DEP_1)
	s_or_b32 exec_lo, exec_lo, s30
	v_lshrrev_b16 v8, 8, v11
	s_mov_b32 s13, 0
	s_mov_b32 s31, exec_lo
                                        ; implicit-def: $sgpr30
	v_cmpx_lt_i16_e32 0x7f, v8
	s_xor_b32 s31, exec_lo, s31
	s_cbranch_execnz .LBB6_10121
; %bb.8820:                             ;   in Loop: Header=BB6_8078 Depth=3
	s_or_saveexec_b32 s31, s31
	v_mov_b32_e32 v9, s30
	s_xor_b32 exec_lo, exec_lo, s31
	s_cbranch_execnz .LBB6_10124
.LBB6_8821:                             ;   in Loop: Header=BB6_8078 Depth=3
	s_or_b32 exec_lo, exec_lo, s31
	s_and_saveexec_b32 s30, s13
	s_cbranch_execz .LBB6_8823
.LBB6_8822:                             ;   in Loop: Header=BB6_8078 Depth=3
	v_and_b32_e32 v9, 0xffff, v8
	v_lshlrev_b32_e32 v8, 24, v8
	s_delay_alu instid0(VALU_DEP_2) | instskip(NEXT) | instid1(VALU_DEP_2)
	v_and_b32_e32 v10, 3, v9
	v_and_b32_e32 v8, 0x80000000, v8
	s_delay_alu instid0(VALU_DEP_2) | instskip(NEXT) | instid1(VALU_DEP_1)
	v_clz_i32_u32_e32 v12, v10
	v_min_u32_e32 v12, 32, v12
	s_delay_alu instid0(VALU_DEP_1) | instskip(SKIP_1) | instid1(VALU_DEP_2)
	v_subrev_nc_u32_e32 v13, 29, v12
	v_sub_nc_u32_e32 v12, 30, v12
	v_lshlrev_b32_e32 v13, v13, v9
	v_bfe_u32 v9, v9, 2, 5
	s_delay_alu instid0(VALU_DEP_2) | instskip(NEXT) | instid1(VALU_DEP_2)
	v_and_b32_e32 v13, 3, v13
	v_cmp_eq_u32_e32 vcc_lo, 0, v9
	s_delay_alu instid0(VALU_DEP_2) | instskip(NEXT) | instid1(VALU_DEP_1)
	v_dual_cndmask_b32 v9, v9, v12 :: v_dual_cndmask_b32 v10, v10, v13
	v_lshl_add_u32 v9, v9, 23, 0x37800000
	s_delay_alu instid0(VALU_DEP_2) | instskip(NEXT) | instid1(VALU_DEP_1)
	v_lshlrev_b32_e32 v10, 21, v10
	v_or3_b32 v9, v8, v9, v10
.LBB6_8823:                             ;   in Loop: Header=BB6_8078 Depth=3
	s_or_b32 exec_lo, exec_lo, s30
	s_delay_alu instid0(VALU_DEP_1) | instskip(SKIP_1) | instid1(VALU_DEP_1)
	v_dual_mul_f32 v8, s17, v9 :: v_dual_mov_b32 v177, 0x8000
	s_mov_b32 s30, exec_lo
	v_and_b32_e32 v9, 0x7f800000, v8
	s_delay_alu instid0(VALU_DEP_1)
	v_cmpx_ne_u32_e32 0x7f800000, v9
	s_cbranch_execz .LBB6_8831
; %bb.8824:                             ;   in Loop: Header=BB6_8078 Depth=3
	v_mov_b32_e32 v177, 0
	s_mov_b32 s31, exec_lo
	v_cmpx_ne_u32_e32 0, v8
	s_cbranch_execz .LBB6_8830
; %bb.8825:                             ;   in Loop: Header=BB6_8078 Depth=3
	v_bfe_u32 v9, v8, 23, 8
	v_and_b32_e32 v10, 0x7fffff, v8
	s_delay_alu instid0(VALU_DEP_2) | instskip(SKIP_1) | instid1(VALU_DEP_3)
	v_sub_nc_u32_e32 v12, 0x70, v9
	v_cmp_gt_u32_e32 vcc_lo, 0x71, v9
	v_or_b32_e32 v13, 0x800000, v10
	s_delay_alu instid0(VALU_DEP_3) | instskip(SKIP_2) | instid1(VALU_DEP_3)
	v_cndmask_b32_e32 v12, 0, v12, vcc_lo
	v_cmp_eq_u32_e32 vcc_lo, 0, v9
	v_add_nc_u32_e32 v9, 0xffffff91, v9
	v_cndmask_b32_e64 v12, v12, 0x6f, vcc_lo
	v_cndmask_b32_e32 v10, v13, v10, vcc_lo
	s_delay_alu instid0(VALU_DEP_3) | instskip(NEXT) | instid1(VALU_DEP_3)
	v_cndmask_b32_e64 v9, v9, 0xffffff92, vcc_lo
	v_lshl_add_u32 v13, 0x200000, v12, -1
	s_delay_alu instid0(VALU_DEP_3) | instskip(SKIP_1) | instid1(VALU_DEP_4)
	v_lshrrev_b32_e32 v14, v12, v10
	v_lshlrev_b32_e64 v16, v12, 0x100000
	v_add_nc_u32_e32 v12, v12, v9
	s_delay_alu instid0(VALU_DEP_4) | instskip(NEXT) | instid1(VALU_DEP_4)
	v_and_b32_e32 v10, v13, v10
	v_bfe_u32 v15, v14, 21, 1
	s_delay_alu instid0(VALU_DEP_2) | instskip(NEXT) | instid1(VALU_DEP_2)
	v_cmp_eq_u32_e64 s13, v10, v16
	v_add_nc_u32_e32 v13, -1, v15
	s_delay_alu instid0(VALU_DEP_1) | instskip(SKIP_2) | instid1(VALU_DEP_2)
	v_cndmask_b32_e64 v10, 0, v13, s13
	v_lshrrev_b32_e32 v13, 23, v14
	s_mov_b32 s13, exec_lo
	v_add_nc_u32_e32 v10, v10, v14
	s_delay_alu instid0(VALU_DEP_2) | instskip(NEXT) | instid1(VALU_DEP_2)
	v_xor_b32_e32 v13, 1, v13
	v_and_b32_e32 v9, 0x1fffff, v10
	s_delay_alu instid0(VALU_DEP_1) | instskip(NEXT) | instid1(VALU_DEP_3)
	v_add_nc_u32_e32 v10, v9, v14
                                        ; implicit-def: $vgpr9
	v_cmpx_ne_u32_e64 v12, v13
	s_xor_b32 s13, exec_lo, s13
; %bb.8826:                             ;   in Loop: Header=BB6_8078 Depth=3
	s_delay_alu instid0(VALU_DEP_2) | instskip(SKIP_2) | instid1(VALU_DEP_2)
	v_cmp_lt_u32_e32 vcc_lo, 0xffffff, v10
	v_sub_nc_u32_e32 v9, v12, v13
	v_cndmask_b32_e64 v12, 0, 1, vcc_lo
	v_add_co_ci_u32_e32 v9, vcc_lo, 0, v9, vcc_lo
	s_delay_alu instid0(VALU_DEP_2)
	v_lshrrev_b32_e32 v10, v12, v10
; %bb.8827:                             ;   in Loop: Header=BB6_8078 Depth=3
	s_and_not1_saveexec_b32 s13, s13
; %bb.8828:                             ;   in Loop: Header=BB6_8078 Depth=3
	s_delay_alu instid0(VALU_DEP_1)
	v_bfe_u32 v9, v10, 23, 1
; %bb.8829:                             ;   in Loop: Header=BB6_8078 Depth=3
	s_or_b32 exec_lo, exec_lo, s13
	v_lshrrev_b32_e32 v10, 21, v10
	s_delay_alu instid0(VALU_DEP_2) | instskip(SKIP_2) | instid1(VALU_DEP_3)
	v_min_i32_e32 v12, 31, v9
	v_cmp_gt_i32_e32 vcc_lo, 32, v9
	v_lshrrev_b32_e32 v8, 24, v8
	v_lshlrev_b32_e32 v12, 2, v12
	v_cndmask_b32_e32 v10, 3, v10, vcc_lo
	s_delay_alu instid0(VALU_DEP_3) | instskip(NEXT) | instid1(VALU_DEP_3)
	v_and_b32_e32 v8, 0x80, v8
	v_and_b32_e32 v12, 0xfc, v12
	s_delay_alu instid0(VALU_DEP_3) | instskip(SKIP_1) | instid1(VALU_DEP_2)
	v_and_b32_e32 v13, 3, v10
	v_or_b32_e32 v9, v9, v10
	v_or3_b32 v8, v8, v12, v13
	s_delay_alu instid0(VALU_DEP_2) | instskip(NEXT) | instid1(VALU_DEP_2)
	v_cmp_ne_u32_e32 vcc_lo, 0, v9
	v_lshlrev_b32_e32 v8, 8, v8
	s_delay_alu instid0(VALU_DEP_1)
	v_cndmask_b32_e32 v177, 0, v8, vcc_lo
.LBB6_8830:                             ;   in Loop: Header=BB6_8078 Depth=3
	s_or_b32 exec_lo, exec_lo, s31
.LBB6_8831:                             ;   in Loop: Header=BB6_8078 Depth=3
	s_delay_alu instid0(SALU_CYCLE_1) | instskip(SKIP_3) | instid1(VALU_DEP_1)
	s_or_b32 exec_lo, exec_lo, s30
	v_lshrrev_b32_e32 v8, 16, v11
	s_mov_b32 s13, 0
	s_mov_b32 s31, exec_lo
                                        ; implicit-def: $sgpr30
	v_and_b32_e32 v10, 0xff, v8
	s_delay_alu instid0(VALU_DEP_1)
	v_cmpx_lt_i16_e32 0x7f, v10
	s_xor_b32 s31, exec_lo, s31
	s_cbranch_execnz .LBB6_10125
; %bb.8832:                             ;   in Loop: Header=BB6_8078 Depth=3
	s_or_saveexec_b32 s31, s31
	v_mov_b32_e32 v9, s30
	s_xor_b32 exec_lo, exec_lo, s31
	s_cbranch_execnz .LBB6_10128
.LBB6_8833:                             ;   in Loop: Header=BB6_8078 Depth=3
	s_or_b32 exec_lo, exec_lo, s31
	s_and_saveexec_b32 s30, s13
	s_cbranch_execz .LBB6_8835
.LBB6_8834:                             ;   in Loop: Header=BB6_8078 Depth=3
	v_bfe_u32 v9, v11, 16, 2
	s_delay_alu instid0(VALU_DEP_1) | instskip(NEXT) | instid1(VALU_DEP_1)
	v_clz_i32_u32_e32 v10, v9
	v_min_u32_e32 v10, 32, v10
	s_delay_alu instid0(VALU_DEP_1) | instskip(SKIP_1) | instid1(VALU_DEP_2)
	v_subrev_nc_u32_e32 v12, 29, v10
	v_sub_nc_u32_e32 v10, 30, v10
	v_lshlrev_b32_e32 v8, v12, v8
	v_bfe_u32 v12, v11, 18, 5
	s_delay_alu instid0(VALU_DEP_2) | instskip(NEXT) | instid1(VALU_DEP_2)
	v_and_b32_e32 v8, 3, v8
	v_cmp_eq_u32_e32 vcc_lo, 0, v12
	v_dual_cndmask_b32 v10, v12, v10 :: v_dual_lshlrev_b32 v13, 8, v11
	s_delay_alu instid0(VALU_DEP_1) | instskip(NEXT) | instid1(VALU_DEP_2)
	v_dual_cndmask_b32 v8, v9, v8 :: v_dual_and_b32 v9, 0x80000000, v13
	v_lshl_add_u32 v10, v10, 23, 0x37800000
	s_delay_alu instid0(VALU_DEP_2) | instskip(NEXT) | instid1(VALU_DEP_1)
	v_lshlrev_b32_e32 v8, 21, v8
	v_or3_b32 v9, v9, v10, v8
.LBB6_8835:                             ;   in Loop: Header=BB6_8078 Depth=3
	s_or_b32 exec_lo, exec_lo, s30
	s_delay_alu instid0(VALU_DEP_1) | instskip(SKIP_2) | instid1(VALU_DEP_2)
	v_mul_f32_e32 v8, s17, v9
	v_mov_b32_e32 v162, 0x80
	s_mov_b32 s30, exec_lo
	v_and_b32_e32 v9, 0x7f800000, v8
	s_delay_alu instid0(VALU_DEP_1)
	v_cmpx_ne_u32_e32 0x7f800000, v9
	s_cbranch_execz .LBB6_8843
; %bb.8836:                             ;   in Loop: Header=BB6_8078 Depth=3
	v_mov_b32_e32 v162, 0
	s_mov_b32 s31, exec_lo
	v_cmpx_ne_u32_e32 0, v8
	s_cbranch_execz .LBB6_8842
; %bb.8837:                             ;   in Loop: Header=BB6_8078 Depth=3
	v_bfe_u32 v9, v8, 23, 8
	v_and_b32_e32 v10, 0x7fffff, v8
	s_delay_alu instid0(VALU_DEP_2) | instskip(SKIP_1) | instid1(VALU_DEP_3)
	v_sub_nc_u32_e32 v12, 0x70, v9
	v_cmp_gt_u32_e32 vcc_lo, 0x71, v9
	v_or_b32_e32 v13, 0x800000, v10
	s_delay_alu instid0(VALU_DEP_3) | instskip(SKIP_2) | instid1(VALU_DEP_3)
	v_cndmask_b32_e32 v12, 0, v12, vcc_lo
	v_cmp_eq_u32_e32 vcc_lo, 0, v9
	v_add_nc_u32_e32 v9, 0xffffff91, v9
	v_cndmask_b32_e64 v12, v12, 0x6f, vcc_lo
	v_cndmask_b32_e32 v10, v13, v10, vcc_lo
	s_delay_alu instid0(VALU_DEP_3) | instskip(NEXT) | instid1(VALU_DEP_3)
	v_cndmask_b32_e64 v9, v9, 0xffffff92, vcc_lo
	v_lshl_add_u32 v13, 0x200000, v12, -1
	s_delay_alu instid0(VALU_DEP_3) | instskip(SKIP_1) | instid1(VALU_DEP_4)
	v_lshrrev_b32_e32 v14, v12, v10
	v_lshlrev_b32_e64 v16, v12, 0x100000
	v_add_nc_u32_e32 v12, v12, v9
	s_delay_alu instid0(VALU_DEP_4) | instskip(NEXT) | instid1(VALU_DEP_4)
	v_and_b32_e32 v10, v13, v10
	v_bfe_u32 v15, v14, 21, 1
	s_delay_alu instid0(VALU_DEP_2) | instskip(NEXT) | instid1(VALU_DEP_2)
	v_cmp_eq_u32_e64 s13, v10, v16
	v_add_nc_u32_e32 v13, -1, v15
	s_delay_alu instid0(VALU_DEP_1) | instskip(SKIP_2) | instid1(VALU_DEP_2)
	v_cndmask_b32_e64 v10, 0, v13, s13
	v_lshrrev_b32_e32 v13, 23, v14
	s_mov_b32 s13, exec_lo
	v_add_nc_u32_e32 v10, v10, v14
	s_delay_alu instid0(VALU_DEP_2) | instskip(NEXT) | instid1(VALU_DEP_2)
	v_xor_b32_e32 v13, 1, v13
	v_and_b32_e32 v9, 0x1fffff, v10
	s_delay_alu instid0(VALU_DEP_1) | instskip(NEXT) | instid1(VALU_DEP_3)
	v_add_nc_u32_e32 v10, v9, v14
                                        ; implicit-def: $vgpr9
	v_cmpx_ne_u32_e64 v12, v13
	s_xor_b32 s13, exec_lo, s13
; %bb.8838:                             ;   in Loop: Header=BB6_8078 Depth=3
	s_delay_alu instid0(VALU_DEP_2) | instskip(SKIP_2) | instid1(VALU_DEP_2)
	v_cmp_lt_u32_e32 vcc_lo, 0xffffff, v10
	v_sub_nc_u32_e32 v9, v12, v13
	v_cndmask_b32_e64 v12, 0, 1, vcc_lo
	v_add_co_ci_u32_e32 v9, vcc_lo, 0, v9, vcc_lo
	s_delay_alu instid0(VALU_DEP_2)
	v_lshrrev_b32_e32 v10, v12, v10
; %bb.8839:                             ;   in Loop: Header=BB6_8078 Depth=3
	s_and_not1_saveexec_b32 s13, s13
; %bb.8840:                             ;   in Loop: Header=BB6_8078 Depth=3
	s_delay_alu instid0(VALU_DEP_1)
	v_bfe_u32 v9, v10, 23, 1
; %bb.8841:                             ;   in Loop: Header=BB6_8078 Depth=3
	s_or_b32 exec_lo, exec_lo, s13
	v_lshrrev_b32_e32 v10, 21, v10
	s_delay_alu instid0(VALU_DEP_2) | instskip(SKIP_2) | instid1(VALU_DEP_4)
	v_cmp_gt_i32_e32 vcc_lo, 32, v9
	v_min_i32_e32 v12, 31, v9
	v_lshrrev_b32_e32 v8, 24, v8
	v_cndmask_b32_e32 v10, 3, v10, vcc_lo
	s_delay_alu instid0(VALU_DEP_3) | instskip(NEXT) | instid1(VALU_DEP_3)
	v_lshlrev_b32_e32 v12, 2, v12
	v_and_b32_e32 v8, 0x80, v8
	s_delay_alu instid0(VALU_DEP_3) | instskip(NEXT) | instid1(VALU_DEP_3)
	v_or_b32_e32 v9, v9, v10
	v_and_b32_e32 v12, 0xfc, v12
	s_delay_alu instid0(VALU_DEP_2) | instskip(SKIP_1) | instid1(VALU_DEP_1)
	v_cmp_ne_u32_e32 vcc_lo, 0, v9
	v_and_b32_e32 v13, 3, v10
	v_or3_b32 v8, v12, v8, v13
	s_delay_alu instid0(VALU_DEP_1)
	v_cndmask_b32_e32 v162, 0, v8, vcc_lo
.LBB6_8842:                             ;   in Loop: Header=BB6_8078 Depth=3
	s_or_b32 exec_lo, exec_lo, s31
.LBB6_8843:                             ;   in Loop: Header=BB6_8078 Depth=3
	s_delay_alu instid0(SALU_CYCLE_1) | instskip(SKIP_3) | instid1(VALU_DEP_1)
	s_or_b32 exec_lo, exec_lo, s30
	v_lshrrev_b32_e32 v8, 24, v11
	s_mov_b32 s13, 0
	s_mov_b32 s31, exec_lo
                                        ; implicit-def: $sgpr30
	v_cmpx_lt_i16_e32 0x7f, v8
	s_xor_b32 s31, exec_lo, s31
	s_cbranch_execnz .LBB6_10129
; %bb.8844:                             ;   in Loop: Header=BB6_8078 Depth=3
	s_or_saveexec_b32 s31, s31
	v_mov_b32_e32 v9, s30
	s_xor_b32 exec_lo, exec_lo, s31
	s_cbranch_execnz .LBB6_10132
.LBB6_8845:                             ;   in Loop: Header=BB6_8078 Depth=3
	s_or_b32 exec_lo, exec_lo, s31
	s_and_saveexec_b32 s30, s13
	s_cbranch_execz .LBB6_8847
.LBB6_8846:                             ;   in Loop: Header=BB6_8078 Depth=3
	v_bfe_u32 v9, v11, 24, 2
	s_delay_alu instid0(VALU_DEP_1) | instskip(NEXT) | instid1(VALU_DEP_1)
	v_clz_i32_u32_e32 v10, v9
	v_min_u32_e32 v10, 32, v10
	s_delay_alu instid0(VALU_DEP_1) | instskip(SKIP_1) | instid1(VALU_DEP_2)
	v_subrev_nc_u32_e32 v12, 29, v10
	v_sub_nc_u32_e32 v10, 30, v10
	v_lshlrev_b32_e32 v8, v12, v8
	v_bfe_u32 v12, v11, 26, 5
	s_delay_alu instid0(VALU_DEP_2) | instskip(NEXT) | instid1(VALU_DEP_2)
	v_and_b32_e32 v8, 3, v8
	v_cmp_eq_u32_e32 vcc_lo, 0, v12
	v_cndmask_b32_e32 v10, v12, v10, vcc_lo
	s_delay_alu instid0(VALU_DEP_3) | instskip(NEXT) | instid1(VALU_DEP_2)
	v_dual_cndmask_b32 v8, v9, v8 :: v_dual_and_b32 v9, 0x80000000, v11
	v_lshl_add_u32 v10, v10, 23, 0x37800000
	s_delay_alu instid0(VALU_DEP_2) | instskip(NEXT) | instid1(VALU_DEP_1)
	v_lshlrev_b32_e32 v8, 21, v8
	v_or3_b32 v9, v9, v10, v8
.LBB6_8847:                             ;   in Loop: Header=BB6_8078 Depth=3
	s_or_b32 exec_lo, exec_lo, s30
	s_delay_alu instid0(VALU_DEP_1) | instskip(SKIP_2) | instid1(VALU_DEP_2)
	v_mul_f32_e32 v8, s17, v9
	v_mov_b32_e32 v166, 0x8000
	s_mov_b32 s17, exec_lo
	v_and_b32_e32 v9, 0x7f800000, v8
	s_delay_alu instid0(VALU_DEP_1)
	v_cmpx_ne_u32_e32 0x7f800000, v9
	s_cbranch_execz .LBB6_8855
; %bb.8848:                             ;   in Loop: Header=BB6_8078 Depth=3
	v_mov_b32_e32 v166, 0
	s_mov_b32 s30, exec_lo
	v_cmpx_ne_u32_e32 0, v8
	s_cbranch_execz .LBB6_8854
; %bb.8849:                             ;   in Loop: Header=BB6_8078 Depth=3
	v_bfe_u32 v9, v8, 23, 8
	s_delay_alu instid0(VALU_DEP_1) | instskip(SKIP_1) | instid1(VALU_DEP_2)
	v_sub_nc_u32_e32 v11, 0x70, v9
	v_cmp_gt_u32_e32 vcc_lo, 0x71, v9
	v_dual_cndmask_b32 v11, 0, v11 :: v_dual_and_b32 v10, 0x7fffff, v8
	s_delay_alu instid0(VALU_DEP_1) | instskip(SKIP_2) | instid1(VALU_DEP_4)
	v_or_b32_e32 v12, 0x800000, v10
	v_cmp_eq_u32_e32 vcc_lo, 0, v9
	v_add_nc_u32_e32 v9, 0xffffff91, v9
	v_cndmask_b32_e64 v11, v11, 0x6f, vcc_lo
	s_delay_alu instid0(VALU_DEP_4) | instskip(NEXT) | instid1(VALU_DEP_3)
	v_cndmask_b32_e32 v10, v12, v10, vcc_lo
	v_cndmask_b32_e64 v9, v9, 0xffffff92, vcc_lo
	s_delay_alu instid0(VALU_DEP_3) | instskip(NEXT) | instid1(VALU_DEP_3)
	v_lshl_add_u32 v12, 0x200000, v11, -1
	v_lshrrev_b32_e32 v13, v11, v10
	v_lshlrev_b32_e64 v15, v11, 0x100000
	s_delay_alu instid0(VALU_DEP_4) | instskip(NEXT) | instid1(VALU_DEP_4)
	v_add_nc_u32_e32 v11, v11, v9
	v_and_b32_e32 v10, v12, v10
	s_delay_alu instid0(VALU_DEP_4) | instskip(NEXT) | instid1(VALU_DEP_2)
	v_bfe_u32 v14, v13, 21, 1
	v_cmp_eq_u32_e64 s13, v10, v15
	s_delay_alu instid0(VALU_DEP_2) | instskip(NEXT) | instid1(VALU_DEP_1)
	v_add_nc_u32_e32 v12, -1, v14
	v_cndmask_b32_e64 v10, 0, v12, s13
	v_lshrrev_b32_e32 v12, 23, v13
	s_mov_b32 s13, exec_lo
	s_delay_alu instid0(VALU_DEP_2) | instskip(NEXT) | instid1(VALU_DEP_2)
	v_add_nc_u32_e32 v10, v10, v13
	v_xor_b32_e32 v12, 1, v12
	s_delay_alu instid0(VALU_DEP_2) | instskip(NEXT) | instid1(VALU_DEP_1)
	v_and_b32_e32 v9, 0x1fffff, v10
	v_add_nc_u32_e32 v10, v9, v13
                                        ; implicit-def: $vgpr9
	s_delay_alu instid0(VALU_DEP_3)
	v_cmpx_ne_u32_e64 v11, v12
	s_xor_b32 s13, exec_lo, s13
; %bb.8850:                             ;   in Loop: Header=BB6_8078 Depth=3
	s_delay_alu instid0(VALU_DEP_2) | instskip(SKIP_2) | instid1(VALU_DEP_2)
	v_cmp_lt_u32_e32 vcc_lo, 0xffffff, v10
	v_sub_nc_u32_e32 v9, v11, v12
	v_cndmask_b32_e64 v11, 0, 1, vcc_lo
	v_add_co_ci_u32_e32 v9, vcc_lo, 0, v9, vcc_lo
	s_delay_alu instid0(VALU_DEP_2)
	v_lshrrev_b32_e32 v10, v11, v10
; %bb.8851:                             ;   in Loop: Header=BB6_8078 Depth=3
	s_and_not1_saveexec_b32 s13, s13
; %bb.8852:                             ;   in Loop: Header=BB6_8078 Depth=3
	s_delay_alu instid0(VALU_DEP_1)
	v_bfe_u32 v9, v10, 23, 1
; %bb.8853:                             ;   in Loop: Header=BB6_8078 Depth=3
	s_or_b32 exec_lo, exec_lo, s13
	v_lshrrev_b32_e32 v10, 21, v10
	s_delay_alu instid0(VALU_DEP_2) | instskip(SKIP_2) | instid1(VALU_DEP_2)
	v_cmp_gt_i32_e32 vcc_lo, 32, v9
	v_min_i32_e32 v11, 31, v9
	v_lshrrev_b32_e32 v8, 24, v8
	v_dual_cndmask_b32 v10, 3, v10 :: v_dual_lshlrev_b32 v11, 2, v11
	s_delay_alu instid0(VALU_DEP_2) | instskip(NEXT) | instid1(VALU_DEP_2)
	v_and_b32_e32 v8, 0x80, v8
	v_or_b32_e32 v9, v9, v10
	v_and_b32_e32 v12, 3, v10
	s_delay_alu instid0(VALU_DEP_2) | instskip(SKIP_1) | instid1(VALU_DEP_1)
	v_cmp_ne_u32_e32 vcc_lo, 0, v9
	v_and_b32_e32 v11, 0xfc, v11
	v_or3_b32 v8, v8, v11, v12
	s_delay_alu instid0(VALU_DEP_1) | instskip(NEXT) | instid1(VALU_DEP_1)
	v_lshlrev_b32_e32 v8, 8, v8
	v_cndmask_b32_e32 v166, 0, v8, vcc_lo
.LBB6_8854:                             ;   in Loop: Header=BB6_8078 Depth=3
	s_or_b32 exec_lo, exec_lo, s30
.LBB6_8855:                             ;   in Loop: Header=BB6_8078 Depth=3
	s_delay_alu instid0(SALU_CYCLE_1)
	s_or_b32 exec_lo, exec_lo, s17
	s_clause 0x3
	global_load_b128 v[20:23], v[80:81], off slc dlc
	global_load_b128 v[16:19], v[80:81], off offset:512 slc dlc
	global_load_b128 v[12:15], v[80:81], off offset:1024 slc dlc
	;; [unrolled: 1-line block ×3, first 2 shown]
	v_and_b32_e32 v27, 0xff, v161
	s_mov_b32 s13, 0
	s_mov_b32 s30, exec_lo
                                        ; implicit-def: $sgpr17
	s_delay_alu instid0(VALU_DEP_1)
	v_cmpx_lt_i16_e32 0x7f, v27
	s_xor_b32 s30, exec_lo, s30
	s_cbranch_execnz .LBB6_10133
; %bb.8856:                             ;   in Loop: Header=BB6_8078 Depth=3
	s_or_saveexec_b32 s30, s30
	v_mov_b32_e32 v26, s17
	s_xor_b32 exec_lo, exec_lo, s30
	s_cbranch_execnz .LBB6_10136
.LBB6_8857:                             ;   in Loop: Header=BB6_8078 Depth=3
	s_or_b32 exec_lo, exec_lo, s30
	s_and_saveexec_b32 s17, s13
	s_cbranch_execz .LBB6_8859
.LBB6_8858:                             ;   in Loop: Header=BB6_8078 Depth=3
	v_bfe_u32 v37, v161, 2, 5
	v_lshlrev_b32_e32 v38, 24, v161
	s_delay_alu instid0(VALU_DEP_2) | instskip(SKIP_1) | instid1(VALU_DEP_1)
	v_cmp_eq_u32_e32 vcc_lo, 0, v37
	v_and_b32_e32 v26, 3, v161
	v_clz_i32_u32_e32 v27, v26
	s_delay_alu instid0(VALU_DEP_1) | instskip(NEXT) | instid1(VALU_DEP_1)
	v_min_u32_e32 v27, 32, v27
	v_subrev_nc_u32_e32 v36, 29, v27
	v_sub_nc_u32_e32 v27, 30, v27
	s_delay_alu instid0(VALU_DEP_1) | instskip(NEXT) | instid1(VALU_DEP_1)
	v_dual_cndmask_b32 v27, v37, v27 :: v_dual_lshlrev_b32 v36, v36, v161
	v_and_b32_e32 v36, 3, v36
	s_delay_alu instid0(VALU_DEP_2) | instskip(NEXT) | instid1(VALU_DEP_2)
	v_lshl_add_u32 v27, v27, 23, 0x37800000
	v_cndmask_b32_e32 v26, v26, v36, vcc_lo
	v_and_b32_e32 v36, 0x80000000, v38
	s_delay_alu instid0(VALU_DEP_2) | instskip(NEXT) | instid1(VALU_DEP_1)
	v_lshlrev_b32_e32 v26, 21, v26
	v_or3_b32 v26, v36, v27, v26
.LBB6_8859:                             ;   in Loop: Header=BB6_8078 Depth=3
	s_or_b32 exec_lo, exec_lo, s17
	s_waitcnt vmcnt(3)
	v_and_b32_e32 v36, 0xff, v20
	s_mov_b32 s13, 0
	s_mov_b32 s30, exec_lo
                                        ; implicit-def: $sgpr17
	s_delay_alu instid0(VALU_DEP_1)
	v_cmpx_lt_i16_e32 0x7f, v36
	s_xor_b32 s30, exec_lo, s30
	s_cbranch_execnz .LBB6_10137
; %bb.8860:                             ;   in Loop: Header=BB6_8078 Depth=3
	s_or_saveexec_b32 s30, s30
	v_mov_b32_e32 v27, s17
	s_xor_b32 exec_lo, exec_lo, s30
	s_cbranch_execnz .LBB6_10140
.LBB6_8861:                             ;   in Loop: Header=BB6_8078 Depth=3
	s_or_b32 exec_lo, exec_lo, s30
	s_and_saveexec_b32 s17, s13
	s_cbranch_execz .LBB6_8863
.LBB6_8862:                             ;   in Loop: Header=BB6_8078 Depth=3
	v_and_b32_e32 v27, 3, v20
	v_bfe_u32 v38, v20, 2, 5
	v_lshlrev_b32_e32 v39, 24, v20
	s_delay_alu instid0(VALU_DEP_3) | instskip(NEXT) | instid1(VALU_DEP_3)
	v_clz_i32_u32_e32 v36, v27
	v_cmp_eq_u32_e32 vcc_lo, 0, v38
	s_delay_alu instid0(VALU_DEP_2) | instskip(NEXT) | instid1(VALU_DEP_1)
	v_min_u32_e32 v36, 32, v36
	v_subrev_nc_u32_e32 v37, 29, v36
	v_sub_nc_u32_e32 v36, 30, v36
	s_delay_alu instid0(VALU_DEP_2) | instskip(NEXT) | instid1(VALU_DEP_1)
	v_lshlrev_b32_e32 v37, v37, v20
	v_dual_cndmask_b32 v36, v38, v36 :: v_dual_and_b32 v37, 3, v37
	s_delay_alu instid0(VALU_DEP_1) | instskip(NEXT) | instid1(VALU_DEP_2)
	v_lshl_add_u32 v36, v36, 23, 0x37800000
	v_cndmask_b32_e32 v27, v27, v37, vcc_lo
	v_and_b32_e32 v37, 0x80000000, v39
	s_delay_alu instid0(VALU_DEP_2) | instskip(NEXT) | instid1(VALU_DEP_1)
	v_lshlrev_b32_e32 v27, 21, v27
	v_or3_b32 v27, v37, v36, v27
.LBB6_8863:                             ;   in Loop: Header=BB6_8078 Depth=3
	s_or_b32 exec_lo, exec_lo, s17
	s_delay_alu instid0(VALU_DEP_1) | instskip(SKIP_1) | instid1(VALU_DEP_1)
	v_dual_add_f32 v26, v26, v27 :: v_dual_mov_b32 v161, 0x80
	s_mov_b32 s17, exec_lo
	v_and_b32_e32 v27, 0x7f800000, v26
	s_delay_alu instid0(VALU_DEP_1)
	v_cmpx_ne_u32_e32 0x7f800000, v27
	s_cbranch_execz .LBB6_8871
; %bb.8864:                             ;   in Loop: Header=BB6_8078 Depth=3
	v_mov_b32_e32 v161, 0
	s_mov_b32 s30, exec_lo
	v_cmpx_ne_u32_e32 0, v26
	s_cbranch_execz .LBB6_8870
; %bb.8865:                             ;   in Loop: Header=BB6_8078 Depth=3
	v_bfe_u32 v27, v26, 23, 8
	s_delay_alu instid0(VALU_DEP_1) | instskip(SKIP_1) | instid1(VALU_DEP_2)
	v_sub_nc_u32_e32 v37, 0x70, v27
	v_cmp_gt_u32_e32 vcc_lo, 0x71, v27
	v_dual_cndmask_b32 v37, 0, v37 :: v_dual_and_b32 v36, 0x7fffff, v26
	s_delay_alu instid0(VALU_DEP_1) | instskip(SKIP_2) | instid1(VALU_DEP_4)
	v_or_b32_e32 v38, 0x800000, v36
	v_cmp_eq_u32_e32 vcc_lo, 0, v27
	v_add_nc_u32_e32 v27, 0xffffff91, v27
	v_cndmask_b32_e64 v37, v37, 0x6f, vcc_lo
	s_delay_alu instid0(VALU_DEP_4) | instskip(NEXT) | instid1(VALU_DEP_3)
	v_cndmask_b32_e32 v36, v38, v36, vcc_lo
	v_cndmask_b32_e64 v27, v27, 0xffffff92, vcc_lo
	s_delay_alu instid0(VALU_DEP_3) | instskip(NEXT) | instid1(VALU_DEP_3)
	v_lshl_add_u32 v38, 0x200000, v37, -1
	v_lshrrev_b32_e32 v39, v37, v36
	v_lshlrev_b32_e64 v49, v37, 0x100000
	s_delay_alu instid0(VALU_DEP_4) | instskip(NEXT) | instid1(VALU_DEP_4)
	v_add_nc_u32_e32 v37, v37, v27
	v_and_b32_e32 v36, v38, v36
	s_delay_alu instid0(VALU_DEP_4) | instskip(NEXT) | instid1(VALU_DEP_2)
	v_bfe_u32 v48, v39, 21, 1
	v_cmp_eq_u32_e64 s13, v36, v49
	s_delay_alu instid0(VALU_DEP_2) | instskip(NEXT) | instid1(VALU_DEP_1)
	v_add_nc_u32_e32 v38, -1, v48
	v_cndmask_b32_e64 v36, 0, v38, s13
	v_lshrrev_b32_e32 v38, 23, v39
	s_mov_b32 s13, exec_lo
	s_delay_alu instid0(VALU_DEP_2) | instskip(NEXT) | instid1(VALU_DEP_2)
	v_add_nc_u32_e32 v36, v36, v39
	v_xor_b32_e32 v38, 1, v38
	s_delay_alu instid0(VALU_DEP_2) | instskip(NEXT) | instid1(VALU_DEP_1)
	v_and_b32_e32 v27, 0x1fffff, v36
	v_add_nc_u32_e32 v36, v27, v39
                                        ; implicit-def: $vgpr27
	s_delay_alu instid0(VALU_DEP_3)
	v_cmpx_ne_u32_e64 v37, v38
	s_xor_b32 s13, exec_lo, s13
; %bb.8866:                             ;   in Loop: Header=BB6_8078 Depth=3
	s_delay_alu instid0(VALU_DEP_2) | instskip(SKIP_2) | instid1(VALU_DEP_2)
	v_cmp_lt_u32_e32 vcc_lo, 0xffffff, v36
	v_sub_nc_u32_e32 v27, v37, v38
	v_cndmask_b32_e64 v37, 0, 1, vcc_lo
	v_add_co_ci_u32_e32 v27, vcc_lo, 0, v27, vcc_lo
	s_delay_alu instid0(VALU_DEP_2)
	v_lshrrev_b32_e32 v36, v37, v36
; %bb.8867:                             ;   in Loop: Header=BB6_8078 Depth=3
	s_and_not1_saveexec_b32 s13, s13
; %bb.8868:                             ;   in Loop: Header=BB6_8078 Depth=3
	s_delay_alu instid0(VALU_DEP_1)
	v_bfe_u32 v27, v36, 23, 1
; %bb.8869:                             ;   in Loop: Header=BB6_8078 Depth=3
	s_or_b32 exec_lo, exec_lo, s13
	v_lshrrev_b32_e32 v36, 21, v36
	s_delay_alu instid0(VALU_DEP_2) | instskip(SKIP_2) | instid1(VALU_DEP_2)
	v_cmp_gt_i32_e32 vcc_lo, 32, v27
	v_min_i32_e32 v37, 31, v27
	v_lshrrev_b32_e32 v26, 24, v26
	v_dual_cndmask_b32 v36, 3, v36 :: v_dual_lshlrev_b32 v37, 2, v37
	s_delay_alu instid0(VALU_DEP_2) | instskip(NEXT) | instid1(VALU_DEP_2)
	v_and_b32_e32 v26, 0x80, v26
	v_or_b32_e32 v27, v27, v36
	s_delay_alu instid0(VALU_DEP_1) | instskip(SKIP_1) | instid1(VALU_DEP_1)
	v_cmp_ne_u32_e32 vcc_lo, 0, v27
	v_and_b32_e32 v38, 3, v36
	v_or3_b32 v26, v37, v26, v38
	s_delay_alu instid0(VALU_DEP_1)
	v_cndmask_b32_e32 v161, 0, v26, vcc_lo
.LBB6_8870:                             ;   in Loop: Header=BB6_8078 Depth=3
	s_or_b32 exec_lo, exec_lo, s30
.LBB6_8871:                             ;   in Loop: Header=BB6_8078 Depth=3
	s_delay_alu instid0(SALU_CYCLE_1) | instskip(SKIP_3) | instid1(VALU_DEP_1)
	s_or_b32 exec_lo, exec_lo, s17
	v_and_b32_e32 v27, 0xff, v163
	s_mov_b32 s13, 0
	s_mov_b32 s30, exec_lo
                                        ; implicit-def: $sgpr17
	v_cmpx_lt_i16_e32 0x7f, v27
	s_xor_b32 s30, exec_lo, s30
	s_cbranch_execnz .LBB6_10141
; %bb.8872:                             ;   in Loop: Header=BB6_8078 Depth=3
	s_or_saveexec_b32 s30, s30
	v_mov_b32_e32 v26, s17
	s_xor_b32 exec_lo, exec_lo, s30
	s_cbranch_execnz .LBB6_10144
.LBB6_8873:                             ;   in Loop: Header=BB6_8078 Depth=3
	s_or_b32 exec_lo, exec_lo, s30
	s_and_saveexec_b32 s17, s13
	s_cbranch_execz .LBB6_8875
.LBB6_8874:                             ;   in Loop: Header=BB6_8078 Depth=3
	v_and_b32_e32 v26, 3, v163
	v_bfe_u32 v37, v163, 2, 5
	v_lshlrev_b32_e32 v38, 24, v163
	s_delay_alu instid0(VALU_DEP_3) | instskip(NEXT) | instid1(VALU_DEP_3)
	v_clz_i32_u32_e32 v27, v26
	v_cmp_eq_u32_e32 vcc_lo, 0, v37
	s_delay_alu instid0(VALU_DEP_2) | instskip(NEXT) | instid1(VALU_DEP_1)
	v_min_u32_e32 v27, 32, v27
	v_subrev_nc_u32_e32 v36, 29, v27
	v_sub_nc_u32_e32 v27, 30, v27
	s_delay_alu instid0(VALU_DEP_2) | instskip(NEXT) | instid1(VALU_DEP_1)
	v_lshlrev_b32_e32 v36, v36, v163
	v_dual_cndmask_b32 v27, v37, v27 :: v_dual_and_b32 v36, 3, v36
	s_delay_alu instid0(VALU_DEP_1) | instskip(NEXT) | instid1(VALU_DEP_2)
	v_lshl_add_u32 v27, v27, 23, 0x37800000
	v_cndmask_b32_e32 v26, v26, v36, vcc_lo
	v_and_b32_e32 v36, 0x80000000, v38
	s_delay_alu instid0(VALU_DEP_2) | instskip(NEXT) | instid1(VALU_DEP_1)
	v_lshlrev_b32_e32 v26, 21, v26
	v_or3_b32 v26, v36, v27, v26
.LBB6_8875:                             ;   in Loop: Header=BB6_8078 Depth=3
	s_or_b32 exec_lo, exec_lo, s17
	v_lshrrev_b16 v27, 8, v20
	s_mov_b32 s13, 0
	s_mov_b32 s30, exec_lo
                                        ; implicit-def: $sgpr17
	s_delay_alu instid0(VALU_DEP_1)
	v_cmpx_lt_i16_e32 0x7f, v27
	s_xor_b32 s30, exec_lo, s30
	s_cbranch_execnz .LBB6_10145
; %bb.8876:                             ;   in Loop: Header=BB6_8078 Depth=3
	s_or_saveexec_b32 s30, s30
	v_mov_b32_e32 v36, s17
	s_xor_b32 exec_lo, exec_lo, s30
	s_cbranch_execnz .LBB6_10148
.LBB6_8877:                             ;   in Loop: Header=BB6_8078 Depth=3
	s_or_b32 exec_lo, exec_lo, s30
	s_and_saveexec_b32 s17, s13
	s_cbranch_execz .LBB6_8879
.LBB6_8878:                             ;   in Loop: Header=BB6_8078 Depth=3
	v_and_b32_e32 v36, 0xffff, v27
	v_lshlrev_b32_e32 v27, 24, v27
	s_delay_alu instid0(VALU_DEP_2) | instskip(NEXT) | instid1(VALU_DEP_2)
	v_and_b32_e32 v37, 3, v36
	v_and_b32_e32 v27, 0x80000000, v27
	s_delay_alu instid0(VALU_DEP_2) | instskip(NEXT) | instid1(VALU_DEP_1)
	v_clz_i32_u32_e32 v38, v37
	v_min_u32_e32 v38, 32, v38
	s_delay_alu instid0(VALU_DEP_1) | instskip(SKIP_1) | instid1(VALU_DEP_2)
	v_subrev_nc_u32_e32 v39, 29, v38
	v_sub_nc_u32_e32 v38, 30, v38
	v_lshlrev_b32_e32 v39, v39, v36
	v_bfe_u32 v36, v36, 2, 5
	s_delay_alu instid0(VALU_DEP_2) | instskip(NEXT) | instid1(VALU_DEP_2)
	v_and_b32_e32 v39, 3, v39
	v_cmp_eq_u32_e32 vcc_lo, 0, v36
	s_delay_alu instid0(VALU_DEP_2) | instskip(NEXT) | instid1(VALU_DEP_1)
	v_dual_cndmask_b32 v36, v36, v38 :: v_dual_cndmask_b32 v37, v37, v39
	v_lshl_add_u32 v36, v36, 23, 0x37800000
	s_delay_alu instid0(VALU_DEP_2) | instskip(NEXT) | instid1(VALU_DEP_1)
	v_lshlrev_b32_e32 v37, 21, v37
	v_or3_b32 v36, v27, v36, v37
.LBB6_8879:                             ;   in Loop: Header=BB6_8078 Depth=3
	s_or_b32 exec_lo, exec_lo, s17
	s_delay_alu instid0(VALU_DEP_1) | instskip(SKIP_1) | instid1(VALU_DEP_1)
	v_dual_add_f32 v26, v26, v36 :: v_dual_mov_b32 v163, 0x80
	s_mov_b32 s17, exec_lo
	v_and_b32_e32 v27, 0x7f800000, v26
	s_delay_alu instid0(VALU_DEP_1)
	v_cmpx_ne_u32_e32 0x7f800000, v27
	s_cbranch_execz .LBB6_8887
; %bb.8880:                             ;   in Loop: Header=BB6_8078 Depth=3
	v_mov_b32_e32 v163, 0
	s_mov_b32 s30, exec_lo
	v_cmpx_ne_u32_e32 0, v26
	s_cbranch_execz .LBB6_8886
; %bb.8881:                             ;   in Loop: Header=BB6_8078 Depth=3
	v_bfe_u32 v27, v26, 23, 8
	s_delay_alu instid0(VALU_DEP_1) | instskip(SKIP_1) | instid1(VALU_DEP_2)
	v_sub_nc_u32_e32 v37, 0x70, v27
	v_cmp_gt_u32_e32 vcc_lo, 0x71, v27
	v_dual_cndmask_b32 v37, 0, v37 :: v_dual_and_b32 v36, 0x7fffff, v26
	s_delay_alu instid0(VALU_DEP_1) | instskip(SKIP_2) | instid1(VALU_DEP_4)
	v_or_b32_e32 v38, 0x800000, v36
	v_cmp_eq_u32_e32 vcc_lo, 0, v27
	v_add_nc_u32_e32 v27, 0xffffff91, v27
	v_cndmask_b32_e64 v37, v37, 0x6f, vcc_lo
	s_delay_alu instid0(VALU_DEP_4) | instskip(NEXT) | instid1(VALU_DEP_3)
	v_cndmask_b32_e32 v36, v38, v36, vcc_lo
	v_cndmask_b32_e64 v27, v27, 0xffffff92, vcc_lo
	s_delay_alu instid0(VALU_DEP_3) | instskip(NEXT) | instid1(VALU_DEP_3)
	v_lshl_add_u32 v38, 0x200000, v37, -1
	v_lshrrev_b32_e32 v39, v37, v36
	v_lshlrev_b32_e64 v49, v37, 0x100000
	s_delay_alu instid0(VALU_DEP_4) | instskip(NEXT) | instid1(VALU_DEP_4)
	v_add_nc_u32_e32 v37, v37, v27
	v_and_b32_e32 v36, v38, v36
	s_delay_alu instid0(VALU_DEP_4) | instskip(NEXT) | instid1(VALU_DEP_2)
	v_bfe_u32 v48, v39, 21, 1
	v_cmp_eq_u32_e64 s13, v36, v49
	s_delay_alu instid0(VALU_DEP_2) | instskip(NEXT) | instid1(VALU_DEP_1)
	v_add_nc_u32_e32 v38, -1, v48
	v_cndmask_b32_e64 v36, 0, v38, s13
	v_lshrrev_b32_e32 v38, 23, v39
	s_mov_b32 s13, exec_lo
	s_delay_alu instid0(VALU_DEP_2) | instskip(NEXT) | instid1(VALU_DEP_2)
	v_add_nc_u32_e32 v36, v36, v39
	v_xor_b32_e32 v38, 1, v38
	s_delay_alu instid0(VALU_DEP_2) | instskip(NEXT) | instid1(VALU_DEP_1)
	v_and_b32_e32 v27, 0x1fffff, v36
	v_add_nc_u32_e32 v36, v27, v39
                                        ; implicit-def: $vgpr27
	s_delay_alu instid0(VALU_DEP_3)
	v_cmpx_ne_u32_e64 v37, v38
	s_xor_b32 s13, exec_lo, s13
; %bb.8882:                             ;   in Loop: Header=BB6_8078 Depth=3
	s_delay_alu instid0(VALU_DEP_2) | instskip(SKIP_2) | instid1(VALU_DEP_2)
	v_cmp_lt_u32_e32 vcc_lo, 0xffffff, v36
	v_sub_nc_u32_e32 v27, v37, v38
	v_cndmask_b32_e64 v37, 0, 1, vcc_lo
	v_add_co_ci_u32_e32 v27, vcc_lo, 0, v27, vcc_lo
	s_delay_alu instid0(VALU_DEP_2)
	v_lshrrev_b32_e32 v36, v37, v36
; %bb.8883:                             ;   in Loop: Header=BB6_8078 Depth=3
	s_and_not1_saveexec_b32 s13, s13
; %bb.8884:                             ;   in Loop: Header=BB6_8078 Depth=3
	s_delay_alu instid0(VALU_DEP_1)
	v_bfe_u32 v27, v36, 23, 1
; %bb.8885:                             ;   in Loop: Header=BB6_8078 Depth=3
	s_or_b32 exec_lo, exec_lo, s13
	v_lshrrev_b32_e32 v36, 21, v36
	s_delay_alu instid0(VALU_DEP_2) | instskip(SKIP_2) | instid1(VALU_DEP_2)
	v_cmp_gt_i32_e32 vcc_lo, 32, v27
	v_min_i32_e32 v37, 31, v27
	v_lshrrev_b32_e32 v26, 24, v26
	v_dual_cndmask_b32 v36, 3, v36 :: v_dual_lshlrev_b32 v37, 2, v37
	s_delay_alu instid0(VALU_DEP_2) | instskip(NEXT) | instid1(VALU_DEP_2)
	v_and_b32_e32 v26, 0x80, v26
	v_or_b32_e32 v27, v27, v36
	s_delay_alu instid0(VALU_DEP_1) | instskip(SKIP_1) | instid1(VALU_DEP_1)
	v_cmp_ne_u32_e32 vcc_lo, 0, v27
	v_and_b32_e32 v38, 3, v36
	v_or3_b32 v26, v37, v26, v38
	s_delay_alu instid0(VALU_DEP_1)
	v_cndmask_b32_e32 v163, 0, v26, vcc_lo
.LBB6_8886:                             ;   in Loop: Header=BB6_8078 Depth=3
	s_or_b32 exec_lo, exec_lo, s30
.LBB6_8887:                             ;   in Loop: Header=BB6_8078 Depth=3
	s_delay_alu instid0(SALU_CYCLE_1) | instskip(SKIP_3) | instid1(VALU_DEP_1)
	s_or_b32 exec_lo, exec_lo, s17
	v_and_b32_e32 v27, 0xff, v178
	s_mov_b32 s13, 0
	s_mov_b32 s30, exec_lo
                                        ; implicit-def: $sgpr17
	v_cmpx_lt_i16_e32 0x7f, v27
	s_xor_b32 s30, exec_lo, s30
	s_cbranch_execnz .LBB6_10149
; %bb.8888:                             ;   in Loop: Header=BB6_8078 Depth=3
	s_or_saveexec_b32 s30, s30
	v_mov_b32_e32 v26, s17
	s_xor_b32 exec_lo, exec_lo, s30
	s_cbranch_execnz .LBB6_10152
.LBB6_8889:                             ;   in Loop: Header=BB6_8078 Depth=3
	s_or_b32 exec_lo, exec_lo, s30
	s_and_saveexec_b32 s17, s13
	s_cbranch_execz .LBB6_8891
.LBB6_8890:                             ;   in Loop: Header=BB6_8078 Depth=3
	v_bfe_u32 v37, v178, 2, 5
	v_lshlrev_b32_e32 v38, 24, v178
	s_delay_alu instid0(VALU_DEP_2) | instskip(SKIP_1) | instid1(VALU_DEP_1)
	v_cmp_eq_u32_e32 vcc_lo, 0, v37
	v_and_b32_e32 v26, 3, v178
	v_clz_i32_u32_e32 v27, v26
	s_delay_alu instid0(VALU_DEP_1) | instskip(NEXT) | instid1(VALU_DEP_1)
	v_min_u32_e32 v27, 32, v27
	v_subrev_nc_u32_e32 v36, 29, v27
	v_sub_nc_u32_e32 v27, 30, v27
	s_delay_alu instid0(VALU_DEP_1) | instskip(NEXT) | instid1(VALU_DEP_1)
	v_dual_cndmask_b32 v27, v37, v27 :: v_dual_lshlrev_b32 v36, v36, v178
	v_and_b32_e32 v36, 3, v36
	s_delay_alu instid0(VALU_DEP_2) | instskip(NEXT) | instid1(VALU_DEP_2)
	v_lshl_add_u32 v27, v27, 23, 0x37800000
	v_cndmask_b32_e32 v26, v26, v36, vcc_lo
	v_and_b32_e32 v36, 0x80000000, v38
	s_delay_alu instid0(VALU_DEP_2) | instskip(NEXT) | instid1(VALU_DEP_1)
	v_lshlrev_b32_e32 v26, 21, v26
	v_or3_b32 v26, v36, v27, v26
.LBB6_8891:                             ;   in Loop: Header=BB6_8078 Depth=3
	s_or_b32 exec_lo, exec_lo, s17
	v_lshrrev_b32_e32 v27, 16, v20
	s_mov_b32 s13, 0
	s_mov_b32 s30, exec_lo
                                        ; implicit-def: $sgpr17
	s_delay_alu instid0(VALU_DEP_1) | instskip(NEXT) | instid1(VALU_DEP_1)
	v_and_b32_e32 v37, 0xff, v27
	v_cmpx_lt_i16_e32 0x7f, v37
	s_xor_b32 s30, exec_lo, s30
	s_cbranch_execnz .LBB6_10153
; %bb.8892:                             ;   in Loop: Header=BB6_8078 Depth=3
	s_or_saveexec_b32 s30, s30
	v_mov_b32_e32 v36, s17
	s_xor_b32 exec_lo, exec_lo, s30
	s_cbranch_execnz .LBB6_10156
.LBB6_8893:                             ;   in Loop: Header=BB6_8078 Depth=3
	s_or_b32 exec_lo, exec_lo, s30
	s_and_saveexec_b32 s17, s13
	s_cbranch_execz .LBB6_8895
.LBB6_8894:                             ;   in Loop: Header=BB6_8078 Depth=3
	v_bfe_u32 v36, v20, 16, 2
	v_lshlrev_b32_e32 v39, 8, v20
	s_delay_alu instid0(VALU_DEP_2) | instskip(NEXT) | instid1(VALU_DEP_1)
	v_clz_i32_u32_e32 v37, v36
	v_min_u32_e32 v37, 32, v37
	s_delay_alu instid0(VALU_DEP_1) | instskip(SKIP_1) | instid1(VALU_DEP_2)
	v_subrev_nc_u32_e32 v38, 29, v37
	v_sub_nc_u32_e32 v37, 30, v37
	v_lshlrev_b32_e32 v27, v38, v27
	v_bfe_u32 v38, v20, 18, 5
	s_delay_alu instid0(VALU_DEP_2) | instskip(NEXT) | instid1(VALU_DEP_2)
	v_and_b32_e32 v27, 3, v27
	v_cmp_eq_u32_e32 vcc_lo, 0, v38
	v_cndmask_b32_e32 v37, v38, v37, vcc_lo
	s_delay_alu instid0(VALU_DEP_3) | instskip(SKIP_1) | instid1(VALU_DEP_3)
	v_cndmask_b32_e32 v27, v36, v27, vcc_lo
	v_and_b32_e32 v36, 0x80000000, v39
	v_lshl_add_u32 v37, v37, 23, 0x37800000
	s_delay_alu instid0(VALU_DEP_3) | instskip(NEXT) | instid1(VALU_DEP_1)
	v_lshlrev_b32_e32 v27, 21, v27
	v_or3_b32 v36, v36, v37, v27
.LBB6_8895:                             ;   in Loop: Header=BB6_8078 Depth=3
	s_or_b32 exec_lo, exec_lo, s17
	s_delay_alu instid0(VALU_DEP_1) | instskip(SKIP_2) | instid1(VALU_DEP_2)
	v_add_f32_e32 v26, v26, v36
	v_mov_b32_e32 v178, 0x80
	s_mov_b32 s17, exec_lo
	v_and_b32_e32 v27, 0x7f800000, v26
	s_delay_alu instid0(VALU_DEP_1)
	v_cmpx_ne_u32_e32 0x7f800000, v27
	s_cbranch_execz .LBB6_8903
; %bb.8896:                             ;   in Loop: Header=BB6_8078 Depth=3
	v_mov_b32_e32 v178, 0
	s_mov_b32 s30, exec_lo
	v_cmpx_ne_u32_e32 0, v26
	s_cbranch_execz .LBB6_8902
; %bb.8897:                             ;   in Loop: Header=BB6_8078 Depth=3
	v_bfe_u32 v27, v26, 23, 8
	s_delay_alu instid0(VALU_DEP_1) | instskip(SKIP_1) | instid1(VALU_DEP_2)
	v_sub_nc_u32_e32 v37, 0x70, v27
	v_cmp_gt_u32_e32 vcc_lo, 0x71, v27
	v_dual_cndmask_b32 v37, 0, v37 :: v_dual_and_b32 v36, 0x7fffff, v26
	s_delay_alu instid0(VALU_DEP_1) | instskip(SKIP_2) | instid1(VALU_DEP_4)
	v_or_b32_e32 v38, 0x800000, v36
	v_cmp_eq_u32_e32 vcc_lo, 0, v27
	v_add_nc_u32_e32 v27, 0xffffff91, v27
	v_cndmask_b32_e64 v37, v37, 0x6f, vcc_lo
	s_delay_alu instid0(VALU_DEP_4) | instskip(NEXT) | instid1(VALU_DEP_3)
	v_cndmask_b32_e32 v36, v38, v36, vcc_lo
	v_cndmask_b32_e64 v27, v27, 0xffffff92, vcc_lo
	s_delay_alu instid0(VALU_DEP_3) | instskip(NEXT) | instid1(VALU_DEP_3)
	v_lshl_add_u32 v38, 0x200000, v37, -1
	v_lshrrev_b32_e32 v39, v37, v36
	v_lshlrev_b32_e64 v49, v37, 0x100000
	s_delay_alu instid0(VALU_DEP_4) | instskip(NEXT) | instid1(VALU_DEP_4)
	v_add_nc_u32_e32 v37, v37, v27
	v_and_b32_e32 v36, v38, v36
	s_delay_alu instid0(VALU_DEP_4) | instskip(NEXT) | instid1(VALU_DEP_2)
	v_bfe_u32 v48, v39, 21, 1
	v_cmp_eq_u32_e64 s13, v36, v49
	s_delay_alu instid0(VALU_DEP_2) | instskip(NEXT) | instid1(VALU_DEP_1)
	v_add_nc_u32_e32 v38, -1, v48
	v_cndmask_b32_e64 v36, 0, v38, s13
	v_lshrrev_b32_e32 v38, 23, v39
	s_mov_b32 s13, exec_lo
	s_delay_alu instid0(VALU_DEP_2) | instskip(NEXT) | instid1(VALU_DEP_2)
	v_add_nc_u32_e32 v36, v36, v39
	v_xor_b32_e32 v38, 1, v38
	s_delay_alu instid0(VALU_DEP_2) | instskip(NEXT) | instid1(VALU_DEP_1)
	v_and_b32_e32 v27, 0x1fffff, v36
	v_add_nc_u32_e32 v36, v27, v39
                                        ; implicit-def: $vgpr27
	s_delay_alu instid0(VALU_DEP_3)
	v_cmpx_ne_u32_e64 v37, v38
	s_xor_b32 s13, exec_lo, s13
; %bb.8898:                             ;   in Loop: Header=BB6_8078 Depth=3
	s_delay_alu instid0(VALU_DEP_2) | instskip(SKIP_2) | instid1(VALU_DEP_2)
	v_cmp_lt_u32_e32 vcc_lo, 0xffffff, v36
	v_sub_nc_u32_e32 v27, v37, v38
	v_cndmask_b32_e64 v37, 0, 1, vcc_lo
	v_add_co_ci_u32_e32 v27, vcc_lo, 0, v27, vcc_lo
	s_delay_alu instid0(VALU_DEP_2)
	v_lshrrev_b32_e32 v36, v37, v36
; %bb.8899:                             ;   in Loop: Header=BB6_8078 Depth=3
	s_and_not1_saveexec_b32 s13, s13
; %bb.8900:                             ;   in Loop: Header=BB6_8078 Depth=3
	s_delay_alu instid0(VALU_DEP_1)
	v_bfe_u32 v27, v36, 23, 1
; %bb.8901:                             ;   in Loop: Header=BB6_8078 Depth=3
	s_or_b32 exec_lo, exec_lo, s13
	v_lshrrev_b32_e32 v36, 21, v36
	s_delay_alu instid0(VALU_DEP_2) | instskip(SKIP_2) | instid1(VALU_DEP_4)
	v_cmp_gt_i32_e32 vcc_lo, 32, v27
	v_lshrrev_b32_e32 v26, 24, v26
	v_min_i32_e32 v37, 31, v27
	v_cndmask_b32_e32 v36, 3, v36, vcc_lo
	s_delay_alu instid0(VALU_DEP_3) | instskip(NEXT) | instid1(VALU_DEP_3)
	v_and_b32_e32 v26, 0x80, v26
	v_lshlrev_b32_e32 v37, 2, v37
	s_delay_alu instid0(VALU_DEP_3) | instskip(SKIP_1) | instid1(VALU_DEP_2)
	v_and_b32_e32 v38, 3, v36
	v_or_b32_e32 v27, v27, v36
	v_or3_b32 v26, v37, v26, v38
	s_delay_alu instid0(VALU_DEP_2) | instskip(NEXT) | instid1(VALU_DEP_2)
	v_cmp_ne_u32_e32 vcc_lo, 0, v27
	v_cndmask_b32_e32 v178, 0, v26, vcc_lo
.LBB6_8902:                             ;   in Loop: Header=BB6_8078 Depth=3
	s_or_b32 exec_lo, exec_lo, s30
.LBB6_8903:                             ;   in Loop: Header=BB6_8078 Depth=3
	s_delay_alu instid0(SALU_CYCLE_1) | instskip(SKIP_3) | instid1(VALU_DEP_1)
	s_or_b32 exec_lo, exec_lo, s17
	v_and_b32_e32 v27, 0xff, v45
	s_mov_b32 s13, 0
	s_mov_b32 s30, exec_lo
                                        ; implicit-def: $sgpr17
	v_cmpx_lt_i16_e32 0x7f, v27
	s_xor_b32 s30, exec_lo, s30
	s_cbranch_execnz .LBB6_10157
; %bb.8904:                             ;   in Loop: Header=BB6_8078 Depth=3
	s_or_saveexec_b32 s30, s30
	v_mov_b32_e32 v26, s17
	s_xor_b32 exec_lo, exec_lo, s30
	s_cbranch_execnz .LBB6_10160
.LBB6_8905:                             ;   in Loop: Header=BB6_8078 Depth=3
	s_or_b32 exec_lo, exec_lo, s30
	s_and_saveexec_b32 s17, s13
	s_cbranch_execz .LBB6_8907
.LBB6_8906:                             ;   in Loop: Header=BB6_8078 Depth=3
	v_lshlrev_b32_e32 v26, 8, v45
	s_delay_alu instid0(VALU_DEP_1) | instskip(SKIP_1) | instid1(VALU_DEP_2)
	v_and_b32_e32 v36, 0xff00, v26
	v_bfe_u32 v26, v26, 10, 5
	v_bfe_u32 v37, v36, 8, 2
	s_delay_alu instid0(VALU_DEP_2) | instskip(SKIP_1) | instid1(VALU_DEP_3)
	v_cmp_eq_u32_e32 vcc_lo, 0, v26
	v_lshlrev_b32_e32 v36, 16, v36
	v_clz_i32_u32_e32 v38, v37
	s_delay_alu instid0(VALU_DEP_2) | instskip(NEXT) | instid1(VALU_DEP_2)
	v_and_b32_e32 v36, 0x80000000, v36
	v_min_u32_e32 v38, 32, v38
	s_delay_alu instid0(VALU_DEP_1) | instskip(SKIP_1) | instid1(VALU_DEP_1)
	v_subrev_nc_u32_e32 v39, 29, v38
	v_sub_nc_u32_e32 v38, 30, v38
	v_dual_cndmask_b32 v26, v26, v38 :: v_dual_lshlrev_b32 v27, v39, v27
	s_delay_alu instid0(VALU_DEP_1) | instskip(NEXT) | instid1(VALU_DEP_2)
	v_and_b32_e32 v27, 3, v27
	v_lshl_add_u32 v26, v26, 23, 0x37800000
	s_delay_alu instid0(VALU_DEP_2) | instskip(NEXT) | instid1(VALU_DEP_1)
	v_cndmask_b32_e32 v27, v37, v27, vcc_lo
	v_lshlrev_b32_e32 v27, 21, v27
	s_delay_alu instid0(VALU_DEP_1)
	v_or3_b32 v26, v36, v26, v27
.LBB6_8907:                             ;   in Loop: Header=BB6_8078 Depth=3
	s_or_b32 exec_lo, exec_lo, s17
	v_lshrrev_b32_e32 v27, 24, v20
	s_mov_b32 s13, 0
	s_mov_b32 s30, exec_lo
                                        ; implicit-def: $sgpr17
	s_delay_alu instid0(VALU_DEP_1)
	v_cmpx_lt_i16_e32 0x7f, v27
	s_xor_b32 s30, exec_lo, s30
	s_cbranch_execnz .LBB6_10161
; %bb.8908:                             ;   in Loop: Header=BB6_8078 Depth=3
	s_or_saveexec_b32 s30, s30
	v_mov_b32_e32 v36, s17
	s_xor_b32 exec_lo, exec_lo, s30
	s_cbranch_execnz .LBB6_10164
.LBB6_8909:                             ;   in Loop: Header=BB6_8078 Depth=3
	s_or_b32 exec_lo, exec_lo, s30
	s_and_saveexec_b32 s17, s13
	s_cbranch_execz .LBB6_8911
.LBB6_8910:                             ;   in Loop: Header=BB6_8078 Depth=3
	v_bfe_u32 v36, v20, 24, 2
	s_delay_alu instid0(VALU_DEP_1) | instskip(NEXT) | instid1(VALU_DEP_1)
	v_clz_i32_u32_e32 v37, v36
	v_min_u32_e32 v37, 32, v37
	s_delay_alu instid0(VALU_DEP_1) | instskip(SKIP_1) | instid1(VALU_DEP_2)
	v_subrev_nc_u32_e32 v38, 29, v37
	v_sub_nc_u32_e32 v37, 30, v37
	v_lshlrev_b32_e32 v27, v38, v27
	v_bfe_u32 v38, v20, 26, 5
	v_and_b32_e32 v20, 0x80000000, v20
	s_delay_alu instid0(VALU_DEP_3) | instskip(NEXT) | instid1(VALU_DEP_3)
	v_and_b32_e32 v27, 3, v27
	v_cmp_eq_u32_e32 vcc_lo, 0, v38
	v_cndmask_b32_e32 v37, v38, v37, vcc_lo
	s_delay_alu instid0(VALU_DEP_3) | instskip(NEXT) | instid1(VALU_DEP_2)
	v_cndmask_b32_e32 v27, v36, v27, vcc_lo
	v_lshl_add_u32 v36, v37, 23, 0x37800000
	s_delay_alu instid0(VALU_DEP_2) | instskip(NEXT) | instid1(VALU_DEP_1)
	v_lshlrev_b32_e32 v27, 21, v27
	v_or3_b32 v36, v20, v36, v27
.LBB6_8911:                             ;   in Loop: Header=BB6_8078 Depth=3
	s_or_b32 exec_lo, exec_lo, s17
	s_delay_alu instid0(VALU_DEP_1) | instskip(NEXT) | instid1(VALU_DEP_1)
	v_add_f32_e32 v26, v26, v36
	v_and_b32_e32 v20, 0x7f800000, v26
	s_delay_alu instid0(VALU_DEP_1)
	v_cmp_ne_u32_e32 vcc_lo, 0x7f800000, v20
	v_mov_b32_e32 v20, 0x80
	s_and_saveexec_b32 s17, vcc_lo
	s_cbranch_execz .LBB6_8919
; %bb.8912:                             ;   in Loop: Header=BB6_8078 Depth=3
	v_mov_b32_e32 v20, 0
	s_mov_b32 s30, exec_lo
	v_cmpx_ne_u32_e32 0, v26
	s_cbranch_execz .LBB6_8918
; %bb.8913:                             ;   in Loop: Header=BB6_8078 Depth=3
	v_bfe_u32 v20, v26, 23, 8
	s_delay_alu instid0(VALU_DEP_1) | instskip(SKIP_1) | instid1(VALU_DEP_2)
	v_sub_nc_u32_e32 v36, 0x70, v20
	v_cmp_gt_u32_e32 vcc_lo, 0x71, v20
	v_dual_cndmask_b32 v36, 0, v36 :: v_dual_and_b32 v27, 0x7fffff, v26
	s_delay_alu instid0(VALU_DEP_1) | instskip(SKIP_2) | instid1(VALU_DEP_4)
	v_or_b32_e32 v37, 0x800000, v27
	v_cmp_eq_u32_e32 vcc_lo, 0, v20
	v_add_nc_u32_e32 v20, 0xffffff91, v20
	v_cndmask_b32_e64 v36, v36, 0x6f, vcc_lo
	s_delay_alu instid0(VALU_DEP_4) | instskip(NEXT) | instid1(VALU_DEP_3)
	v_cndmask_b32_e32 v27, v37, v27, vcc_lo
	v_cndmask_b32_e64 v20, v20, 0xffffff92, vcc_lo
	s_delay_alu instid0(VALU_DEP_3) | instskip(NEXT) | instid1(VALU_DEP_3)
	v_lshl_add_u32 v37, 0x200000, v36, -1
	v_lshrrev_b32_e32 v38, v36, v27
	v_lshlrev_b32_e64 v48, v36, 0x100000
	s_delay_alu instid0(VALU_DEP_4) | instskip(NEXT) | instid1(VALU_DEP_4)
	v_add_nc_u32_e32 v36, v36, v20
	v_and_b32_e32 v27, v37, v27
	s_delay_alu instid0(VALU_DEP_4) | instskip(NEXT) | instid1(VALU_DEP_2)
	v_bfe_u32 v39, v38, 21, 1
	v_cmp_eq_u32_e64 s13, v27, v48
	s_delay_alu instid0(VALU_DEP_2) | instskip(NEXT) | instid1(VALU_DEP_1)
	v_add_nc_u32_e32 v37, -1, v39
	v_cndmask_b32_e64 v27, 0, v37, s13
	v_lshrrev_b32_e32 v37, 23, v38
	s_mov_b32 s13, exec_lo
	s_delay_alu instid0(VALU_DEP_2) | instskip(NEXT) | instid1(VALU_DEP_2)
	v_add_nc_u32_e32 v27, v27, v38
	v_xor_b32_e32 v37, 1, v37
	s_delay_alu instid0(VALU_DEP_2) | instskip(NEXT) | instid1(VALU_DEP_1)
	v_and_b32_e32 v20, 0x1fffff, v27
	v_add_nc_u32_e32 v27, v20, v38
                                        ; implicit-def: $vgpr20
	s_delay_alu instid0(VALU_DEP_3)
	v_cmpx_ne_u32_e64 v36, v37
	s_xor_b32 s13, exec_lo, s13
; %bb.8914:                             ;   in Loop: Header=BB6_8078 Depth=3
	s_delay_alu instid0(VALU_DEP_2) | instskip(SKIP_2) | instid1(VALU_DEP_2)
	v_cmp_lt_u32_e32 vcc_lo, 0xffffff, v27
	v_sub_nc_u32_e32 v20, v36, v37
	v_cndmask_b32_e64 v36, 0, 1, vcc_lo
	v_add_co_ci_u32_e32 v20, vcc_lo, 0, v20, vcc_lo
	s_delay_alu instid0(VALU_DEP_2)
	v_lshrrev_b32_e32 v27, v36, v27
; %bb.8915:                             ;   in Loop: Header=BB6_8078 Depth=3
	s_and_not1_saveexec_b32 s13, s13
; %bb.8916:                             ;   in Loop: Header=BB6_8078 Depth=3
	s_delay_alu instid0(VALU_DEP_1)
	v_bfe_u32 v20, v27, 23, 1
; %bb.8917:                             ;   in Loop: Header=BB6_8078 Depth=3
	s_or_b32 exec_lo, exec_lo, s13
	v_lshrrev_b32_e32 v27, 21, v27
	s_delay_alu instid0(VALU_DEP_2) | instskip(SKIP_2) | instid1(VALU_DEP_2)
	v_cmp_gt_i32_e32 vcc_lo, 32, v20
	v_lshrrev_b32_e32 v26, 24, v26
	v_min_i32_e32 v36, 31, v20
	v_dual_cndmask_b32 v27, 3, v27 :: v_dual_and_b32 v26, 0x80, v26
	s_delay_alu instid0(VALU_DEP_2) | instskip(NEXT) | instid1(VALU_DEP_2)
	v_lshlrev_b32_e32 v36, 2, v36
	v_or_b32_e32 v20, v20, v27
	s_delay_alu instid0(VALU_DEP_1) | instskip(SKIP_1) | instid1(VALU_DEP_1)
	v_cmp_ne_u32_e32 vcc_lo, 0, v20
	v_and_b32_e32 v37, 3, v27
	v_or3_b32 v26, v36, v26, v37
	s_delay_alu instid0(VALU_DEP_1)
	v_cndmask_b32_e32 v20, 0, v26, vcc_lo
.LBB6_8918:                             ;   in Loop: Header=BB6_8078 Depth=3
	s_or_b32 exec_lo, exec_lo, s30
.LBB6_8919:                             ;   in Loop: Header=BB6_8078 Depth=3
	s_delay_alu instid0(SALU_CYCLE_1) | instskip(SKIP_3) | instid1(VALU_DEP_1)
	s_or_b32 exec_lo, exec_lo, s17
	v_or_b32_e32 v26, v136, v41
	s_mov_b32 s13, 0
	s_mov_b32 s30, exec_lo
                                        ; implicit-def: $sgpr17
	v_and_b32_e32 v36, 0xff, v26
	s_delay_alu instid0(VALU_DEP_1)
	v_cmpx_lt_i16_e32 0x7f, v36
	s_xor_b32 s30, exec_lo, s30
	s_cbranch_execnz .LBB6_10165
; %bb.8920:                             ;   in Loop: Header=BB6_8078 Depth=3
	s_or_saveexec_b32 s30, s30
	v_mov_b32_e32 v27, s17
	s_xor_b32 exec_lo, exec_lo, s30
	s_cbranch_execnz .LBB6_10168
.LBB6_8921:                             ;   in Loop: Header=BB6_8078 Depth=3
	s_or_b32 exec_lo, exec_lo, s30
	s_and_saveexec_b32 s17, s13
	s_cbranch_execz .LBB6_8923
.LBB6_8922:                             ;   in Loop: Header=BB6_8078 Depth=3
	v_bfe_u32 v38, v26, 2, 5
	v_lshlrev_b32_e32 v39, 24, v26
	s_delay_alu instid0(VALU_DEP_2) | instskip(SKIP_1) | instid1(VALU_DEP_1)
	v_cmp_eq_u32_e32 vcc_lo, 0, v38
	v_and_b32_e32 v27, 3, v26
	v_clz_i32_u32_e32 v36, v27
	s_delay_alu instid0(VALU_DEP_1) | instskip(NEXT) | instid1(VALU_DEP_1)
	v_min_u32_e32 v36, 32, v36
	v_subrev_nc_u32_e32 v37, 29, v36
	v_sub_nc_u32_e32 v36, 30, v36
	s_delay_alu instid0(VALU_DEP_1) | instskip(NEXT) | instid1(VALU_DEP_1)
	v_dual_cndmask_b32 v36, v38, v36 :: v_dual_lshlrev_b32 v37, v37, v26
	v_and_b32_e32 v37, 3, v37
	s_delay_alu instid0(VALU_DEP_2) | instskip(NEXT) | instid1(VALU_DEP_2)
	v_lshl_add_u32 v36, v36, 23, 0x37800000
	v_cndmask_b32_e32 v27, v27, v37, vcc_lo
	v_and_b32_e32 v37, 0x80000000, v39
	s_delay_alu instid0(VALU_DEP_2) | instskip(NEXT) | instid1(VALU_DEP_1)
	v_lshlrev_b32_e32 v27, 21, v27
	v_or3_b32 v27, v37, v36, v27
.LBB6_8923:                             ;   in Loop: Header=BB6_8078 Depth=3
	s_or_b32 exec_lo, exec_lo, s17
	v_and_b32_e32 v37, 0xff, v21
	s_mov_b32 s13, 0
	s_mov_b32 s30, exec_lo
                                        ; implicit-def: $sgpr17
	s_delay_alu instid0(VALU_DEP_1)
	v_cmpx_lt_i16_e32 0x7f, v37
	s_xor_b32 s30, exec_lo, s30
	s_cbranch_execnz .LBB6_10169
; %bb.8924:                             ;   in Loop: Header=BB6_8078 Depth=3
	s_or_saveexec_b32 s30, s30
	v_mov_b32_e32 v36, s17
	s_xor_b32 exec_lo, exec_lo, s30
	s_cbranch_execnz .LBB6_10172
.LBB6_8925:                             ;   in Loop: Header=BB6_8078 Depth=3
	s_or_b32 exec_lo, exec_lo, s30
	s_and_saveexec_b32 s17, s13
	s_cbranch_execz .LBB6_8927
.LBB6_8926:                             ;   in Loop: Header=BB6_8078 Depth=3
	v_and_b32_e32 v36, 3, v21
	v_bfe_u32 v39, v21, 2, 5
	v_lshlrev_b32_e32 v48, 24, v21
	s_delay_alu instid0(VALU_DEP_3) | instskip(NEXT) | instid1(VALU_DEP_3)
	v_clz_i32_u32_e32 v37, v36
	v_cmp_eq_u32_e32 vcc_lo, 0, v39
	s_delay_alu instid0(VALU_DEP_2) | instskip(NEXT) | instid1(VALU_DEP_1)
	v_min_u32_e32 v37, 32, v37
	v_subrev_nc_u32_e32 v38, 29, v37
	v_sub_nc_u32_e32 v37, 30, v37
	s_delay_alu instid0(VALU_DEP_2) | instskip(NEXT) | instid1(VALU_DEP_1)
	v_lshlrev_b32_e32 v38, v38, v21
	v_dual_cndmask_b32 v37, v39, v37 :: v_dual_and_b32 v38, 3, v38
	s_delay_alu instid0(VALU_DEP_1) | instskip(NEXT) | instid1(VALU_DEP_2)
	v_lshl_add_u32 v37, v37, 23, 0x37800000
	v_cndmask_b32_e32 v36, v36, v38, vcc_lo
	v_and_b32_e32 v38, 0x80000000, v48
	s_delay_alu instid0(VALU_DEP_2) | instskip(NEXT) | instid1(VALU_DEP_1)
	v_lshlrev_b32_e32 v36, 21, v36
	v_or3_b32 v36, v38, v37, v36
.LBB6_8927:                             ;   in Loop: Header=BB6_8078 Depth=3
	s_or_b32 exec_lo, exec_lo, s17
	s_delay_alu instid0(VALU_DEP_1) | instskip(SKIP_2) | instid1(VALU_DEP_2)
	v_add_f32_e32 v27, v27, v36
	v_mov_b32_e32 v41, 0x80
	s_mov_b32 s17, exec_lo
	v_and_b32_e32 v36, 0x7f800000, v27
	s_delay_alu instid0(VALU_DEP_1)
	v_cmpx_ne_u32_e32 0x7f800000, v36
	s_cbranch_execz .LBB6_8935
; %bb.8928:                             ;   in Loop: Header=BB6_8078 Depth=3
	v_mov_b32_e32 v41, 0
	s_mov_b32 s30, exec_lo
	v_cmpx_ne_u32_e32 0, v27
	s_cbranch_execz .LBB6_8934
; %bb.8929:                             ;   in Loop: Header=BB6_8078 Depth=3
	v_bfe_u32 v36, v27, 23, 8
	s_delay_alu instid0(VALU_DEP_1) | instskip(SKIP_1) | instid1(VALU_DEP_2)
	v_sub_nc_u32_e32 v38, 0x70, v36
	v_cmp_gt_u32_e32 vcc_lo, 0x71, v36
	v_dual_cndmask_b32 v38, 0, v38 :: v_dual_and_b32 v37, 0x7fffff, v27
	s_delay_alu instid0(VALU_DEP_1) | instskip(SKIP_2) | instid1(VALU_DEP_4)
	v_or_b32_e32 v39, 0x800000, v37
	v_cmp_eq_u32_e32 vcc_lo, 0, v36
	v_add_nc_u32_e32 v36, 0xffffff91, v36
	v_cndmask_b32_e64 v38, v38, 0x6f, vcc_lo
	s_delay_alu instid0(VALU_DEP_4) | instskip(NEXT) | instid1(VALU_DEP_3)
	v_cndmask_b32_e32 v37, v39, v37, vcc_lo
	v_cndmask_b32_e64 v36, v36, 0xffffff92, vcc_lo
	s_delay_alu instid0(VALU_DEP_3) | instskip(NEXT) | instid1(VALU_DEP_3)
	v_lshl_add_u32 v39, 0x200000, v38, -1
	v_lshrrev_b32_e32 v48, v38, v37
	v_lshlrev_b32_e64 v50, v38, 0x100000
	s_delay_alu instid0(VALU_DEP_4) | instskip(NEXT) | instid1(VALU_DEP_4)
	v_add_nc_u32_e32 v38, v38, v36
	v_and_b32_e32 v37, v39, v37
	s_delay_alu instid0(VALU_DEP_4) | instskip(NEXT) | instid1(VALU_DEP_2)
	v_bfe_u32 v49, v48, 21, 1
	v_cmp_eq_u32_e64 s13, v37, v50
	s_delay_alu instid0(VALU_DEP_2) | instskip(NEXT) | instid1(VALU_DEP_1)
	v_add_nc_u32_e32 v39, -1, v49
	v_cndmask_b32_e64 v37, 0, v39, s13
	v_lshrrev_b32_e32 v39, 23, v48
	s_mov_b32 s13, exec_lo
	s_delay_alu instid0(VALU_DEP_2) | instskip(NEXT) | instid1(VALU_DEP_2)
	v_add_nc_u32_e32 v37, v37, v48
	v_xor_b32_e32 v39, 1, v39
	s_delay_alu instid0(VALU_DEP_2) | instskip(NEXT) | instid1(VALU_DEP_1)
	v_and_b32_e32 v36, 0x1fffff, v37
	v_add_nc_u32_e32 v37, v36, v48
                                        ; implicit-def: $vgpr36
	s_delay_alu instid0(VALU_DEP_3)
	v_cmpx_ne_u32_e64 v38, v39
	s_xor_b32 s13, exec_lo, s13
; %bb.8930:                             ;   in Loop: Header=BB6_8078 Depth=3
	s_delay_alu instid0(VALU_DEP_2) | instskip(SKIP_2) | instid1(VALU_DEP_2)
	v_cmp_lt_u32_e32 vcc_lo, 0xffffff, v37
	v_sub_nc_u32_e32 v36, v38, v39
	v_cndmask_b32_e64 v38, 0, 1, vcc_lo
	v_add_co_ci_u32_e32 v36, vcc_lo, 0, v36, vcc_lo
	s_delay_alu instid0(VALU_DEP_2)
	v_lshrrev_b32_e32 v37, v38, v37
; %bb.8931:                             ;   in Loop: Header=BB6_8078 Depth=3
	s_and_not1_saveexec_b32 s13, s13
; %bb.8932:                             ;   in Loop: Header=BB6_8078 Depth=3
	s_delay_alu instid0(VALU_DEP_1)
	v_bfe_u32 v36, v37, 23, 1
; %bb.8933:                             ;   in Loop: Header=BB6_8078 Depth=3
	s_or_b32 exec_lo, exec_lo, s13
	v_lshrrev_b32_e32 v37, 21, v37
	s_delay_alu instid0(VALU_DEP_2) | instskip(SKIP_2) | instid1(VALU_DEP_4)
	v_cmp_gt_i32_e32 vcc_lo, 32, v36
	v_lshrrev_b32_e32 v27, 24, v27
	v_min_i32_e32 v38, 31, v36
	v_cndmask_b32_e32 v37, 3, v37, vcc_lo
	s_delay_alu instid0(VALU_DEP_3) | instskip(NEXT) | instid1(VALU_DEP_3)
	v_and_b32_e32 v27, 0x80, v27
	v_lshlrev_b32_e32 v38, 2, v38
	s_delay_alu instid0(VALU_DEP_3) | instskip(SKIP_1) | instid1(VALU_DEP_2)
	v_and_b32_e32 v39, 3, v37
	v_or_b32_e32 v36, v36, v37
	v_or3_b32 v27, v38, v27, v39
	s_delay_alu instid0(VALU_DEP_2) | instskip(NEXT) | instid1(VALU_DEP_2)
	v_cmp_ne_u32_e32 vcc_lo, 0, v36
	v_cndmask_b32_e32 v41, 0, v27, vcc_lo
.LBB6_8934:                             ;   in Loop: Header=BB6_8078 Depth=3
	s_or_b32 exec_lo, exec_lo, s30
.LBB6_8935:                             ;   in Loop: Header=BB6_8078 Depth=3
	s_delay_alu instid0(SALU_CYCLE_1) | instskip(SKIP_3) | instid1(VALU_DEP_1)
	s_or_b32 exec_lo, exec_lo, s17
	v_lshrrev_b16 v36, 8, v26
	s_mov_b32 s13, 0
	s_mov_b32 s30, exec_lo
                                        ; implicit-def: $sgpr17
	v_cmpx_lt_i16_e32 0x7f, v36
	s_xor_b32 s30, exec_lo, s30
	s_cbranch_execnz .LBB6_10173
; %bb.8936:                             ;   in Loop: Header=BB6_8078 Depth=3
	s_or_saveexec_b32 s30, s30
	v_mov_b32_e32 v27, s17
	s_xor_b32 exec_lo, exec_lo, s30
	s_cbranch_execnz .LBB6_10176
.LBB6_8937:                             ;   in Loop: Header=BB6_8078 Depth=3
	s_or_b32 exec_lo, exec_lo, s30
	s_and_saveexec_b32 s17, s13
	s_cbranch_execz .LBB6_8939
.LBB6_8938:                             ;   in Loop: Header=BB6_8078 Depth=3
	v_and_b32_e32 v27, 0xffff, v36
	s_delay_alu instid0(VALU_DEP_1) | instskip(NEXT) | instid1(VALU_DEP_1)
	v_and_b32_e32 v37, 3, v27
	v_clz_i32_u32_e32 v38, v37
	s_delay_alu instid0(VALU_DEP_1) | instskip(NEXT) | instid1(VALU_DEP_1)
	v_min_u32_e32 v38, 32, v38
	v_subrev_nc_u32_e32 v39, 29, v38
	v_sub_nc_u32_e32 v38, 30, v38
	s_delay_alu instid0(VALU_DEP_2) | instskip(SKIP_1) | instid1(VALU_DEP_2)
	v_lshlrev_b32_e32 v39, v39, v27
	v_bfe_u32 v27, v27, 2, 5
	v_and_b32_e32 v39, 3, v39
	s_delay_alu instid0(VALU_DEP_2) | instskip(SKIP_1) | instid1(VALU_DEP_1)
	v_cmp_eq_u32_e32 vcc_lo, 0, v27
	v_dual_cndmask_b32 v27, v27, v38 :: v_dual_lshlrev_b32 v36, 24, v36
	v_dual_cndmask_b32 v37, v37, v39 :: v_dual_and_b32 v36, 0x80000000, v36
	s_delay_alu instid0(VALU_DEP_2) | instskip(NEXT) | instid1(VALU_DEP_2)
	v_lshl_add_u32 v27, v27, 23, 0x37800000
	v_lshlrev_b32_e32 v37, 21, v37
	s_delay_alu instid0(VALU_DEP_1)
	v_or3_b32 v27, v36, v27, v37
.LBB6_8939:                             ;   in Loop: Header=BB6_8078 Depth=3
	s_or_b32 exec_lo, exec_lo, s17
	v_lshrrev_b16 v36, 8, v21
	s_mov_b32 s13, 0
	s_mov_b32 s30, exec_lo
                                        ; implicit-def: $sgpr17
	s_delay_alu instid0(VALU_DEP_1)
	v_cmpx_lt_i16_e32 0x7f, v36
	s_xor_b32 s30, exec_lo, s30
	s_cbranch_execnz .LBB6_10177
; %bb.8940:                             ;   in Loop: Header=BB6_8078 Depth=3
	s_or_saveexec_b32 s30, s30
	v_mov_b32_e32 v37, s17
	s_xor_b32 exec_lo, exec_lo, s30
	s_cbranch_execnz .LBB6_10180
.LBB6_8941:                             ;   in Loop: Header=BB6_8078 Depth=3
	s_or_b32 exec_lo, exec_lo, s30
	s_and_saveexec_b32 s17, s13
	s_cbranch_execz .LBB6_8943
.LBB6_8942:                             ;   in Loop: Header=BB6_8078 Depth=3
	v_and_b32_e32 v37, 0xffff, v36
	v_lshlrev_b32_e32 v36, 24, v36
	s_delay_alu instid0(VALU_DEP_2) | instskip(NEXT) | instid1(VALU_DEP_2)
	v_and_b32_e32 v38, 3, v37
	v_and_b32_e32 v36, 0x80000000, v36
	s_delay_alu instid0(VALU_DEP_2) | instskip(NEXT) | instid1(VALU_DEP_1)
	v_clz_i32_u32_e32 v39, v38
	v_min_u32_e32 v39, 32, v39
	s_delay_alu instid0(VALU_DEP_1) | instskip(SKIP_1) | instid1(VALU_DEP_2)
	v_subrev_nc_u32_e32 v48, 29, v39
	v_sub_nc_u32_e32 v39, 30, v39
	v_lshlrev_b32_e32 v48, v48, v37
	v_bfe_u32 v37, v37, 2, 5
	s_delay_alu instid0(VALU_DEP_2) | instskip(NEXT) | instid1(VALU_DEP_2)
	v_and_b32_e32 v48, 3, v48
	v_cmp_eq_u32_e32 vcc_lo, 0, v37
	s_delay_alu instid0(VALU_DEP_2) | instskip(NEXT) | instid1(VALU_DEP_1)
	v_dual_cndmask_b32 v37, v37, v39 :: v_dual_cndmask_b32 v38, v38, v48
	v_lshl_add_u32 v37, v37, 23, 0x37800000
	s_delay_alu instid0(VALU_DEP_2) | instskip(NEXT) | instid1(VALU_DEP_1)
	v_lshlrev_b32_e32 v38, 21, v38
	v_or3_b32 v37, v36, v37, v38
.LBB6_8943:                             ;   in Loop: Header=BB6_8078 Depth=3
	s_or_b32 exec_lo, exec_lo, s17
	s_delay_alu instid0(VALU_DEP_1) | instskip(SKIP_2) | instid1(VALU_DEP_2)
	v_add_f32_e32 v27, v27, v37
	v_mov_b32_e32 v45, 0x8000
	s_mov_b32 s17, exec_lo
	v_and_b32_e32 v36, 0x7f800000, v27
	s_delay_alu instid0(VALU_DEP_1)
	v_cmpx_ne_u32_e32 0x7f800000, v36
	s_cbranch_execz .LBB6_8951
; %bb.8944:                             ;   in Loop: Header=BB6_8078 Depth=3
	v_mov_b32_e32 v45, 0
	s_mov_b32 s30, exec_lo
	v_cmpx_ne_u32_e32 0, v27
	s_cbranch_execz .LBB6_8950
; %bb.8945:                             ;   in Loop: Header=BB6_8078 Depth=3
	v_bfe_u32 v36, v27, 23, 8
	s_delay_alu instid0(VALU_DEP_1) | instskip(SKIP_1) | instid1(VALU_DEP_2)
	v_sub_nc_u32_e32 v38, 0x70, v36
	v_cmp_gt_u32_e32 vcc_lo, 0x71, v36
	v_dual_cndmask_b32 v38, 0, v38 :: v_dual_and_b32 v37, 0x7fffff, v27
	s_delay_alu instid0(VALU_DEP_1) | instskip(SKIP_2) | instid1(VALU_DEP_4)
	v_or_b32_e32 v39, 0x800000, v37
	v_cmp_eq_u32_e32 vcc_lo, 0, v36
	v_add_nc_u32_e32 v36, 0xffffff91, v36
	v_cndmask_b32_e64 v38, v38, 0x6f, vcc_lo
	s_delay_alu instid0(VALU_DEP_4) | instskip(NEXT) | instid1(VALU_DEP_3)
	v_cndmask_b32_e32 v37, v39, v37, vcc_lo
	v_cndmask_b32_e64 v36, v36, 0xffffff92, vcc_lo
	s_delay_alu instid0(VALU_DEP_3) | instskip(NEXT) | instid1(VALU_DEP_3)
	v_lshl_add_u32 v39, 0x200000, v38, -1
	v_lshrrev_b32_e32 v48, v38, v37
	v_lshlrev_b32_e64 v50, v38, 0x100000
	s_delay_alu instid0(VALU_DEP_4) | instskip(NEXT) | instid1(VALU_DEP_4)
	v_add_nc_u32_e32 v38, v38, v36
	v_and_b32_e32 v37, v39, v37
	s_delay_alu instid0(VALU_DEP_4) | instskip(NEXT) | instid1(VALU_DEP_2)
	v_bfe_u32 v49, v48, 21, 1
	v_cmp_eq_u32_e64 s13, v37, v50
	s_delay_alu instid0(VALU_DEP_2) | instskip(NEXT) | instid1(VALU_DEP_1)
	v_add_nc_u32_e32 v39, -1, v49
	v_cndmask_b32_e64 v37, 0, v39, s13
	v_lshrrev_b32_e32 v39, 23, v48
	s_mov_b32 s13, exec_lo
	s_delay_alu instid0(VALU_DEP_2) | instskip(NEXT) | instid1(VALU_DEP_2)
	v_add_nc_u32_e32 v37, v37, v48
	v_xor_b32_e32 v39, 1, v39
	s_delay_alu instid0(VALU_DEP_2) | instskip(NEXT) | instid1(VALU_DEP_1)
	v_and_b32_e32 v36, 0x1fffff, v37
	v_add_nc_u32_e32 v37, v36, v48
                                        ; implicit-def: $vgpr36
	s_delay_alu instid0(VALU_DEP_3)
	v_cmpx_ne_u32_e64 v38, v39
	s_xor_b32 s13, exec_lo, s13
; %bb.8946:                             ;   in Loop: Header=BB6_8078 Depth=3
	s_delay_alu instid0(VALU_DEP_2) | instskip(SKIP_2) | instid1(VALU_DEP_2)
	v_cmp_lt_u32_e32 vcc_lo, 0xffffff, v37
	v_sub_nc_u32_e32 v36, v38, v39
	v_cndmask_b32_e64 v38, 0, 1, vcc_lo
	v_add_co_ci_u32_e32 v36, vcc_lo, 0, v36, vcc_lo
	s_delay_alu instid0(VALU_DEP_2)
	v_lshrrev_b32_e32 v37, v38, v37
; %bb.8947:                             ;   in Loop: Header=BB6_8078 Depth=3
	s_and_not1_saveexec_b32 s13, s13
; %bb.8948:                             ;   in Loop: Header=BB6_8078 Depth=3
	s_delay_alu instid0(VALU_DEP_1)
	v_bfe_u32 v36, v37, 23, 1
; %bb.8949:                             ;   in Loop: Header=BB6_8078 Depth=3
	s_or_b32 exec_lo, exec_lo, s13
	v_lshrrev_b32_e32 v37, 21, v37
	s_delay_alu instid0(VALU_DEP_2) | instskip(SKIP_2) | instid1(VALU_DEP_2)
	v_cmp_gt_i32_e32 vcc_lo, 32, v36
	v_min_i32_e32 v38, 31, v36
	v_lshrrev_b32_e32 v27, 24, v27
	v_dual_cndmask_b32 v37, 3, v37 :: v_dual_lshlrev_b32 v38, 2, v38
	s_delay_alu instid0(VALU_DEP_2) | instskip(NEXT) | instid1(VALU_DEP_2)
	v_and_b32_e32 v27, 0x80, v27
	v_or_b32_e32 v36, v36, v37
	v_and_b32_e32 v39, 3, v37
	s_delay_alu instid0(VALU_DEP_2) | instskip(SKIP_1) | instid1(VALU_DEP_1)
	v_cmp_ne_u32_e32 vcc_lo, 0, v36
	v_and_b32_e32 v38, 0xfc, v38
	v_or3_b32 v27, v27, v38, v39
	s_delay_alu instid0(VALU_DEP_1) | instskip(NEXT) | instid1(VALU_DEP_1)
	v_lshlrev_b32_e32 v27, 8, v27
	v_cndmask_b32_e32 v45, 0, v27, vcc_lo
.LBB6_8950:                             ;   in Loop: Header=BB6_8078 Depth=3
	s_or_b32 exec_lo, exec_lo, s30
.LBB6_8951:                             ;   in Loop: Header=BB6_8078 Depth=3
	s_delay_alu instid0(SALU_CYCLE_1) | instskip(SKIP_3) | instid1(VALU_DEP_1)
	s_or_b32 exec_lo, exec_lo, s17
	v_or_b32_e32 v36, v127, v58
	s_mov_b32 s13, 0
	s_mov_b32 s30, exec_lo
                                        ; implicit-def: $sgpr17
	v_and_b32_e32 v37, 0xff, v36
	s_delay_alu instid0(VALU_DEP_1)
	v_cmpx_lt_i16_e32 0x7f, v37
	s_xor_b32 s30, exec_lo, s30
	s_cbranch_execnz .LBB6_10181
; %bb.8952:                             ;   in Loop: Header=BB6_8078 Depth=3
	s_or_saveexec_b32 s30, s30
	v_mov_b32_e32 v27, s17
	s_xor_b32 exec_lo, exec_lo, s30
	s_cbranch_execnz .LBB6_10184
.LBB6_8953:                             ;   in Loop: Header=BB6_8078 Depth=3
	s_or_b32 exec_lo, exec_lo, s30
	v_lshl_or_b32 v26, v36, 16, v26
	s_and_saveexec_b32 s17, s13
	s_cbranch_execz .LBB6_8955
.LBB6_8954:                             ;   in Loop: Header=BB6_8078 Depth=3
	s_delay_alu instid0(VALU_DEP_1) | instskip(SKIP_2) | instid1(VALU_DEP_3)
	v_bfe_u32 v27, v26, 16, 2
	v_lshrrev_b32_e32 v37, 16, v26
	v_lshlrev_b32_e32 v39, 8, v26
	v_clz_i32_u32_e32 v36, v27
	s_delay_alu instid0(VALU_DEP_1) | instskip(NEXT) | instid1(VALU_DEP_1)
	v_min_u32_e32 v36, 32, v36
	v_subrev_nc_u32_e32 v38, 29, v36
	v_sub_nc_u32_e32 v36, 30, v36
	s_delay_alu instid0(VALU_DEP_2) | instskip(SKIP_1) | instid1(VALU_DEP_1)
	v_lshlrev_b32_e32 v37, v38, v37
	v_bfe_u32 v38, v26, 18, 5
	v_cmp_eq_u32_e32 vcc_lo, 0, v38
	s_delay_alu instid0(VALU_DEP_3) | instskip(NEXT) | instid1(VALU_DEP_1)
	v_dual_cndmask_b32 v36, v38, v36 :: v_dual_and_b32 v37, 3, v37
	v_cndmask_b32_e32 v27, v27, v37, vcc_lo
	v_and_b32_e32 v37, 0x80000000, v39
	s_delay_alu instid0(VALU_DEP_3) | instskip(NEXT) | instid1(VALU_DEP_3)
	v_lshl_add_u32 v36, v36, 23, 0x37800000
	v_lshlrev_b32_e32 v27, 21, v27
	s_delay_alu instid0(VALU_DEP_1)
	v_or3_b32 v27, v37, v36, v27
.LBB6_8955:                             ;   in Loop: Header=BB6_8078 Depth=3
	s_or_b32 exec_lo, exec_lo, s17
	v_lshrrev_b32_e32 v36, 16, v21
	s_mov_b32 s13, 0
	s_mov_b32 s30, exec_lo
                                        ; implicit-def: $sgpr17
	s_delay_alu instid0(VALU_DEP_1) | instskip(NEXT) | instid1(VALU_DEP_1)
	v_and_b32_e32 v38, 0xff, v36
	v_cmpx_lt_i16_e32 0x7f, v38
	s_xor_b32 s30, exec_lo, s30
	s_cbranch_execnz .LBB6_10185
; %bb.8956:                             ;   in Loop: Header=BB6_8078 Depth=3
	s_or_saveexec_b32 s30, s30
	v_mov_b32_e32 v37, s17
	s_xor_b32 exec_lo, exec_lo, s30
	s_cbranch_execnz .LBB6_10188
.LBB6_8957:                             ;   in Loop: Header=BB6_8078 Depth=3
	s_or_b32 exec_lo, exec_lo, s30
	s_and_saveexec_b32 s17, s13
	s_cbranch_execz .LBB6_8959
.LBB6_8958:                             ;   in Loop: Header=BB6_8078 Depth=3
	v_bfe_u32 v37, v21, 16, 2
	v_lshlrev_b32_e32 v48, 8, v21
	s_delay_alu instid0(VALU_DEP_2) | instskip(NEXT) | instid1(VALU_DEP_1)
	v_clz_i32_u32_e32 v38, v37
	v_min_u32_e32 v38, 32, v38
	s_delay_alu instid0(VALU_DEP_1) | instskip(SKIP_1) | instid1(VALU_DEP_2)
	v_subrev_nc_u32_e32 v39, 29, v38
	v_sub_nc_u32_e32 v38, 30, v38
	v_lshlrev_b32_e32 v36, v39, v36
	v_bfe_u32 v39, v21, 18, 5
	s_delay_alu instid0(VALU_DEP_2) | instskip(NEXT) | instid1(VALU_DEP_2)
	v_and_b32_e32 v36, 3, v36
	v_cmp_eq_u32_e32 vcc_lo, 0, v39
	v_cndmask_b32_e32 v38, v39, v38, vcc_lo
	s_delay_alu instid0(VALU_DEP_3) | instskip(SKIP_1) | instid1(VALU_DEP_3)
	v_cndmask_b32_e32 v36, v37, v36, vcc_lo
	v_and_b32_e32 v37, 0x80000000, v48
	v_lshl_add_u32 v38, v38, 23, 0x37800000
	s_delay_alu instid0(VALU_DEP_3) | instskip(NEXT) | instid1(VALU_DEP_1)
	v_lshlrev_b32_e32 v36, 21, v36
	v_or3_b32 v37, v37, v38, v36
.LBB6_8959:                             ;   in Loop: Header=BB6_8078 Depth=3
	s_or_b32 exec_lo, exec_lo, s17
	s_delay_alu instid0(VALU_DEP_1) | instskip(SKIP_1) | instid1(VALU_DEP_1)
	v_dual_add_f32 v27, v27, v37 :: v_dual_mov_b32 v58, 0x80
	s_mov_b32 s17, exec_lo
	v_and_b32_e32 v36, 0x7f800000, v27
	s_delay_alu instid0(VALU_DEP_1)
	v_cmpx_ne_u32_e32 0x7f800000, v36
	s_cbranch_execz .LBB6_8967
; %bb.8960:                             ;   in Loop: Header=BB6_8078 Depth=3
	v_mov_b32_e32 v58, 0
	s_mov_b32 s30, exec_lo
	v_cmpx_ne_u32_e32 0, v27
	s_cbranch_execz .LBB6_8966
; %bb.8961:                             ;   in Loop: Header=BB6_8078 Depth=3
	v_bfe_u32 v36, v27, 23, 8
	s_delay_alu instid0(VALU_DEP_1) | instskip(SKIP_1) | instid1(VALU_DEP_2)
	v_sub_nc_u32_e32 v38, 0x70, v36
	v_cmp_gt_u32_e32 vcc_lo, 0x71, v36
	v_dual_cndmask_b32 v38, 0, v38 :: v_dual_and_b32 v37, 0x7fffff, v27
	s_delay_alu instid0(VALU_DEP_1) | instskip(SKIP_2) | instid1(VALU_DEP_4)
	v_or_b32_e32 v39, 0x800000, v37
	v_cmp_eq_u32_e32 vcc_lo, 0, v36
	v_add_nc_u32_e32 v36, 0xffffff91, v36
	v_cndmask_b32_e64 v38, v38, 0x6f, vcc_lo
	s_delay_alu instid0(VALU_DEP_4) | instskip(NEXT) | instid1(VALU_DEP_3)
	v_cndmask_b32_e32 v37, v39, v37, vcc_lo
	v_cndmask_b32_e64 v36, v36, 0xffffff92, vcc_lo
	s_delay_alu instid0(VALU_DEP_3) | instskip(NEXT) | instid1(VALU_DEP_3)
	v_lshl_add_u32 v39, 0x200000, v38, -1
	v_lshrrev_b32_e32 v48, v38, v37
	v_lshlrev_b32_e64 v50, v38, 0x100000
	s_delay_alu instid0(VALU_DEP_4) | instskip(NEXT) | instid1(VALU_DEP_4)
	v_add_nc_u32_e32 v38, v38, v36
	v_and_b32_e32 v37, v39, v37
	s_delay_alu instid0(VALU_DEP_4) | instskip(NEXT) | instid1(VALU_DEP_2)
	v_bfe_u32 v49, v48, 21, 1
	v_cmp_eq_u32_e64 s13, v37, v50
	s_delay_alu instid0(VALU_DEP_2) | instskip(NEXT) | instid1(VALU_DEP_1)
	v_add_nc_u32_e32 v39, -1, v49
	v_cndmask_b32_e64 v37, 0, v39, s13
	v_lshrrev_b32_e32 v39, 23, v48
	s_mov_b32 s13, exec_lo
	s_delay_alu instid0(VALU_DEP_2) | instskip(NEXT) | instid1(VALU_DEP_2)
	v_add_nc_u32_e32 v37, v37, v48
	v_xor_b32_e32 v39, 1, v39
	s_delay_alu instid0(VALU_DEP_2) | instskip(NEXT) | instid1(VALU_DEP_1)
	v_and_b32_e32 v36, 0x1fffff, v37
	v_add_nc_u32_e32 v37, v36, v48
                                        ; implicit-def: $vgpr36
	s_delay_alu instid0(VALU_DEP_3)
	v_cmpx_ne_u32_e64 v38, v39
	s_xor_b32 s13, exec_lo, s13
; %bb.8962:                             ;   in Loop: Header=BB6_8078 Depth=3
	s_delay_alu instid0(VALU_DEP_2) | instskip(SKIP_2) | instid1(VALU_DEP_2)
	v_cmp_lt_u32_e32 vcc_lo, 0xffffff, v37
	v_sub_nc_u32_e32 v36, v38, v39
	v_cndmask_b32_e64 v38, 0, 1, vcc_lo
	v_add_co_ci_u32_e32 v36, vcc_lo, 0, v36, vcc_lo
	s_delay_alu instid0(VALU_DEP_2)
	v_lshrrev_b32_e32 v37, v38, v37
; %bb.8963:                             ;   in Loop: Header=BB6_8078 Depth=3
	s_and_not1_saveexec_b32 s13, s13
; %bb.8964:                             ;   in Loop: Header=BB6_8078 Depth=3
	s_delay_alu instid0(VALU_DEP_1)
	v_bfe_u32 v36, v37, 23, 1
; %bb.8965:                             ;   in Loop: Header=BB6_8078 Depth=3
	s_or_b32 exec_lo, exec_lo, s13
	v_lshrrev_b32_e32 v37, 21, v37
	s_delay_alu instid0(VALU_DEP_2) | instskip(SKIP_2) | instid1(VALU_DEP_2)
	v_cmp_gt_i32_e32 vcc_lo, 32, v36
	v_min_i32_e32 v38, 31, v36
	v_lshrrev_b32_e32 v27, 24, v27
	v_dual_cndmask_b32 v37, 3, v37 :: v_dual_lshlrev_b32 v38, 2, v38
	s_delay_alu instid0(VALU_DEP_2) | instskip(NEXT) | instid1(VALU_DEP_2)
	v_and_b32_e32 v27, 0x80, v27
	v_or_b32_e32 v36, v36, v37
	s_delay_alu instid0(VALU_DEP_3) | instskip(NEXT) | instid1(VALU_DEP_2)
	v_and_b32_e32 v38, 0xfc, v38
	v_cmp_ne_u32_e32 vcc_lo, 0, v36
	v_and_b32_e32 v39, 3, v37
	s_delay_alu instid0(VALU_DEP_1) | instskip(NEXT) | instid1(VALU_DEP_1)
	v_or3_b32 v27, v38, v27, v39
	v_cndmask_b32_e32 v58, 0, v27, vcc_lo
.LBB6_8966:                             ;   in Loop: Header=BB6_8078 Depth=3
	s_or_b32 exec_lo, exec_lo, s30
.LBB6_8967:                             ;   in Loop: Header=BB6_8078 Depth=3
	s_delay_alu instid0(SALU_CYCLE_1) | instskip(SKIP_3) | instid1(VALU_DEP_1)
	s_or_b32 exec_lo, exec_lo, s17
	v_lshrrev_b32_e32 v36, 24, v26
	s_mov_b32 s13, 0
	s_mov_b32 s30, exec_lo
                                        ; implicit-def: $sgpr17
	v_cmpx_lt_i16_e32 0x7f, v36
	s_xor_b32 s30, exec_lo, s30
	s_cbranch_execnz .LBB6_10189
; %bb.8968:                             ;   in Loop: Header=BB6_8078 Depth=3
	s_or_saveexec_b32 s30, s30
	v_mov_b32_e32 v27, s17
	s_xor_b32 exec_lo, exec_lo, s30
	s_cbranch_execnz .LBB6_10192
.LBB6_8969:                             ;   in Loop: Header=BB6_8078 Depth=3
	s_or_b32 exec_lo, exec_lo, s30
	s_and_saveexec_b32 s17, s13
	s_cbranch_execz .LBB6_8971
.LBB6_8970:                             ;   in Loop: Header=BB6_8078 Depth=3
	v_bfe_u32 v27, v26, 24, 2
	s_delay_alu instid0(VALU_DEP_1) | instskip(NEXT) | instid1(VALU_DEP_1)
	v_clz_i32_u32_e32 v37, v27
	v_min_u32_e32 v37, 32, v37
	s_delay_alu instid0(VALU_DEP_1) | instskip(SKIP_1) | instid1(VALU_DEP_2)
	v_subrev_nc_u32_e32 v38, 29, v37
	v_sub_nc_u32_e32 v37, 30, v37
	v_lshlrev_b32_e32 v36, v38, v36
	v_bfe_u32 v38, v26, 26, 5
	v_and_b32_e32 v26, 0x80000000, v26
	s_delay_alu instid0(VALU_DEP_2) | instskip(NEXT) | instid1(VALU_DEP_4)
	v_cmp_eq_u32_e32 vcc_lo, 0, v38
	v_dual_cndmask_b32 v37, v38, v37 :: v_dual_and_b32 v36, 3, v36
	s_delay_alu instid0(VALU_DEP_1) | instskip(NEXT) | instid1(VALU_DEP_2)
	v_cndmask_b32_e32 v27, v27, v36, vcc_lo
	v_lshl_add_u32 v36, v37, 23, 0x37800000
	s_delay_alu instid0(VALU_DEP_2) | instskip(NEXT) | instid1(VALU_DEP_1)
	v_lshlrev_b32_e32 v27, 21, v27
	v_or3_b32 v27, v26, v36, v27
.LBB6_8971:                             ;   in Loop: Header=BB6_8078 Depth=3
	s_or_b32 exec_lo, exec_lo, s17
	v_lshrrev_b32_e32 v26, 24, v21
	s_mov_b32 s13, 0
	s_mov_b32 s30, exec_lo
                                        ; implicit-def: $sgpr17
	s_delay_alu instid0(VALU_DEP_1)
	v_cmpx_lt_i16_e32 0x7f, v26
	s_xor_b32 s30, exec_lo, s30
	s_cbranch_execnz .LBB6_10193
; %bb.8972:                             ;   in Loop: Header=BB6_8078 Depth=3
	s_or_saveexec_b32 s30, s30
	v_mov_b32_e32 v36, s17
	s_xor_b32 exec_lo, exec_lo, s30
	s_cbranch_execnz .LBB6_10196
.LBB6_8973:                             ;   in Loop: Header=BB6_8078 Depth=3
	s_or_b32 exec_lo, exec_lo, s30
	s_and_saveexec_b32 s17, s13
	s_cbranch_execz .LBB6_8975
.LBB6_8974:                             ;   in Loop: Header=BB6_8078 Depth=3
	v_bfe_u32 v36, v21, 24, 2
	s_delay_alu instid0(VALU_DEP_1) | instskip(NEXT) | instid1(VALU_DEP_1)
	v_clz_i32_u32_e32 v37, v36
	v_min_u32_e32 v37, 32, v37
	s_delay_alu instid0(VALU_DEP_1) | instskip(SKIP_1) | instid1(VALU_DEP_2)
	v_subrev_nc_u32_e32 v38, 29, v37
	v_sub_nc_u32_e32 v37, 30, v37
	v_lshlrev_b32_e32 v26, v38, v26
	v_bfe_u32 v38, v21, 26, 5
	v_and_b32_e32 v21, 0x80000000, v21
	s_delay_alu instid0(VALU_DEP_2) | instskip(NEXT) | instid1(VALU_DEP_4)
	v_cmp_eq_u32_e32 vcc_lo, 0, v38
	v_dual_cndmask_b32 v37, v38, v37 :: v_dual_and_b32 v26, 3, v26
	s_delay_alu instid0(VALU_DEP_1) | instskip(NEXT) | instid1(VALU_DEP_2)
	v_cndmask_b32_e32 v26, v36, v26, vcc_lo
	v_lshl_add_u32 v36, v37, 23, 0x37800000
	s_delay_alu instid0(VALU_DEP_2) | instskip(NEXT) | instid1(VALU_DEP_1)
	v_lshlrev_b32_e32 v26, 21, v26
	v_or3_b32 v36, v21, v36, v26
.LBB6_8975:                             ;   in Loop: Header=BB6_8078 Depth=3
	s_or_b32 exec_lo, exec_lo, s17
	s_delay_alu instid0(VALU_DEP_1) | instskip(NEXT) | instid1(VALU_DEP_1)
	v_add_f32_e32 v26, v27, v36
	v_and_b32_e32 v21, 0x7f800000, v26
	s_delay_alu instid0(VALU_DEP_1)
	v_cmp_ne_u32_e32 vcc_lo, 0x7f800000, v21
	v_mov_b32_e32 v21, 0x8000
	s_and_saveexec_b32 s17, vcc_lo
	s_cbranch_execz .LBB6_8983
; %bb.8976:                             ;   in Loop: Header=BB6_8078 Depth=3
	v_mov_b32_e32 v21, 0
	s_mov_b32 s30, exec_lo
	v_cmpx_ne_u32_e32 0, v26
	s_cbranch_execz .LBB6_8982
; %bb.8977:                             ;   in Loop: Header=BB6_8078 Depth=3
	v_bfe_u32 v21, v26, 23, 8
	s_delay_alu instid0(VALU_DEP_1) | instskip(SKIP_1) | instid1(VALU_DEP_2)
	v_sub_nc_u32_e32 v36, 0x70, v21
	v_cmp_gt_u32_e32 vcc_lo, 0x71, v21
	v_dual_cndmask_b32 v36, 0, v36 :: v_dual_and_b32 v27, 0x7fffff, v26
	s_delay_alu instid0(VALU_DEP_1) | instskip(SKIP_2) | instid1(VALU_DEP_4)
	v_or_b32_e32 v37, 0x800000, v27
	v_cmp_eq_u32_e32 vcc_lo, 0, v21
	v_add_nc_u32_e32 v21, 0xffffff91, v21
	v_cndmask_b32_e64 v36, v36, 0x6f, vcc_lo
	s_delay_alu instid0(VALU_DEP_2) | instskip(SKIP_1) | instid1(VALU_DEP_3)
	v_cndmask_b32_e64 v21, v21, 0xffffff92, vcc_lo
	v_cndmask_b32_e32 v27, v37, v27, vcc_lo
	v_lshl_add_u32 v37, 0x200000, v36, -1
	v_lshlrev_b32_e64 v48, v36, 0x100000
	s_delay_alu instid0(VALU_DEP_3) | instskip(SKIP_1) | instid1(VALU_DEP_4)
	v_lshrrev_b32_e32 v38, v36, v27
	v_add_nc_u32_e32 v36, v36, v21
	v_and_b32_e32 v27, v37, v27
	s_delay_alu instid0(VALU_DEP_3) | instskip(NEXT) | instid1(VALU_DEP_2)
	v_bfe_u32 v39, v38, 21, 1
	v_cmp_eq_u32_e64 s13, v27, v48
	s_delay_alu instid0(VALU_DEP_2) | instskip(NEXT) | instid1(VALU_DEP_1)
	v_add_nc_u32_e32 v37, -1, v39
	v_cndmask_b32_e64 v27, 0, v37, s13
	v_lshrrev_b32_e32 v37, 23, v38
	s_mov_b32 s13, exec_lo
	s_delay_alu instid0(VALU_DEP_2) | instskip(NEXT) | instid1(VALU_DEP_2)
	v_add_nc_u32_e32 v27, v27, v38
	v_xor_b32_e32 v37, 1, v37
	s_delay_alu instid0(VALU_DEP_2) | instskip(NEXT) | instid1(VALU_DEP_1)
	v_and_b32_e32 v21, 0x1fffff, v27
	v_add_nc_u32_e32 v27, v21, v38
                                        ; implicit-def: $vgpr21
	s_delay_alu instid0(VALU_DEP_3)
	v_cmpx_ne_u32_e64 v36, v37
	s_xor_b32 s13, exec_lo, s13
; %bb.8978:                             ;   in Loop: Header=BB6_8078 Depth=3
	s_delay_alu instid0(VALU_DEP_2) | instskip(SKIP_2) | instid1(VALU_DEP_2)
	v_cmp_lt_u32_e32 vcc_lo, 0xffffff, v27
	v_sub_nc_u32_e32 v21, v36, v37
	v_cndmask_b32_e64 v36, 0, 1, vcc_lo
	v_add_co_ci_u32_e32 v21, vcc_lo, 0, v21, vcc_lo
	s_delay_alu instid0(VALU_DEP_2)
	v_lshrrev_b32_e32 v27, v36, v27
; %bb.8979:                             ;   in Loop: Header=BB6_8078 Depth=3
	s_and_not1_saveexec_b32 s13, s13
; %bb.8980:                             ;   in Loop: Header=BB6_8078 Depth=3
	s_delay_alu instid0(VALU_DEP_1)
	v_bfe_u32 v21, v27, 23, 1
; %bb.8981:                             ;   in Loop: Header=BB6_8078 Depth=3
	s_or_b32 exec_lo, exec_lo, s13
	v_lshrrev_b32_e32 v27, 21, v27
	s_delay_alu instid0(VALU_DEP_2) | instskip(SKIP_2) | instid1(VALU_DEP_2)
	v_cmp_gt_i32_e32 vcc_lo, 32, v21
	v_min_i32_e32 v36, 31, v21
	v_lshrrev_b32_e32 v26, 24, v26
	v_dual_cndmask_b32 v27, 3, v27 :: v_dual_lshlrev_b32 v36, 2, v36
	s_delay_alu instid0(VALU_DEP_2) | instskip(NEXT) | instid1(VALU_DEP_2)
	v_and_b32_e32 v26, 0x80, v26
	v_or_b32_e32 v21, v21, v27
	v_and_b32_e32 v37, 3, v27
	s_delay_alu instid0(VALU_DEP_2) | instskip(SKIP_1) | instid1(VALU_DEP_1)
	v_cmp_ne_u32_e32 vcc_lo, 0, v21
	v_and_b32_e32 v36, 0xfc, v36
	v_or3_b32 v26, v26, v36, v37
	s_delay_alu instid0(VALU_DEP_1) | instskip(NEXT) | instid1(VALU_DEP_1)
	v_lshlrev_b32_e32 v26, 8, v26
	v_cndmask_b32_e32 v21, 0, v26, vcc_lo
.LBB6_8982:                             ;   in Loop: Header=BB6_8078 Depth=3
	s_or_b32 exec_lo, exec_lo, s30
.LBB6_8983:                             ;   in Loop: Header=BB6_8078 Depth=3
	s_delay_alu instid0(SALU_CYCLE_1) | instskip(SKIP_3) | instid1(VALU_DEP_1)
	s_or_b32 exec_lo, exec_lo, s17
	v_and_b32_e32 v27, 0xff, v72
	s_mov_b32 s13, 0
	s_mov_b32 s30, exec_lo
                                        ; implicit-def: $sgpr17
	v_cmpx_lt_i16_e32 0x7f, v27
	s_xor_b32 s30, exec_lo, s30
	s_cbranch_execnz .LBB6_10197
; %bb.8984:                             ;   in Loop: Header=BB6_8078 Depth=3
	s_or_saveexec_b32 s30, s30
	v_mov_b32_e32 v26, s17
	s_xor_b32 exec_lo, exec_lo, s30
	s_cbranch_execnz .LBB6_10200
.LBB6_8985:                             ;   in Loop: Header=BB6_8078 Depth=3
	s_or_b32 exec_lo, exec_lo, s30
	s_and_saveexec_b32 s17, s13
	s_cbranch_execz .LBB6_8987
.LBB6_8986:                             ;   in Loop: Header=BB6_8078 Depth=3
	v_bfe_u32 v37, v72, 2, 5
	v_lshlrev_b32_e32 v38, 24, v72
	s_delay_alu instid0(VALU_DEP_2) | instskip(SKIP_1) | instid1(VALU_DEP_1)
	v_cmp_eq_u32_e32 vcc_lo, 0, v37
	v_and_b32_e32 v26, 3, v72
	v_clz_i32_u32_e32 v27, v26
	s_delay_alu instid0(VALU_DEP_1) | instskip(NEXT) | instid1(VALU_DEP_1)
	v_min_u32_e32 v27, 32, v27
	v_subrev_nc_u32_e32 v36, 29, v27
	v_sub_nc_u32_e32 v27, 30, v27
	s_delay_alu instid0(VALU_DEP_1) | instskip(NEXT) | instid1(VALU_DEP_1)
	v_dual_cndmask_b32 v27, v37, v27 :: v_dual_lshlrev_b32 v36, v36, v72
	v_and_b32_e32 v36, 3, v36
	s_delay_alu instid0(VALU_DEP_2) | instskip(NEXT) | instid1(VALU_DEP_2)
	v_lshl_add_u32 v27, v27, 23, 0x37800000
	v_cndmask_b32_e32 v26, v26, v36, vcc_lo
	v_and_b32_e32 v36, 0x80000000, v38
	s_delay_alu instid0(VALU_DEP_2) | instskip(NEXT) | instid1(VALU_DEP_1)
	v_lshlrev_b32_e32 v26, 21, v26
	v_or3_b32 v26, v36, v27, v26
.LBB6_8987:                             ;   in Loop: Header=BB6_8078 Depth=3
	s_or_b32 exec_lo, exec_lo, s17
	v_and_b32_e32 v36, 0xff, v22
	s_mov_b32 s13, 0
	s_mov_b32 s30, exec_lo
                                        ; implicit-def: $sgpr17
	s_delay_alu instid0(VALU_DEP_1)
	v_cmpx_lt_i16_e32 0x7f, v36
	s_xor_b32 s30, exec_lo, s30
	s_cbranch_execnz .LBB6_10201
; %bb.8988:                             ;   in Loop: Header=BB6_8078 Depth=3
	s_or_saveexec_b32 s30, s30
	v_mov_b32_e32 v27, s17
	s_xor_b32 exec_lo, exec_lo, s30
	s_cbranch_execnz .LBB6_10204
.LBB6_8989:                             ;   in Loop: Header=BB6_8078 Depth=3
	s_or_b32 exec_lo, exec_lo, s30
	s_and_saveexec_b32 s17, s13
	s_cbranch_execz .LBB6_8991
.LBB6_8990:                             ;   in Loop: Header=BB6_8078 Depth=3
	v_bfe_u32 v38, v22, 2, 5
	v_lshlrev_b32_e32 v39, 24, v22
	s_delay_alu instid0(VALU_DEP_2) | instskip(SKIP_1) | instid1(VALU_DEP_1)
	v_cmp_eq_u32_e32 vcc_lo, 0, v38
	v_and_b32_e32 v27, 3, v22
	v_clz_i32_u32_e32 v36, v27
	s_delay_alu instid0(VALU_DEP_1) | instskip(NEXT) | instid1(VALU_DEP_1)
	v_min_u32_e32 v36, 32, v36
	v_subrev_nc_u32_e32 v37, 29, v36
	v_sub_nc_u32_e32 v36, 30, v36
	s_delay_alu instid0(VALU_DEP_1) | instskip(NEXT) | instid1(VALU_DEP_1)
	v_dual_cndmask_b32 v36, v38, v36 :: v_dual_lshlrev_b32 v37, v37, v22
	v_and_b32_e32 v37, 3, v37
	s_delay_alu instid0(VALU_DEP_2) | instskip(NEXT) | instid1(VALU_DEP_2)
	v_lshl_add_u32 v36, v36, 23, 0x37800000
	v_cndmask_b32_e32 v27, v27, v37, vcc_lo
	v_and_b32_e32 v37, 0x80000000, v39
	s_delay_alu instid0(VALU_DEP_2) | instskip(NEXT) | instid1(VALU_DEP_1)
	v_lshlrev_b32_e32 v27, 21, v27
	v_or3_b32 v27, v37, v36, v27
.LBB6_8991:                             ;   in Loop: Header=BB6_8078 Depth=3
	s_or_b32 exec_lo, exec_lo, s17
	s_delay_alu instid0(VALU_DEP_1) | instskip(SKIP_2) | instid1(VALU_DEP_2)
	v_add_f32_e32 v26, v26, v27
	v_mov_b32_e32 v72, 0x80
	s_mov_b32 s17, exec_lo
	v_and_b32_e32 v27, 0x7f800000, v26
	s_delay_alu instid0(VALU_DEP_1)
	v_cmpx_ne_u32_e32 0x7f800000, v27
	s_cbranch_execz .LBB6_8999
; %bb.8992:                             ;   in Loop: Header=BB6_8078 Depth=3
	v_mov_b32_e32 v72, 0
	s_mov_b32 s30, exec_lo
	v_cmpx_ne_u32_e32 0, v26
	s_cbranch_execz .LBB6_8998
; %bb.8993:                             ;   in Loop: Header=BB6_8078 Depth=3
	v_bfe_u32 v27, v26, 23, 8
	s_delay_alu instid0(VALU_DEP_1) | instskip(SKIP_1) | instid1(VALU_DEP_2)
	v_sub_nc_u32_e32 v37, 0x70, v27
	v_cmp_gt_u32_e32 vcc_lo, 0x71, v27
	v_dual_cndmask_b32 v37, 0, v37 :: v_dual_and_b32 v36, 0x7fffff, v26
	s_delay_alu instid0(VALU_DEP_1) | instskip(SKIP_2) | instid1(VALU_DEP_4)
	v_or_b32_e32 v38, 0x800000, v36
	v_cmp_eq_u32_e32 vcc_lo, 0, v27
	v_add_nc_u32_e32 v27, 0xffffff91, v27
	v_cndmask_b32_e64 v37, v37, 0x6f, vcc_lo
	s_delay_alu instid0(VALU_DEP_4) | instskip(NEXT) | instid1(VALU_DEP_3)
	v_cndmask_b32_e32 v36, v38, v36, vcc_lo
	v_cndmask_b32_e64 v27, v27, 0xffffff92, vcc_lo
	s_delay_alu instid0(VALU_DEP_3) | instskip(NEXT) | instid1(VALU_DEP_3)
	v_lshl_add_u32 v38, 0x200000, v37, -1
	v_lshrrev_b32_e32 v39, v37, v36
	v_lshlrev_b32_e64 v49, v37, 0x100000
	s_delay_alu instid0(VALU_DEP_4) | instskip(NEXT) | instid1(VALU_DEP_4)
	v_add_nc_u32_e32 v37, v37, v27
	v_and_b32_e32 v36, v38, v36
	s_delay_alu instid0(VALU_DEP_4) | instskip(NEXT) | instid1(VALU_DEP_2)
	v_bfe_u32 v48, v39, 21, 1
	v_cmp_eq_u32_e64 s13, v36, v49
	s_delay_alu instid0(VALU_DEP_2) | instskip(NEXT) | instid1(VALU_DEP_1)
	v_add_nc_u32_e32 v38, -1, v48
	v_cndmask_b32_e64 v36, 0, v38, s13
	v_lshrrev_b32_e32 v38, 23, v39
	s_mov_b32 s13, exec_lo
	s_delay_alu instid0(VALU_DEP_2) | instskip(NEXT) | instid1(VALU_DEP_2)
	v_add_nc_u32_e32 v36, v36, v39
	v_xor_b32_e32 v38, 1, v38
	s_delay_alu instid0(VALU_DEP_2) | instskip(NEXT) | instid1(VALU_DEP_1)
	v_and_b32_e32 v27, 0x1fffff, v36
	v_add_nc_u32_e32 v36, v27, v39
                                        ; implicit-def: $vgpr27
	s_delay_alu instid0(VALU_DEP_3)
	v_cmpx_ne_u32_e64 v37, v38
	s_xor_b32 s13, exec_lo, s13
; %bb.8994:                             ;   in Loop: Header=BB6_8078 Depth=3
	s_delay_alu instid0(VALU_DEP_2) | instskip(SKIP_2) | instid1(VALU_DEP_2)
	v_cmp_lt_u32_e32 vcc_lo, 0xffffff, v36
	v_sub_nc_u32_e32 v27, v37, v38
	v_cndmask_b32_e64 v37, 0, 1, vcc_lo
	v_add_co_ci_u32_e32 v27, vcc_lo, 0, v27, vcc_lo
	s_delay_alu instid0(VALU_DEP_2)
	v_lshrrev_b32_e32 v36, v37, v36
; %bb.8995:                             ;   in Loop: Header=BB6_8078 Depth=3
	s_and_not1_saveexec_b32 s13, s13
; %bb.8996:                             ;   in Loop: Header=BB6_8078 Depth=3
	s_delay_alu instid0(VALU_DEP_1)
	v_bfe_u32 v27, v36, 23, 1
; %bb.8997:                             ;   in Loop: Header=BB6_8078 Depth=3
	s_or_b32 exec_lo, exec_lo, s13
	v_lshrrev_b32_e32 v36, 21, v36
	s_delay_alu instid0(VALU_DEP_2) | instskip(SKIP_2) | instid1(VALU_DEP_4)
	v_cmp_gt_i32_e32 vcc_lo, 32, v27
	v_lshrrev_b32_e32 v26, 24, v26
	v_min_i32_e32 v37, 31, v27
	v_cndmask_b32_e32 v36, 3, v36, vcc_lo
	s_delay_alu instid0(VALU_DEP_3) | instskip(NEXT) | instid1(VALU_DEP_3)
	v_and_b32_e32 v26, 0x80, v26
	v_lshlrev_b32_e32 v37, 2, v37
	s_delay_alu instid0(VALU_DEP_3) | instskip(SKIP_1) | instid1(VALU_DEP_2)
	v_and_b32_e32 v38, 3, v36
	v_or_b32_e32 v27, v27, v36
	v_or3_b32 v26, v37, v26, v38
	s_delay_alu instid0(VALU_DEP_2) | instskip(NEXT) | instid1(VALU_DEP_2)
	v_cmp_ne_u32_e32 vcc_lo, 0, v27
	v_cndmask_b32_e32 v72, 0, v26, vcc_lo
.LBB6_8998:                             ;   in Loop: Header=BB6_8078 Depth=3
	s_or_b32 exec_lo, exec_lo, s30
.LBB6_8999:                             ;   in Loop: Header=BB6_8078 Depth=3
	s_delay_alu instid0(SALU_CYCLE_1) | instskip(SKIP_3) | instid1(VALU_DEP_1)
	s_or_b32 exec_lo, exec_lo, s17
	v_and_b32_e32 v27, 0xff, v77
	s_mov_b32 s13, 0
	s_mov_b32 s30, exec_lo
                                        ; implicit-def: $sgpr17
	v_cmpx_lt_i16_e32 0x7f, v27
	s_xor_b32 s30, exec_lo, s30
	s_cbranch_execnz .LBB6_10205
; %bb.9000:                             ;   in Loop: Header=BB6_8078 Depth=3
	s_or_saveexec_b32 s30, s30
	v_mov_b32_e32 v26, s17
	s_xor_b32 exec_lo, exec_lo, s30
	s_cbranch_execnz .LBB6_10208
.LBB6_9001:                             ;   in Loop: Header=BB6_8078 Depth=3
	s_or_b32 exec_lo, exec_lo, s30
	s_and_saveexec_b32 s17, s13
	s_cbranch_execz .LBB6_9003
.LBB6_9002:                             ;   in Loop: Header=BB6_8078 Depth=3
	v_bfe_u32 v37, v77, 2, 5
	v_lshlrev_b32_e32 v38, 24, v77
	s_delay_alu instid0(VALU_DEP_2) | instskip(SKIP_1) | instid1(VALU_DEP_1)
	v_cmp_eq_u32_e32 vcc_lo, 0, v37
	v_and_b32_e32 v26, 3, v77
	v_clz_i32_u32_e32 v27, v26
	s_delay_alu instid0(VALU_DEP_1) | instskip(NEXT) | instid1(VALU_DEP_1)
	v_min_u32_e32 v27, 32, v27
	v_subrev_nc_u32_e32 v36, 29, v27
	v_sub_nc_u32_e32 v27, 30, v27
	s_delay_alu instid0(VALU_DEP_1) | instskip(NEXT) | instid1(VALU_DEP_1)
	v_dual_cndmask_b32 v27, v37, v27 :: v_dual_lshlrev_b32 v36, v36, v77
	v_and_b32_e32 v36, 3, v36
	s_delay_alu instid0(VALU_DEP_2) | instskip(NEXT) | instid1(VALU_DEP_2)
	v_lshl_add_u32 v27, v27, 23, 0x37800000
	v_cndmask_b32_e32 v26, v26, v36, vcc_lo
	v_and_b32_e32 v36, 0x80000000, v38
	s_delay_alu instid0(VALU_DEP_2) | instskip(NEXT) | instid1(VALU_DEP_1)
	v_lshlrev_b32_e32 v26, 21, v26
	v_or3_b32 v26, v36, v27, v26
.LBB6_9003:                             ;   in Loop: Header=BB6_8078 Depth=3
	s_or_b32 exec_lo, exec_lo, s17
	v_lshrrev_b16 v27, 8, v22
	s_mov_b32 s13, 0
	s_mov_b32 s30, exec_lo
                                        ; implicit-def: $sgpr17
	s_delay_alu instid0(VALU_DEP_1)
	v_cmpx_lt_i16_e32 0x7f, v27
	s_xor_b32 s30, exec_lo, s30
	s_cbranch_execnz .LBB6_10209
; %bb.9004:                             ;   in Loop: Header=BB6_8078 Depth=3
	s_or_saveexec_b32 s30, s30
	v_mov_b32_e32 v36, s17
	s_xor_b32 exec_lo, exec_lo, s30
	s_cbranch_execnz .LBB6_10212
.LBB6_9005:                             ;   in Loop: Header=BB6_8078 Depth=3
	s_or_b32 exec_lo, exec_lo, s30
	s_and_saveexec_b32 s17, s13
	s_cbranch_execz .LBB6_9007
.LBB6_9006:                             ;   in Loop: Header=BB6_8078 Depth=3
	v_and_b32_e32 v36, 0xffff, v27
	v_lshlrev_b32_e32 v27, 24, v27
	s_delay_alu instid0(VALU_DEP_2) | instskip(NEXT) | instid1(VALU_DEP_2)
	v_and_b32_e32 v37, 3, v36
	v_and_b32_e32 v27, 0x80000000, v27
	s_delay_alu instid0(VALU_DEP_2) | instskip(NEXT) | instid1(VALU_DEP_1)
	v_clz_i32_u32_e32 v38, v37
	v_min_u32_e32 v38, 32, v38
	s_delay_alu instid0(VALU_DEP_1) | instskip(SKIP_1) | instid1(VALU_DEP_2)
	v_subrev_nc_u32_e32 v39, 29, v38
	v_sub_nc_u32_e32 v38, 30, v38
	v_lshlrev_b32_e32 v39, v39, v36
	v_bfe_u32 v36, v36, 2, 5
	s_delay_alu instid0(VALU_DEP_2) | instskip(NEXT) | instid1(VALU_DEP_2)
	v_and_b32_e32 v39, 3, v39
	v_cmp_eq_u32_e32 vcc_lo, 0, v36
	s_delay_alu instid0(VALU_DEP_2) | instskip(NEXT) | instid1(VALU_DEP_1)
	v_dual_cndmask_b32 v36, v36, v38 :: v_dual_cndmask_b32 v37, v37, v39
	v_lshl_add_u32 v36, v36, 23, 0x37800000
	s_delay_alu instid0(VALU_DEP_2) | instskip(NEXT) | instid1(VALU_DEP_1)
	v_lshlrev_b32_e32 v37, 21, v37
	v_or3_b32 v36, v27, v36, v37
.LBB6_9007:                             ;   in Loop: Header=BB6_8078 Depth=3
	s_or_b32 exec_lo, exec_lo, s17
	s_delay_alu instid0(VALU_DEP_1) | instskip(SKIP_1) | instid1(VALU_DEP_1)
	v_dual_add_f32 v26, v26, v36 :: v_dual_mov_b32 v77, 0x80
	s_mov_b32 s17, exec_lo
	v_and_b32_e32 v27, 0x7f800000, v26
	s_delay_alu instid0(VALU_DEP_1)
	v_cmpx_ne_u32_e32 0x7f800000, v27
	s_cbranch_execz .LBB6_9015
; %bb.9008:                             ;   in Loop: Header=BB6_8078 Depth=3
	v_mov_b32_e32 v77, 0
	s_mov_b32 s30, exec_lo
	v_cmpx_ne_u32_e32 0, v26
	s_cbranch_execz .LBB6_9014
; %bb.9009:                             ;   in Loop: Header=BB6_8078 Depth=3
	v_bfe_u32 v27, v26, 23, 8
	s_delay_alu instid0(VALU_DEP_1) | instskip(SKIP_1) | instid1(VALU_DEP_2)
	v_sub_nc_u32_e32 v37, 0x70, v27
	v_cmp_gt_u32_e32 vcc_lo, 0x71, v27
	v_dual_cndmask_b32 v37, 0, v37 :: v_dual_and_b32 v36, 0x7fffff, v26
	s_delay_alu instid0(VALU_DEP_1) | instskip(SKIP_2) | instid1(VALU_DEP_4)
	v_or_b32_e32 v38, 0x800000, v36
	v_cmp_eq_u32_e32 vcc_lo, 0, v27
	v_add_nc_u32_e32 v27, 0xffffff91, v27
	v_cndmask_b32_e64 v37, v37, 0x6f, vcc_lo
	s_delay_alu instid0(VALU_DEP_4) | instskip(NEXT) | instid1(VALU_DEP_3)
	v_cndmask_b32_e32 v36, v38, v36, vcc_lo
	v_cndmask_b32_e64 v27, v27, 0xffffff92, vcc_lo
	s_delay_alu instid0(VALU_DEP_3) | instskip(NEXT) | instid1(VALU_DEP_3)
	v_lshl_add_u32 v38, 0x200000, v37, -1
	v_lshrrev_b32_e32 v39, v37, v36
	v_lshlrev_b32_e64 v49, v37, 0x100000
	s_delay_alu instid0(VALU_DEP_4) | instskip(NEXT) | instid1(VALU_DEP_4)
	v_add_nc_u32_e32 v37, v37, v27
	v_and_b32_e32 v36, v38, v36
	s_delay_alu instid0(VALU_DEP_4) | instskip(NEXT) | instid1(VALU_DEP_2)
	v_bfe_u32 v48, v39, 21, 1
	v_cmp_eq_u32_e64 s13, v36, v49
	s_delay_alu instid0(VALU_DEP_2) | instskip(NEXT) | instid1(VALU_DEP_1)
	v_add_nc_u32_e32 v38, -1, v48
	v_cndmask_b32_e64 v36, 0, v38, s13
	v_lshrrev_b32_e32 v38, 23, v39
	s_mov_b32 s13, exec_lo
	s_delay_alu instid0(VALU_DEP_2) | instskip(NEXT) | instid1(VALU_DEP_2)
	v_add_nc_u32_e32 v36, v36, v39
	v_xor_b32_e32 v38, 1, v38
	s_delay_alu instid0(VALU_DEP_2) | instskip(NEXT) | instid1(VALU_DEP_1)
	v_and_b32_e32 v27, 0x1fffff, v36
	v_add_nc_u32_e32 v36, v27, v39
                                        ; implicit-def: $vgpr27
	s_delay_alu instid0(VALU_DEP_3)
	v_cmpx_ne_u32_e64 v37, v38
	s_xor_b32 s13, exec_lo, s13
; %bb.9010:                             ;   in Loop: Header=BB6_8078 Depth=3
	s_delay_alu instid0(VALU_DEP_2) | instskip(SKIP_2) | instid1(VALU_DEP_2)
	v_cmp_lt_u32_e32 vcc_lo, 0xffffff, v36
	v_sub_nc_u32_e32 v27, v37, v38
	v_cndmask_b32_e64 v37, 0, 1, vcc_lo
	v_add_co_ci_u32_e32 v27, vcc_lo, 0, v27, vcc_lo
	s_delay_alu instid0(VALU_DEP_2)
	v_lshrrev_b32_e32 v36, v37, v36
; %bb.9011:                             ;   in Loop: Header=BB6_8078 Depth=3
	s_and_not1_saveexec_b32 s13, s13
; %bb.9012:                             ;   in Loop: Header=BB6_8078 Depth=3
	s_delay_alu instid0(VALU_DEP_1)
	v_bfe_u32 v27, v36, 23, 1
; %bb.9013:                             ;   in Loop: Header=BB6_8078 Depth=3
	s_or_b32 exec_lo, exec_lo, s13
	v_lshrrev_b32_e32 v36, 21, v36
	s_delay_alu instid0(VALU_DEP_2) | instskip(SKIP_2) | instid1(VALU_DEP_2)
	v_cmp_gt_i32_e32 vcc_lo, 32, v27
	v_min_i32_e32 v37, 31, v27
	v_lshrrev_b32_e32 v26, 24, v26
	v_dual_cndmask_b32 v36, 3, v36 :: v_dual_lshlrev_b32 v37, 2, v37
	s_delay_alu instid0(VALU_DEP_2) | instskip(NEXT) | instid1(VALU_DEP_2)
	v_and_b32_e32 v26, 0x80, v26
	v_or_b32_e32 v27, v27, v36
	s_delay_alu instid0(VALU_DEP_1) | instskip(SKIP_1) | instid1(VALU_DEP_1)
	v_cmp_ne_u32_e32 vcc_lo, 0, v27
	v_and_b32_e32 v38, 3, v36
	v_or3_b32 v26, v37, v26, v38
	s_delay_alu instid0(VALU_DEP_1)
	v_cndmask_b32_e32 v77, 0, v26, vcc_lo
.LBB6_9014:                             ;   in Loop: Header=BB6_8078 Depth=3
	s_or_b32 exec_lo, exec_lo, s30
.LBB6_9015:                             ;   in Loop: Header=BB6_8078 Depth=3
	s_delay_alu instid0(SALU_CYCLE_1) | instskip(SKIP_3) | instid1(VALU_DEP_1)
	s_or_b32 exec_lo, exec_lo, s17
	v_and_b32_e32 v27, 0xff, v89
	s_mov_b32 s13, 0
	s_mov_b32 s30, exec_lo
                                        ; implicit-def: $sgpr17
	v_cmpx_lt_i16_e32 0x7f, v27
	s_xor_b32 s30, exec_lo, s30
	s_cbranch_execnz .LBB6_10213
; %bb.9016:                             ;   in Loop: Header=BB6_8078 Depth=3
	s_or_saveexec_b32 s30, s30
	v_mov_b32_e32 v26, s17
	s_xor_b32 exec_lo, exec_lo, s30
	s_cbranch_execnz .LBB6_10216
.LBB6_9017:                             ;   in Loop: Header=BB6_8078 Depth=3
	s_or_b32 exec_lo, exec_lo, s30
	s_and_saveexec_b32 s17, s13
	s_cbranch_execz .LBB6_9019
.LBB6_9018:                             ;   in Loop: Header=BB6_8078 Depth=3
	v_bfe_u32 v37, v89, 2, 5
	v_lshlrev_b32_e32 v38, 24, v89
	s_delay_alu instid0(VALU_DEP_2) | instskip(SKIP_1) | instid1(VALU_DEP_1)
	v_cmp_eq_u32_e32 vcc_lo, 0, v37
	v_and_b32_e32 v26, 3, v89
	v_clz_i32_u32_e32 v27, v26
	s_delay_alu instid0(VALU_DEP_1) | instskip(NEXT) | instid1(VALU_DEP_1)
	v_min_u32_e32 v27, 32, v27
	v_subrev_nc_u32_e32 v36, 29, v27
	v_sub_nc_u32_e32 v27, 30, v27
	s_delay_alu instid0(VALU_DEP_1) | instskip(NEXT) | instid1(VALU_DEP_1)
	v_dual_cndmask_b32 v27, v37, v27 :: v_dual_lshlrev_b32 v36, v36, v89
	v_and_b32_e32 v36, 3, v36
	s_delay_alu instid0(VALU_DEP_2) | instskip(NEXT) | instid1(VALU_DEP_2)
	v_lshl_add_u32 v27, v27, 23, 0x37800000
	v_cndmask_b32_e32 v26, v26, v36, vcc_lo
	v_and_b32_e32 v36, 0x80000000, v38
	s_delay_alu instid0(VALU_DEP_2) | instskip(NEXT) | instid1(VALU_DEP_1)
	v_lshlrev_b32_e32 v26, 21, v26
	v_or3_b32 v26, v36, v27, v26
.LBB6_9019:                             ;   in Loop: Header=BB6_8078 Depth=3
	s_or_b32 exec_lo, exec_lo, s17
	v_lshrrev_b32_e32 v27, 16, v22
	s_mov_b32 s13, 0
	s_mov_b32 s30, exec_lo
                                        ; implicit-def: $sgpr17
	s_delay_alu instid0(VALU_DEP_1) | instskip(NEXT) | instid1(VALU_DEP_1)
	v_and_b32_e32 v37, 0xff, v27
	v_cmpx_lt_i16_e32 0x7f, v37
	s_xor_b32 s30, exec_lo, s30
	s_cbranch_execnz .LBB6_10217
; %bb.9020:                             ;   in Loop: Header=BB6_8078 Depth=3
	s_or_saveexec_b32 s30, s30
	v_mov_b32_e32 v36, s17
	s_xor_b32 exec_lo, exec_lo, s30
	s_cbranch_execnz .LBB6_10220
.LBB6_9021:                             ;   in Loop: Header=BB6_8078 Depth=3
	s_or_b32 exec_lo, exec_lo, s30
	s_and_saveexec_b32 s17, s13
	s_cbranch_execz .LBB6_9023
.LBB6_9022:                             ;   in Loop: Header=BB6_8078 Depth=3
	v_bfe_u32 v36, v22, 16, 2
	v_lshlrev_b32_e32 v39, 8, v22
	s_delay_alu instid0(VALU_DEP_2) | instskip(NEXT) | instid1(VALU_DEP_1)
	v_clz_i32_u32_e32 v37, v36
	v_min_u32_e32 v37, 32, v37
	s_delay_alu instid0(VALU_DEP_1) | instskip(SKIP_1) | instid1(VALU_DEP_2)
	v_subrev_nc_u32_e32 v38, 29, v37
	v_sub_nc_u32_e32 v37, 30, v37
	v_lshlrev_b32_e32 v27, v38, v27
	v_bfe_u32 v38, v22, 18, 5
	s_delay_alu instid0(VALU_DEP_2) | instskip(NEXT) | instid1(VALU_DEP_2)
	v_and_b32_e32 v27, 3, v27
	v_cmp_eq_u32_e32 vcc_lo, 0, v38
	v_cndmask_b32_e32 v37, v38, v37, vcc_lo
	s_delay_alu instid0(VALU_DEP_3) | instskip(SKIP_1) | instid1(VALU_DEP_3)
	v_cndmask_b32_e32 v27, v36, v27, vcc_lo
	v_and_b32_e32 v36, 0x80000000, v39
	v_lshl_add_u32 v37, v37, 23, 0x37800000
	s_delay_alu instid0(VALU_DEP_3) | instskip(NEXT) | instid1(VALU_DEP_1)
	v_lshlrev_b32_e32 v27, 21, v27
	v_or3_b32 v36, v36, v37, v27
.LBB6_9023:                             ;   in Loop: Header=BB6_8078 Depth=3
	s_or_b32 exec_lo, exec_lo, s17
	s_delay_alu instid0(VALU_DEP_1) | instskip(SKIP_1) | instid1(VALU_DEP_1)
	v_dual_add_f32 v26, v26, v36 :: v_dual_mov_b32 v89, 0x80
	s_mov_b32 s17, exec_lo
	v_and_b32_e32 v27, 0x7f800000, v26
	s_delay_alu instid0(VALU_DEP_1)
	v_cmpx_ne_u32_e32 0x7f800000, v27
	s_cbranch_execz .LBB6_9031
; %bb.9024:                             ;   in Loop: Header=BB6_8078 Depth=3
	v_mov_b32_e32 v89, 0
	s_mov_b32 s30, exec_lo
	v_cmpx_ne_u32_e32 0, v26
	s_cbranch_execz .LBB6_9030
; %bb.9025:                             ;   in Loop: Header=BB6_8078 Depth=3
	v_bfe_u32 v27, v26, 23, 8
	s_delay_alu instid0(VALU_DEP_1) | instskip(SKIP_1) | instid1(VALU_DEP_2)
	v_sub_nc_u32_e32 v37, 0x70, v27
	v_cmp_gt_u32_e32 vcc_lo, 0x71, v27
	v_dual_cndmask_b32 v37, 0, v37 :: v_dual_and_b32 v36, 0x7fffff, v26
	s_delay_alu instid0(VALU_DEP_1) | instskip(SKIP_2) | instid1(VALU_DEP_4)
	v_or_b32_e32 v38, 0x800000, v36
	v_cmp_eq_u32_e32 vcc_lo, 0, v27
	v_add_nc_u32_e32 v27, 0xffffff91, v27
	v_cndmask_b32_e64 v37, v37, 0x6f, vcc_lo
	s_delay_alu instid0(VALU_DEP_4) | instskip(NEXT) | instid1(VALU_DEP_3)
	v_cndmask_b32_e32 v36, v38, v36, vcc_lo
	v_cndmask_b32_e64 v27, v27, 0xffffff92, vcc_lo
	s_delay_alu instid0(VALU_DEP_3) | instskip(NEXT) | instid1(VALU_DEP_3)
	v_lshl_add_u32 v38, 0x200000, v37, -1
	v_lshrrev_b32_e32 v39, v37, v36
	v_lshlrev_b32_e64 v49, v37, 0x100000
	s_delay_alu instid0(VALU_DEP_4) | instskip(NEXT) | instid1(VALU_DEP_4)
	v_add_nc_u32_e32 v37, v37, v27
	v_and_b32_e32 v36, v38, v36
	s_delay_alu instid0(VALU_DEP_4) | instskip(NEXT) | instid1(VALU_DEP_2)
	v_bfe_u32 v48, v39, 21, 1
	v_cmp_eq_u32_e64 s13, v36, v49
	s_delay_alu instid0(VALU_DEP_2) | instskip(NEXT) | instid1(VALU_DEP_1)
	v_add_nc_u32_e32 v38, -1, v48
	v_cndmask_b32_e64 v36, 0, v38, s13
	v_lshrrev_b32_e32 v38, 23, v39
	s_mov_b32 s13, exec_lo
	s_delay_alu instid0(VALU_DEP_2) | instskip(NEXT) | instid1(VALU_DEP_2)
	v_add_nc_u32_e32 v36, v36, v39
	v_xor_b32_e32 v38, 1, v38
	s_delay_alu instid0(VALU_DEP_2) | instskip(NEXT) | instid1(VALU_DEP_1)
	v_and_b32_e32 v27, 0x1fffff, v36
	v_add_nc_u32_e32 v36, v27, v39
                                        ; implicit-def: $vgpr27
	s_delay_alu instid0(VALU_DEP_3)
	v_cmpx_ne_u32_e64 v37, v38
	s_xor_b32 s13, exec_lo, s13
; %bb.9026:                             ;   in Loop: Header=BB6_8078 Depth=3
	s_delay_alu instid0(VALU_DEP_2) | instskip(SKIP_2) | instid1(VALU_DEP_2)
	v_cmp_lt_u32_e32 vcc_lo, 0xffffff, v36
	v_sub_nc_u32_e32 v27, v37, v38
	v_cndmask_b32_e64 v37, 0, 1, vcc_lo
	v_add_co_ci_u32_e32 v27, vcc_lo, 0, v27, vcc_lo
	s_delay_alu instid0(VALU_DEP_2)
	v_lshrrev_b32_e32 v36, v37, v36
; %bb.9027:                             ;   in Loop: Header=BB6_8078 Depth=3
	s_and_not1_saveexec_b32 s13, s13
; %bb.9028:                             ;   in Loop: Header=BB6_8078 Depth=3
	s_delay_alu instid0(VALU_DEP_1)
	v_bfe_u32 v27, v36, 23, 1
; %bb.9029:                             ;   in Loop: Header=BB6_8078 Depth=3
	s_or_b32 exec_lo, exec_lo, s13
	v_lshrrev_b32_e32 v36, 21, v36
	s_delay_alu instid0(VALU_DEP_2) | instskip(SKIP_2) | instid1(VALU_DEP_2)
	v_cmp_gt_i32_e32 vcc_lo, 32, v27
	v_min_i32_e32 v37, 31, v27
	v_lshrrev_b32_e32 v26, 24, v26
	v_dual_cndmask_b32 v36, 3, v36 :: v_dual_lshlrev_b32 v37, 2, v37
	s_delay_alu instid0(VALU_DEP_2) | instskip(NEXT) | instid1(VALU_DEP_2)
	v_and_b32_e32 v26, 0x80, v26
	v_or_b32_e32 v27, v27, v36
	s_delay_alu instid0(VALU_DEP_1) | instskip(SKIP_1) | instid1(VALU_DEP_1)
	v_cmp_ne_u32_e32 vcc_lo, 0, v27
	v_and_b32_e32 v38, 3, v36
	v_or3_b32 v26, v37, v26, v38
	s_delay_alu instid0(VALU_DEP_1)
	v_cndmask_b32_e32 v89, 0, v26, vcc_lo
.LBB6_9030:                             ;   in Loop: Header=BB6_8078 Depth=3
	s_or_b32 exec_lo, exec_lo, s30
.LBB6_9031:                             ;   in Loop: Header=BB6_8078 Depth=3
	s_delay_alu instid0(SALU_CYCLE_1) | instskip(SKIP_3) | instid1(VALU_DEP_1)
	s_or_b32 exec_lo, exec_lo, s17
	v_and_b32_e32 v27, 0xff, v108
	s_mov_b32 s13, 0
	s_mov_b32 s30, exec_lo
                                        ; implicit-def: $sgpr17
	v_cmpx_lt_i16_e32 0x7f, v27
	s_xor_b32 s30, exec_lo, s30
	s_cbranch_execnz .LBB6_10221
; %bb.9032:                             ;   in Loop: Header=BB6_8078 Depth=3
	s_or_saveexec_b32 s30, s30
	v_mov_b32_e32 v26, s17
	s_xor_b32 exec_lo, exec_lo, s30
	s_cbranch_execnz .LBB6_10224
.LBB6_9033:                             ;   in Loop: Header=BB6_8078 Depth=3
	s_or_b32 exec_lo, exec_lo, s30
	s_and_saveexec_b32 s17, s13
	s_cbranch_execz .LBB6_9035
.LBB6_9034:                             ;   in Loop: Header=BB6_8078 Depth=3
	v_lshlrev_b32_e32 v26, 8, v108
	s_delay_alu instid0(VALU_DEP_1) | instskip(SKIP_1) | instid1(VALU_DEP_2)
	v_and_b32_e32 v36, 0xff00, v26
	v_bfe_u32 v26, v26, 10, 5
	v_bfe_u32 v37, v36, 8, 2
	s_delay_alu instid0(VALU_DEP_2) | instskip(SKIP_1) | instid1(VALU_DEP_3)
	v_cmp_eq_u32_e32 vcc_lo, 0, v26
	v_lshlrev_b32_e32 v36, 16, v36
	v_clz_i32_u32_e32 v38, v37
	s_delay_alu instid0(VALU_DEP_2) | instskip(NEXT) | instid1(VALU_DEP_2)
	v_and_b32_e32 v36, 0x80000000, v36
	v_min_u32_e32 v38, 32, v38
	s_delay_alu instid0(VALU_DEP_1) | instskip(SKIP_1) | instid1(VALU_DEP_1)
	v_subrev_nc_u32_e32 v39, 29, v38
	v_sub_nc_u32_e32 v38, 30, v38
	v_dual_cndmask_b32 v26, v26, v38 :: v_dual_lshlrev_b32 v27, v39, v27
	s_delay_alu instid0(VALU_DEP_1) | instskip(NEXT) | instid1(VALU_DEP_2)
	v_and_b32_e32 v27, 3, v27
	v_lshl_add_u32 v26, v26, 23, 0x37800000
	s_delay_alu instid0(VALU_DEP_2) | instskip(NEXT) | instid1(VALU_DEP_1)
	v_cndmask_b32_e32 v27, v37, v27, vcc_lo
	v_lshlrev_b32_e32 v27, 21, v27
	s_delay_alu instid0(VALU_DEP_1)
	v_or3_b32 v26, v36, v26, v27
.LBB6_9035:                             ;   in Loop: Header=BB6_8078 Depth=3
	s_or_b32 exec_lo, exec_lo, s17
	v_lshrrev_b32_e32 v27, 24, v22
	s_mov_b32 s13, 0
	s_mov_b32 s30, exec_lo
                                        ; implicit-def: $sgpr17
	s_delay_alu instid0(VALU_DEP_1)
	v_cmpx_lt_i16_e32 0x7f, v27
	s_xor_b32 s30, exec_lo, s30
	s_cbranch_execnz .LBB6_10225
; %bb.9036:                             ;   in Loop: Header=BB6_8078 Depth=3
	s_or_saveexec_b32 s30, s30
	v_mov_b32_e32 v36, s17
	s_xor_b32 exec_lo, exec_lo, s30
	s_cbranch_execnz .LBB6_10228
.LBB6_9037:                             ;   in Loop: Header=BB6_8078 Depth=3
	s_or_b32 exec_lo, exec_lo, s30
	s_and_saveexec_b32 s17, s13
	s_cbranch_execz .LBB6_9039
.LBB6_9038:                             ;   in Loop: Header=BB6_8078 Depth=3
	v_bfe_u32 v36, v22, 24, 2
	s_delay_alu instid0(VALU_DEP_1) | instskip(NEXT) | instid1(VALU_DEP_1)
	v_clz_i32_u32_e32 v37, v36
	v_min_u32_e32 v37, 32, v37
	s_delay_alu instid0(VALU_DEP_1) | instskip(SKIP_1) | instid1(VALU_DEP_2)
	v_subrev_nc_u32_e32 v38, 29, v37
	v_sub_nc_u32_e32 v37, 30, v37
	v_lshlrev_b32_e32 v27, v38, v27
	v_bfe_u32 v38, v22, 26, 5
	v_and_b32_e32 v22, 0x80000000, v22
	s_delay_alu instid0(VALU_DEP_3) | instskip(NEXT) | instid1(VALU_DEP_3)
	v_and_b32_e32 v27, 3, v27
	v_cmp_eq_u32_e32 vcc_lo, 0, v38
	v_cndmask_b32_e32 v37, v38, v37, vcc_lo
	s_delay_alu instid0(VALU_DEP_3) | instskip(NEXT) | instid1(VALU_DEP_2)
	v_cndmask_b32_e32 v27, v36, v27, vcc_lo
	v_lshl_add_u32 v36, v37, 23, 0x37800000
	s_delay_alu instid0(VALU_DEP_2) | instskip(NEXT) | instid1(VALU_DEP_1)
	v_lshlrev_b32_e32 v27, 21, v27
	v_or3_b32 v36, v22, v36, v27
.LBB6_9039:                             ;   in Loop: Header=BB6_8078 Depth=3
	s_or_b32 exec_lo, exec_lo, s17
	s_delay_alu instid0(VALU_DEP_1) | instskip(NEXT) | instid1(VALU_DEP_1)
	v_add_f32_e32 v26, v26, v36
	v_and_b32_e32 v22, 0x7f800000, v26
	s_delay_alu instid0(VALU_DEP_1)
	v_cmp_ne_u32_e32 vcc_lo, 0x7f800000, v22
	v_mov_b32_e32 v22, 0x80
	s_and_saveexec_b32 s17, vcc_lo
	s_cbranch_execz .LBB6_9047
; %bb.9040:                             ;   in Loop: Header=BB6_8078 Depth=3
	v_mov_b32_e32 v22, 0
	s_mov_b32 s30, exec_lo
	v_cmpx_ne_u32_e32 0, v26
	s_cbranch_execz .LBB6_9046
; %bb.9041:                             ;   in Loop: Header=BB6_8078 Depth=3
	v_bfe_u32 v22, v26, 23, 8
	s_delay_alu instid0(VALU_DEP_1) | instskip(SKIP_1) | instid1(VALU_DEP_2)
	v_sub_nc_u32_e32 v36, 0x70, v22
	v_cmp_gt_u32_e32 vcc_lo, 0x71, v22
	v_dual_cndmask_b32 v36, 0, v36 :: v_dual_and_b32 v27, 0x7fffff, v26
	s_delay_alu instid0(VALU_DEP_1) | instskip(SKIP_2) | instid1(VALU_DEP_4)
	v_or_b32_e32 v37, 0x800000, v27
	v_cmp_eq_u32_e32 vcc_lo, 0, v22
	v_add_nc_u32_e32 v22, 0xffffff91, v22
	v_cndmask_b32_e64 v36, v36, 0x6f, vcc_lo
	s_delay_alu instid0(VALU_DEP_4) | instskip(NEXT) | instid1(VALU_DEP_3)
	v_cndmask_b32_e32 v27, v37, v27, vcc_lo
	v_cndmask_b32_e64 v22, v22, 0xffffff92, vcc_lo
	s_delay_alu instid0(VALU_DEP_3) | instskip(NEXT) | instid1(VALU_DEP_3)
	v_lshl_add_u32 v37, 0x200000, v36, -1
	v_lshrrev_b32_e32 v38, v36, v27
	v_lshlrev_b32_e64 v48, v36, 0x100000
	s_delay_alu instid0(VALU_DEP_4) | instskip(NEXT) | instid1(VALU_DEP_4)
	v_add_nc_u32_e32 v36, v36, v22
	v_and_b32_e32 v27, v37, v27
	s_delay_alu instid0(VALU_DEP_4) | instskip(NEXT) | instid1(VALU_DEP_2)
	v_bfe_u32 v39, v38, 21, 1
	v_cmp_eq_u32_e64 s13, v27, v48
	s_delay_alu instid0(VALU_DEP_2) | instskip(NEXT) | instid1(VALU_DEP_1)
	v_add_nc_u32_e32 v37, -1, v39
	v_cndmask_b32_e64 v27, 0, v37, s13
	v_lshrrev_b32_e32 v37, 23, v38
	s_mov_b32 s13, exec_lo
	s_delay_alu instid0(VALU_DEP_2) | instskip(NEXT) | instid1(VALU_DEP_2)
	v_add_nc_u32_e32 v27, v27, v38
	v_xor_b32_e32 v37, 1, v37
	s_delay_alu instid0(VALU_DEP_2) | instskip(NEXT) | instid1(VALU_DEP_1)
	v_and_b32_e32 v22, 0x1fffff, v27
	v_add_nc_u32_e32 v27, v22, v38
                                        ; implicit-def: $vgpr22
	s_delay_alu instid0(VALU_DEP_3)
	v_cmpx_ne_u32_e64 v36, v37
	s_xor_b32 s13, exec_lo, s13
; %bb.9042:                             ;   in Loop: Header=BB6_8078 Depth=3
	s_delay_alu instid0(VALU_DEP_2) | instskip(SKIP_2) | instid1(VALU_DEP_2)
	v_cmp_lt_u32_e32 vcc_lo, 0xffffff, v27
	v_sub_nc_u32_e32 v22, v36, v37
	v_cndmask_b32_e64 v36, 0, 1, vcc_lo
	v_add_co_ci_u32_e32 v22, vcc_lo, 0, v22, vcc_lo
	s_delay_alu instid0(VALU_DEP_2)
	v_lshrrev_b32_e32 v27, v36, v27
; %bb.9043:                             ;   in Loop: Header=BB6_8078 Depth=3
	s_and_not1_saveexec_b32 s13, s13
; %bb.9044:                             ;   in Loop: Header=BB6_8078 Depth=3
	s_delay_alu instid0(VALU_DEP_1)
	v_bfe_u32 v22, v27, 23, 1
; %bb.9045:                             ;   in Loop: Header=BB6_8078 Depth=3
	s_or_b32 exec_lo, exec_lo, s13
	v_lshrrev_b32_e32 v27, 21, v27
	s_delay_alu instid0(VALU_DEP_2) | instskip(SKIP_2) | instid1(VALU_DEP_2)
	v_cmp_gt_i32_e32 vcc_lo, 32, v22
	v_lshrrev_b32_e32 v26, 24, v26
	v_min_i32_e32 v36, 31, v22
	v_dual_cndmask_b32 v27, 3, v27 :: v_dual_and_b32 v26, 0x80, v26
	s_delay_alu instid0(VALU_DEP_2) | instskip(NEXT) | instid1(VALU_DEP_2)
	v_lshlrev_b32_e32 v36, 2, v36
	v_or_b32_e32 v22, v22, v27
	s_delay_alu instid0(VALU_DEP_1) | instskip(SKIP_1) | instid1(VALU_DEP_1)
	v_cmp_ne_u32_e32 vcc_lo, 0, v22
	v_and_b32_e32 v37, 3, v27
	v_or3_b32 v26, v36, v26, v37
	s_delay_alu instid0(VALU_DEP_1)
	v_cndmask_b32_e32 v22, 0, v26, vcc_lo
.LBB6_9046:                             ;   in Loop: Header=BB6_8078 Depth=3
	s_or_b32 exec_lo, exec_lo, s30
.LBB6_9047:                             ;   in Loop: Header=BB6_8078 Depth=3
	s_delay_alu instid0(SALU_CYCLE_1) | instskip(SKIP_3) | instid1(VALU_DEP_1)
	s_or_b32 exec_lo, exec_lo, s17
	v_or_b32_e32 v26, v126, v106
	s_mov_b32 s13, 0
	s_mov_b32 s30, exec_lo
                                        ; implicit-def: $sgpr17
	v_and_b32_e32 v36, 0xff, v26
	s_delay_alu instid0(VALU_DEP_1)
	v_cmpx_lt_i16_e32 0x7f, v36
	s_xor_b32 s30, exec_lo, s30
	s_cbranch_execnz .LBB6_10229
; %bb.9048:                             ;   in Loop: Header=BB6_8078 Depth=3
	s_or_saveexec_b32 s30, s30
	v_mov_b32_e32 v27, s17
	s_xor_b32 exec_lo, exec_lo, s30
	s_cbranch_execnz .LBB6_10232
.LBB6_9049:                             ;   in Loop: Header=BB6_8078 Depth=3
	s_or_b32 exec_lo, exec_lo, s30
	s_and_saveexec_b32 s17, s13
	s_cbranch_execz .LBB6_9051
.LBB6_9050:                             ;   in Loop: Header=BB6_8078 Depth=3
	v_bfe_u32 v38, v26, 2, 5
	v_lshlrev_b32_e32 v39, 24, v26
	s_delay_alu instid0(VALU_DEP_2) | instskip(SKIP_1) | instid1(VALU_DEP_1)
	v_cmp_eq_u32_e32 vcc_lo, 0, v38
	v_and_b32_e32 v27, 3, v26
	v_clz_i32_u32_e32 v36, v27
	s_delay_alu instid0(VALU_DEP_1) | instskip(NEXT) | instid1(VALU_DEP_1)
	v_min_u32_e32 v36, 32, v36
	v_subrev_nc_u32_e32 v37, 29, v36
	v_sub_nc_u32_e32 v36, 30, v36
	s_delay_alu instid0(VALU_DEP_1) | instskip(NEXT) | instid1(VALU_DEP_1)
	v_dual_cndmask_b32 v36, v38, v36 :: v_dual_lshlrev_b32 v37, v37, v26
	v_and_b32_e32 v37, 3, v37
	s_delay_alu instid0(VALU_DEP_2) | instskip(NEXT) | instid1(VALU_DEP_2)
	v_lshl_add_u32 v36, v36, 23, 0x37800000
	v_cndmask_b32_e32 v27, v27, v37, vcc_lo
	v_and_b32_e32 v37, 0x80000000, v39
	s_delay_alu instid0(VALU_DEP_2) | instskip(NEXT) | instid1(VALU_DEP_1)
	v_lshlrev_b32_e32 v27, 21, v27
	v_or3_b32 v27, v37, v36, v27
.LBB6_9051:                             ;   in Loop: Header=BB6_8078 Depth=3
	s_or_b32 exec_lo, exec_lo, s17
	v_and_b32_e32 v37, 0xff, v23
	s_mov_b32 s13, 0
	s_mov_b32 s30, exec_lo
                                        ; implicit-def: $sgpr17
	s_delay_alu instid0(VALU_DEP_1)
	v_cmpx_lt_i16_e32 0x7f, v37
	s_xor_b32 s30, exec_lo, s30
	s_cbranch_execnz .LBB6_10233
; %bb.9052:                             ;   in Loop: Header=BB6_8078 Depth=3
	s_or_saveexec_b32 s30, s30
	v_mov_b32_e32 v36, s17
	s_xor_b32 exec_lo, exec_lo, s30
	s_cbranch_execnz .LBB6_10236
.LBB6_9053:                             ;   in Loop: Header=BB6_8078 Depth=3
	s_or_b32 exec_lo, exec_lo, s30
	s_and_saveexec_b32 s17, s13
	s_cbranch_execz .LBB6_9055
.LBB6_9054:                             ;   in Loop: Header=BB6_8078 Depth=3
	v_bfe_u32 v39, v23, 2, 5
	v_lshlrev_b32_e32 v48, 24, v23
	s_delay_alu instid0(VALU_DEP_2) | instskip(SKIP_1) | instid1(VALU_DEP_1)
	v_cmp_eq_u32_e32 vcc_lo, 0, v39
	v_and_b32_e32 v36, 3, v23
	v_clz_i32_u32_e32 v37, v36
	s_delay_alu instid0(VALU_DEP_1) | instskip(NEXT) | instid1(VALU_DEP_1)
	v_min_u32_e32 v37, 32, v37
	v_subrev_nc_u32_e32 v38, 29, v37
	v_sub_nc_u32_e32 v37, 30, v37
	s_delay_alu instid0(VALU_DEP_1) | instskip(NEXT) | instid1(VALU_DEP_1)
	v_dual_cndmask_b32 v37, v39, v37 :: v_dual_lshlrev_b32 v38, v38, v23
	v_and_b32_e32 v38, 3, v38
	s_delay_alu instid0(VALU_DEP_2) | instskip(NEXT) | instid1(VALU_DEP_2)
	v_lshl_add_u32 v37, v37, 23, 0x37800000
	v_cndmask_b32_e32 v36, v36, v38, vcc_lo
	v_and_b32_e32 v38, 0x80000000, v48
	s_delay_alu instid0(VALU_DEP_2) | instskip(NEXT) | instid1(VALU_DEP_1)
	v_lshlrev_b32_e32 v36, 21, v36
	v_or3_b32 v36, v38, v37, v36
.LBB6_9055:                             ;   in Loop: Header=BB6_8078 Depth=3
	s_or_b32 exec_lo, exec_lo, s17
	s_delay_alu instid0(VALU_DEP_1) | instskip(SKIP_1) | instid1(VALU_DEP_1)
	v_dual_add_f32 v27, v27, v36 :: v_dual_mov_b32 v106, 0x80
	s_mov_b32 s17, exec_lo
	v_and_b32_e32 v36, 0x7f800000, v27
	s_delay_alu instid0(VALU_DEP_1)
	v_cmpx_ne_u32_e32 0x7f800000, v36
	s_cbranch_execz .LBB6_9063
; %bb.9056:                             ;   in Loop: Header=BB6_8078 Depth=3
	v_mov_b32_e32 v106, 0
	s_mov_b32 s30, exec_lo
	v_cmpx_ne_u32_e32 0, v27
	s_cbranch_execz .LBB6_9062
; %bb.9057:                             ;   in Loop: Header=BB6_8078 Depth=3
	v_bfe_u32 v36, v27, 23, 8
	s_delay_alu instid0(VALU_DEP_1) | instskip(SKIP_1) | instid1(VALU_DEP_2)
	v_sub_nc_u32_e32 v38, 0x70, v36
	v_cmp_gt_u32_e32 vcc_lo, 0x71, v36
	v_dual_cndmask_b32 v38, 0, v38 :: v_dual_and_b32 v37, 0x7fffff, v27
	s_delay_alu instid0(VALU_DEP_1) | instskip(SKIP_2) | instid1(VALU_DEP_4)
	v_or_b32_e32 v39, 0x800000, v37
	v_cmp_eq_u32_e32 vcc_lo, 0, v36
	v_add_nc_u32_e32 v36, 0xffffff91, v36
	v_cndmask_b32_e64 v38, v38, 0x6f, vcc_lo
	s_delay_alu instid0(VALU_DEP_4) | instskip(NEXT) | instid1(VALU_DEP_3)
	v_cndmask_b32_e32 v37, v39, v37, vcc_lo
	v_cndmask_b32_e64 v36, v36, 0xffffff92, vcc_lo
	s_delay_alu instid0(VALU_DEP_3) | instskip(NEXT) | instid1(VALU_DEP_3)
	v_lshl_add_u32 v39, 0x200000, v38, -1
	v_lshrrev_b32_e32 v48, v38, v37
	v_lshlrev_b32_e64 v50, v38, 0x100000
	s_delay_alu instid0(VALU_DEP_4) | instskip(NEXT) | instid1(VALU_DEP_4)
	v_add_nc_u32_e32 v38, v38, v36
	v_and_b32_e32 v37, v39, v37
	s_delay_alu instid0(VALU_DEP_4) | instskip(NEXT) | instid1(VALU_DEP_2)
	v_bfe_u32 v49, v48, 21, 1
	v_cmp_eq_u32_e64 s13, v37, v50
	s_delay_alu instid0(VALU_DEP_2) | instskip(NEXT) | instid1(VALU_DEP_1)
	v_add_nc_u32_e32 v39, -1, v49
	v_cndmask_b32_e64 v37, 0, v39, s13
	v_lshrrev_b32_e32 v39, 23, v48
	s_mov_b32 s13, exec_lo
	s_delay_alu instid0(VALU_DEP_2) | instskip(NEXT) | instid1(VALU_DEP_2)
	v_add_nc_u32_e32 v37, v37, v48
	v_xor_b32_e32 v39, 1, v39
	s_delay_alu instid0(VALU_DEP_2) | instskip(NEXT) | instid1(VALU_DEP_1)
	v_and_b32_e32 v36, 0x1fffff, v37
	v_add_nc_u32_e32 v37, v36, v48
                                        ; implicit-def: $vgpr36
	s_delay_alu instid0(VALU_DEP_3)
	v_cmpx_ne_u32_e64 v38, v39
	s_xor_b32 s13, exec_lo, s13
; %bb.9058:                             ;   in Loop: Header=BB6_8078 Depth=3
	s_delay_alu instid0(VALU_DEP_2) | instskip(SKIP_2) | instid1(VALU_DEP_2)
	v_cmp_lt_u32_e32 vcc_lo, 0xffffff, v37
	v_sub_nc_u32_e32 v36, v38, v39
	v_cndmask_b32_e64 v38, 0, 1, vcc_lo
	v_add_co_ci_u32_e32 v36, vcc_lo, 0, v36, vcc_lo
	s_delay_alu instid0(VALU_DEP_2)
	v_lshrrev_b32_e32 v37, v38, v37
; %bb.9059:                             ;   in Loop: Header=BB6_8078 Depth=3
	s_and_not1_saveexec_b32 s13, s13
; %bb.9060:                             ;   in Loop: Header=BB6_8078 Depth=3
	s_delay_alu instid0(VALU_DEP_1)
	v_bfe_u32 v36, v37, 23, 1
; %bb.9061:                             ;   in Loop: Header=BB6_8078 Depth=3
	s_or_b32 exec_lo, exec_lo, s13
	v_lshrrev_b32_e32 v37, 21, v37
	s_delay_alu instid0(VALU_DEP_2) | instskip(SKIP_2) | instid1(VALU_DEP_2)
	v_cmp_gt_i32_e32 vcc_lo, 32, v36
	v_min_i32_e32 v38, 31, v36
	v_lshrrev_b32_e32 v27, 24, v27
	v_dual_cndmask_b32 v37, 3, v37 :: v_dual_lshlrev_b32 v38, 2, v38
	s_delay_alu instid0(VALU_DEP_2) | instskip(NEXT) | instid1(VALU_DEP_2)
	v_and_b32_e32 v27, 0x80, v27
	v_or_b32_e32 v36, v36, v37
	s_delay_alu instid0(VALU_DEP_1) | instskip(SKIP_1) | instid1(VALU_DEP_1)
	v_cmp_ne_u32_e32 vcc_lo, 0, v36
	v_and_b32_e32 v39, 3, v37
	v_or3_b32 v27, v38, v27, v39
	s_delay_alu instid0(VALU_DEP_1)
	v_cndmask_b32_e32 v106, 0, v27, vcc_lo
.LBB6_9062:                             ;   in Loop: Header=BB6_8078 Depth=3
	s_or_b32 exec_lo, exec_lo, s30
.LBB6_9063:                             ;   in Loop: Header=BB6_8078 Depth=3
	s_delay_alu instid0(SALU_CYCLE_1) | instskip(SKIP_3) | instid1(VALU_DEP_1)
	s_or_b32 exec_lo, exec_lo, s17
	v_lshrrev_b16 v36, 8, v26
	s_mov_b32 s13, 0
	s_mov_b32 s30, exec_lo
                                        ; implicit-def: $sgpr17
	v_cmpx_lt_i16_e32 0x7f, v36
	s_xor_b32 s30, exec_lo, s30
	s_cbranch_execnz .LBB6_10237
; %bb.9064:                             ;   in Loop: Header=BB6_8078 Depth=3
	s_or_saveexec_b32 s30, s30
	v_mov_b32_e32 v27, s17
	s_xor_b32 exec_lo, exec_lo, s30
	s_cbranch_execnz .LBB6_10240
.LBB6_9065:                             ;   in Loop: Header=BB6_8078 Depth=3
	s_or_b32 exec_lo, exec_lo, s30
	s_and_saveexec_b32 s17, s13
	s_cbranch_execz .LBB6_9067
.LBB6_9066:                             ;   in Loop: Header=BB6_8078 Depth=3
	v_and_b32_e32 v27, 0xffff, v36
	s_delay_alu instid0(VALU_DEP_1) | instskip(NEXT) | instid1(VALU_DEP_1)
	v_and_b32_e32 v37, 3, v27
	v_clz_i32_u32_e32 v38, v37
	s_delay_alu instid0(VALU_DEP_1) | instskip(NEXT) | instid1(VALU_DEP_1)
	v_min_u32_e32 v38, 32, v38
	v_subrev_nc_u32_e32 v39, 29, v38
	v_sub_nc_u32_e32 v38, 30, v38
	s_delay_alu instid0(VALU_DEP_2) | instskip(SKIP_1) | instid1(VALU_DEP_2)
	v_lshlrev_b32_e32 v39, v39, v27
	v_bfe_u32 v27, v27, 2, 5
	v_and_b32_e32 v39, 3, v39
	s_delay_alu instid0(VALU_DEP_2) | instskip(SKIP_1) | instid1(VALU_DEP_1)
	v_cmp_eq_u32_e32 vcc_lo, 0, v27
	v_dual_cndmask_b32 v27, v27, v38 :: v_dual_lshlrev_b32 v36, 24, v36
	v_dual_cndmask_b32 v37, v37, v39 :: v_dual_and_b32 v36, 0x80000000, v36
	s_delay_alu instid0(VALU_DEP_2) | instskip(NEXT) | instid1(VALU_DEP_2)
	v_lshl_add_u32 v27, v27, 23, 0x37800000
	v_lshlrev_b32_e32 v37, 21, v37
	s_delay_alu instid0(VALU_DEP_1)
	v_or3_b32 v27, v36, v27, v37
.LBB6_9067:                             ;   in Loop: Header=BB6_8078 Depth=3
	s_or_b32 exec_lo, exec_lo, s17
	v_lshrrev_b16 v36, 8, v23
	s_mov_b32 s13, 0
	s_mov_b32 s30, exec_lo
                                        ; implicit-def: $sgpr17
	s_delay_alu instid0(VALU_DEP_1)
	v_cmpx_lt_i16_e32 0x7f, v36
	s_xor_b32 s30, exec_lo, s30
	s_cbranch_execnz .LBB6_10241
; %bb.9068:                             ;   in Loop: Header=BB6_8078 Depth=3
	s_or_saveexec_b32 s30, s30
	v_mov_b32_e32 v37, s17
	s_xor_b32 exec_lo, exec_lo, s30
	s_cbranch_execnz .LBB6_10244
.LBB6_9069:                             ;   in Loop: Header=BB6_8078 Depth=3
	s_or_b32 exec_lo, exec_lo, s30
	s_and_saveexec_b32 s17, s13
	s_cbranch_execz .LBB6_9071
.LBB6_9070:                             ;   in Loop: Header=BB6_8078 Depth=3
	v_and_b32_e32 v37, 0xffff, v36
	v_lshlrev_b32_e32 v36, 24, v36
	s_delay_alu instid0(VALU_DEP_2) | instskip(NEXT) | instid1(VALU_DEP_2)
	v_and_b32_e32 v38, 3, v37
	v_and_b32_e32 v36, 0x80000000, v36
	s_delay_alu instid0(VALU_DEP_2) | instskip(NEXT) | instid1(VALU_DEP_1)
	v_clz_i32_u32_e32 v39, v38
	v_min_u32_e32 v39, 32, v39
	s_delay_alu instid0(VALU_DEP_1) | instskip(SKIP_1) | instid1(VALU_DEP_2)
	v_subrev_nc_u32_e32 v48, 29, v39
	v_sub_nc_u32_e32 v39, 30, v39
	v_lshlrev_b32_e32 v48, v48, v37
	v_bfe_u32 v37, v37, 2, 5
	s_delay_alu instid0(VALU_DEP_2) | instskip(NEXT) | instid1(VALU_DEP_2)
	v_and_b32_e32 v48, 3, v48
	v_cmp_eq_u32_e32 vcc_lo, 0, v37
	s_delay_alu instid0(VALU_DEP_2) | instskip(NEXT) | instid1(VALU_DEP_1)
	v_dual_cndmask_b32 v37, v37, v39 :: v_dual_cndmask_b32 v38, v38, v48
	v_lshl_add_u32 v37, v37, 23, 0x37800000
	s_delay_alu instid0(VALU_DEP_2) | instskip(NEXT) | instid1(VALU_DEP_1)
	v_lshlrev_b32_e32 v38, 21, v38
	v_or3_b32 v37, v36, v37, v38
.LBB6_9071:                             ;   in Loop: Header=BB6_8078 Depth=3
	s_or_b32 exec_lo, exec_lo, s17
	s_delay_alu instid0(VALU_DEP_1) | instskip(SKIP_1) | instid1(VALU_DEP_1)
	v_dual_add_f32 v27, v27, v37 :: v_dual_mov_b32 v108, 0x8000
	s_mov_b32 s17, exec_lo
	v_and_b32_e32 v36, 0x7f800000, v27
	s_delay_alu instid0(VALU_DEP_1)
	v_cmpx_ne_u32_e32 0x7f800000, v36
	s_cbranch_execz .LBB6_9079
; %bb.9072:                             ;   in Loop: Header=BB6_8078 Depth=3
	v_mov_b32_e32 v108, 0
	s_mov_b32 s30, exec_lo
	v_cmpx_ne_u32_e32 0, v27
	s_cbranch_execz .LBB6_9078
; %bb.9073:                             ;   in Loop: Header=BB6_8078 Depth=3
	v_bfe_u32 v36, v27, 23, 8
	s_delay_alu instid0(VALU_DEP_1) | instskip(SKIP_1) | instid1(VALU_DEP_2)
	v_sub_nc_u32_e32 v38, 0x70, v36
	v_cmp_gt_u32_e32 vcc_lo, 0x71, v36
	v_dual_cndmask_b32 v38, 0, v38 :: v_dual_and_b32 v37, 0x7fffff, v27
	s_delay_alu instid0(VALU_DEP_1) | instskip(SKIP_2) | instid1(VALU_DEP_4)
	v_or_b32_e32 v39, 0x800000, v37
	v_cmp_eq_u32_e32 vcc_lo, 0, v36
	v_add_nc_u32_e32 v36, 0xffffff91, v36
	v_cndmask_b32_e64 v38, v38, 0x6f, vcc_lo
	s_delay_alu instid0(VALU_DEP_4) | instskip(NEXT) | instid1(VALU_DEP_3)
	v_cndmask_b32_e32 v37, v39, v37, vcc_lo
	v_cndmask_b32_e64 v36, v36, 0xffffff92, vcc_lo
	s_delay_alu instid0(VALU_DEP_3) | instskip(NEXT) | instid1(VALU_DEP_3)
	v_lshl_add_u32 v39, 0x200000, v38, -1
	v_lshrrev_b32_e32 v48, v38, v37
	v_lshlrev_b32_e64 v50, v38, 0x100000
	s_delay_alu instid0(VALU_DEP_4) | instskip(NEXT) | instid1(VALU_DEP_4)
	v_add_nc_u32_e32 v38, v38, v36
	v_and_b32_e32 v37, v39, v37
	s_delay_alu instid0(VALU_DEP_4) | instskip(NEXT) | instid1(VALU_DEP_2)
	v_bfe_u32 v49, v48, 21, 1
	v_cmp_eq_u32_e64 s13, v37, v50
	s_delay_alu instid0(VALU_DEP_2) | instskip(NEXT) | instid1(VALU_DEP_1)
	v_add_nc_u32_e32 v39, -1, v49
	v_cndmask_b32_e64 v37, 0, v39, s13
	v_lshrrev_b32_e32 v39, 23, v48
	s_mov_b32 s13, exec_lo
	s_delay_alu instid0(VALU_DEP_2) | instskip(NEXT) | instid1(VALU_DEP_2)
	v_add_nc_u32_e32 v37, v37, v48
	v_xor_b32_e32 v39, 1, v39
	s_delay_alu instid0(VALU_DEP_2) | instskip(NEXT) | instid1(VALU_DEP_1)
	v_and_b32_e32 v36, 0x1fffff, v37
	v_add_nc_u32_e32 v37, v36, v48
                                        ; implicit-def: $vgpr36
	s_delay_alu instid0(VALU_DEP_3)
	v_cmpx_ne_u32_e64 v38, v39
	s_xor_b32 s13, exec_lo, s13
; %bb.9074:                             ;   in Loop: Header=BB6_8078 Depth=3
	s_delay_alu instid0(VALU_DEP_2) | instskip(SKIP_2) | instid1(VALU_DEP_2)
	v_cmp_lt_u32_e32 vcc_lo, 0xffffff, v37
	v_sub_nc_u32_e32 v36, v38, v39
	v_cndmask_b32_e64 v38, 0, 1, vcc_lo
	v_add_co_ci_u32_e32 v36, vcc_lo, 0, v36, vcc_lo
	s_delay_alu instid0(VALU_DEP_2)
	v_lshrrev_b32_e32 v37, v38, v37
; %bb.9075:                             ;   in Loop: Header=BB6_8078 Depth=3
	s_and_not1_saveexec_b32 s13, s13
; %bb.9076:                             ;   in Loop: Header=BB6_8078 Depth=3
	s_delay_alu instid0(VALU_DEP_1)
	v_bfe_u32 v36, v37, 23, 1
; %bb.9077:                             ;   in Loop: Header=BB6_8078 Depth=3
	s_or_b32 exec_lo, exec_lo, s13
	v_lshrrev_b32_e32 v37, 21, v37
	s_delay_alu instid0(VALU_DEP_2) | instskip(SKIP_2) | instid1(VALU_DEP_2)
	v_cmp_gt_i32_e32 vcc_lo, 32, v36
	v_min_i32_e32 v38, 31, v36
	v_lshrrev_b32_e32 v27, 24, v27
	v_dual_cndmask_b32 v37, 3, v37 :: v_dual_lshlrev_b32 v38, 2, v38
	s_delay_alu instid0(VALU_DEP_2) | instskip(NEXT) | instid1(VALU_DEP_2)
	v_and_b32_e32 v27, 0x80, v27
	v_or_b32_e32 v36, v36, v37
	s_delay_alu instid0(VALU_DEP_3) | instskip(NEXT) | instid1(VALU_DEP_2)
	v_and_b32_e32 v38, 0xfc, v38
	v_cmp_ne_u32_e32 vcc_lo, 0, v36
	v_and_b32_e32 v39, 3, v37
	s_delay_alu instid0(VALU_DEP_1) | instskip(NEXT) | instid1(VALU_DEP_1)
	v_or3_b32 v27, v27, v38, v39
	v_lshlrev_b32_e32 v27, 8, v27
	s_delay_alu instid0(VALU_DEP_1)
	v_cndmask_b32_e32 v108, 0, v27, vcc_lo
.LBB6_9078:                             ;   in Loop: Header=BB6_8078 Depth=3
	s_or_b32 exec_lo, exec_lo, s30
.LBB6_9079:                             ;   in Loop: Header=BB6_8078 Depth=3
	s_delay_alu instid0(SALU_CYCLE_1) | instskip(SKIP_3) | instid1(VALU_DEP_1)
	s_or_b32 exec_lo, exec_lo, s17
	v_or_b32_e32 v36, v125, v123
	s_mov_b32 s13, 0
	s_mov_b32 s30, exec_lo
                                        ; implicit-def: $sgpr17
	v_and_b32_e32 v37, 0xff, v36
	s_delay_alu instid0(VALU_DEP_1)
	v_cmpx_lt_i16_e32 0x7f, v37
	s_xor_b32 s30, exec_lo, s30
	s_cbranch_execnz .LBB6_10245
; %bb.9080:                             ;   in Loop: Header=BB6_8078 Depth=3
	s_or_saveexec_b32 s30, s30
	v_mov_b32_e32 v27, s17
	s_xor_b32 exec_lo, exec_lo, s30
	s_cbranch_execnz .LBB6_10248
.LBB6_9081:                             ;   in Loop: Header=BB6_8078 Depth=3
	s_or_b32 exec_lo, exec_lo, s30
	v_lshl_or_b32 v26, v36, 16, v26
	s_and_saveexec_b32 s17, s13
	s_cbranch_execz .LBB6_9083
.LBB6_9082:                             ;   in Loop: Header=BB6_8078 Depth=3
	s_delay_alu instid0(VALU_DEP_1) | instskip(SKIP_2) | instid1(VALU_DEP_3)
	v_bfe_u32 v27, v26, 16, 2
	v_lshrrev_b32_e32 v37, 16, v26
	v_lshlrev_b32_e32 v39, 8, v26
	v_clz_i32_u32_e32 v36, v27
	s_delay_alu instid0(VALU_DEP_1) | instskip(NEXT) | instid1(VALU_DEP_1)
	v_min_u32_e32 v36, 32, v36
	v_subrev_nc_u32_e32 v38, 29, v36
	v_sub_nc_u32_e32 v36, 30, v36
	s_delay_alu instid0(VALU_DEP_2) | instskip(SKIP_1) | instid1(VALU_DEP_1)
	v_lshlrev_b32_e32 v37, v38, v37
	v_bfe_u32 v38, v26, 18, 5
	v_cmp_eq_u32_e32 vcc_lo, 0, v38
	s_delay_alu instid0(VALU_DEP_3) | instskip(NEXT) | instid1(VALU_DEP_1)
	v_dual_cndmask_b32 v36, v38, v36 :: v_dual_and_b32 v37, 3, v37
	v_cndmask_b32_e32 v27, v27, v37, vcc_lo
	v_and_b32_e32 v37, 0x80000000, v39
	s_delay_alu instid0(VALU_DEP_3) | instskip(NEXT) | instid1(VALU_DEP_3)
	v_lshl_add_u32 v36, v36, 23, 0x37800000
	v_lshlrev_b32_e32 v27, 21, v27
	s_delay_alu instid0(VALU_DEP_1)
	v_or3_b32 v27, v37, v36, v27
.LBB6_9083:                             ;   in Loop: Header=BB6_8078 Depth=3
	s_or_b32 exec_lo, exec_lo, s17
	v_lshrrev_b32_e32 v36, 16, v23
	s_mov_b32 s13, 0
	s_mov_b32 s30, exec_lo
                                        ; implicit-def: $sgpr17
	s_delay_alu instid0(VALU_DEP_1) | instskip(NEXT) | instid1(VALU_DEP_1)
	v_and_b32_e32 v38, 0xff, v36
	v_cmpx_lt_i16_e32 0x7f, v38
	s_xor_b32 s30, exec_lo, s30
	s_cbranch_execnz .LBB6_10249
; %bb.9084:                             ;   in Loop: Header=BB6_8078 Depth=3
	s_or_saveexec_b32 s30, s30
	v_mov_b32_e32 v37, s17
	s_xor_b32 exec_lo, exec_lo, s30
	s_cbranch_execnz .LBB6_10252
.LBB6_9085:                             ;   in Loop: Header=BB6_8078 Depth=3
	s_or_b32 exec_lo, exec_lo, s30
	s_and_saveexec_b32 s17, s13
	s_cbranch_execz .LBB6_9087
.LBB6_9086:                             ;   in Loop: Header=BB6_8078 Depth=3
	v_bfe_u32 v37, v23, 16, 2
	v_lshlrev_b32_e32 v48, 8, v23
	s_delay_alu instid0(VALU_DEP_2) | instskip(NEXT) | instid1(VALU_DEP_1)
	v_clz_i32_u32_e32 v38, v37
	v_min_u32_e32 v38, 32, v38
	s_delay_alu instid0(VALU_DEP_1) | instskip(SKIP_1) | instid1(VALU_DEP_2)
	v_subrev_nc_u32_e32 v39, 29, v38
	v_sub_nc_u32_e32 v38, 30, v38
	v_lshlrev_b32_e32 v36, v39, v36
	v_bfe_u32 v39, v23, 18, 5
	s_delay_alu instid0(VALU_DEP_2) | instskip(NEXT) | instid1(VALU_DEP_2)
	v_and_b32_e32 v36, 3, v36
	v_cmp_eq_u32_e32 vcc_lo, 0, v39
	v_cndmask_b32_e32 v38, v39, v38, vcc_lo
	s_delay_alu instid0(VALU_DEP_3) | instskip(SKIP_1) | instid1(VALU_DEP_3)
	v_cndmask_b32_e32 v36, v37, v36, vcc_lo
	v_and_b32_e32 v37, 0x80000000, v48
	v_lshl_add_u32 v38, v38, 23, 0x37800000
	s_delay_alu instid0(VALU_DEP_3) | instskip(NEXT) | instid1(VALU_DEP_1)
	v_lshlrev_b32_e32 v36, 21, v36
	v_or3_b32 v37, v37, v38, v36
.LBB6_9087:                             ;   in Loop: Header=BB6_8078 Depth=3
	s_or_b32 exec_lo, exec_lo, s17
	s_delay_alu instid0(VALU_DEP_1) | instskip(SKIP_2) | instid1(VALU_DEP_2)
	v_add_f32_e32 v27, v27, v37
	v_mov_b32_e32 v123, 0x80
	s_mov_b32 s17, exec_lo
	v_and_b32_e32 v36, 0x7f800000, v27
	s_delay_alu instid0(VALU_DEP_1)
	v_cmpx_ne_u32_e32 0x7f800000, v36
	s_cbranch_execz .LBB6_9095
; %bb.9088:                             ;   in Loop: Header=BB6_8078 Depth=3
	v_mov_b32_e32 v123, 0
	s_mov_b32 s30, exec_lo
	v_cmpx_ne_u32_e32 0, v27
	s_cbranch_execz .LBB6_9094
; %bb.9089:                             ;   in Loop: Header=BB6_8078 Depth=3
	v_bfe_u32 v36, v27, 23, 8
	s_delay_alu instid0(VALU_DEP_1) | instskip(SKIP_1) | instid1(VALU_DEP_2)
	v_sub_nc_u32_e32 v38, 0x70, v36
	v_cmp_gt_u32_e32 vcc_lo, 0x71, v36
	v_dual_cndmask_b32 v38, 0, v38 :: v_dual_and_b32 v37, 0x7fffff, v27
	s_delay_alu instid0(VALU_DEP_1) | instskip(SKIP_2) | instid1(VALU_DEP_4)
	v_or_b32_e32 v39, 0x800000, v37
	v_cmp_eq_u32_e32 vcc_lo, 0, v36
	v_add_nc_u32_e32 v36, 0xffffff91, v36
	v_cndmask_b32_e64 v38, v38, 0x6f, vcc_lo
	s_delay_alu instid0(VALU_DEP_4) | instskip(NEXT) | instid1(VALU_DEP_3)
	v_cndmask_b32_e32 v37, v39, v37, vcc_lo
	v_cndmask_b32_e64 v36, v36, 0xffffff92, vcc_lo
	s_delay_alu instid0(VALU_DEP_3) | instskip(NEXT) | instid1(VALU_DEP_3)
	v_lshl_add_u32 v39, 0x200000, v38, -1
	v_lshrrev_b32_e32 v48, v38, v37
	v_lshlrev_b32_e64 v50, v38, 0x100000
	s_delay_alu instid0(VALU_DEP_4) | instskip(NEXT) | instid1(VALU_DEP_4)
	v_add_nc_u32_e32 v38, v38, v36
	v_and_b32_e32 v37, v39, v37
	s_delay_alu instid0(VALU_DEP_4) | instskip(NEXT) | instid1(VALU_DEP_2)
	v_bfe_u32 v49, v48, 21, 1
	v_cmp_eq_u32_e64 s13, v37, v50
	s_delay_alu instid0(VALU_DEP_2) | instskip(NEXT) | instid1(VALU_DEP_1)
	v_add_nc_u32_e32 v39, -1, v49
	v_cndmask_b32_e64 v37, 0, v39, s13
	v_lshrrev_b32_e32 v39, 23, v48
	s_mov_b32 s13, exec_lo
	s_delay_alu instid0(VALU_DEP_2) | instskip(NEXT) | instid1(VALU_DEP_2)
	v_add_nc_u32_e32 v37, v37, v48
	v_xor_b32_e32 v39, 1, v39
	s_delay_alu instid0(VALU_DEP_2) | instskip(NEXT) | instid1(VALU_DEP_1)
	v_and_b32_e32 v36, 0x1fffff, v37
	v_add_nc_u32_e32 v37, v36, v48
                                        ; implicit-def: $vgpr36
	s_delay_alu instid0(VALU_DEP_3)
	v_cmpx_ne_u32_e64 v38, v39
	s_xor_b32 s13, exec_lo, s13
; %bb.9090:                             ;   in Loop: Header=BB6_8078 Depth=3
	s_delay_alu instid0(VALU_DEP_2) | instskip(SKIP_2) | instid1(VALU_DEP_2)
	v_cmp_lt_u32_e32 vcc_lo, 0xffffff, v37
	v_sub_nc_u32_e32 v36, v38, v39
	v_cndmask_b32_e64 v38, 0, 1, vcc_lo
	v_add_co_ci_u32_e32 v36, vcc_lo, 0, v36, vcc_lo
	s_delay_alu instid0(VALU_DEP_2)
	v_lshrrev_b32_e32 v37, v38, v37
; %bb.9091:                             ;   in Loop: Header=BB6_8078 Depth=3
	s_and_not1_saveexec_b32 s13, s13
; %bb.9092:                             ;   in Loop: Header=BB6_8078 Depth=3
	s_delay_alu instid0(VALU_DEP_1)
	v_bfe_u32 v36, v37, 23, 1
; %bb.9093:                             ;   in Loop: Header=BB6_8078 Depth=3
	s_or_b32 exec_lo, exec_lo, s13
	v_lshrrev_b32_e32 v37, 21, v37
	s_delay_alu instid0(VALU_DEP_2) | instskip(SKIP_2) | instid1(VALU_DEP_2)
	v_cmp_gt_i32_e32 vcc_lo, 32, v36
	v_min_i32_e32 v38, 31, v36
	v_lshrrev_b32_e32 v27, 24, v27
	v_dual_cndmask_b32 v37, 3, v37 :: v_dual_lshlrev_b32 v38, 2, v38
	s_delay_alu instid0(VALU_DEP_2) | instskip(NEXT) | instid1(VALU_DEP_2)
	v_and_b32_e32 v27, 0x80, v27
	v_or_b32_e32 v36, v36, v37
	v_and_b32_e32 v39, 3, v37
	s_delay_alu instid0(VALU_DEP_2) | instskip(SKIP_1) | instid1(VALU_DEP_1)
	v_cmp_ne_u32_e32 vcc_lo, 0, v36
	v_and_b32_e32 v38, 0xfc, v38
	v_or3_b32 v27, v38, v27, v39
	s_delay_alu instid0(VALU_DEP_1)
	v_cndmask_b32_e32 v123, 0, v27, vcc_lo
.LBB6_9094:                             ;   in Loop: Header=BB6_8078 Depth=3
	s_or_b32 exec_lo, exec_lo, s30
.LBB6_9095:                             ;   in Loop: Header=BB6_8078 Depth=3
	s_delay_alu instid0(SALU_CYCLE_1) | instskip(SKIP_3) | instid1(VALU_DEP_1)
	s_or_b32 exec_lo, exec_lo, s17
	v_lshrrev_b32_e32 v36, 24, v26
	s_mov_b32 s13, 0
	s_mov_b32 s30, exec_lo
                                        ; implicit-def: $sgpr17
	v_cmpx_lt_i16_e32 0x7f, v36
	s_xor_b32 s30, exec_lo, s30
	s_cbranch_execnz .LBB6_10253
; %bb.9096:                             ;   in Loop: Header=BB6_8078 Depth=3
	s_or_saveexec_b32 s30, s30
	v_mov_b32_e32 v27, s17
	s_xor_b32 exec_lo, exec_lo, s30
	s_cbranch_execnz .LBB6_10256
.LBB6_9097:                             ;   in Loop: Header=BB6_8078 Depth=3
	s_or_b32 exec_lo, exec_lo, s30
	s_and_saveexec_b32 s17, s13
	s_cbranch_execz .LBB6_9099
.LBB6_9098:                             ;   in Loop: Header=BB6_8078 Depth=3
	v_bfe_u32 v27, v26, 24, 2
	s_delay_alu instid0(VALU_DEP_1) | instskip(NEXT) | instid1(VALU_DEP_1)
	v_clz_i32_u32_e32 v37, v27
	v_min_u32_e32 v37, 32, v37
	s_delay_alu instid0(VALU_DEP_1) | instskip(SKIP_1) | instid1(VALU_DEP_2)
	v_subrev_nc_u32_e32 v38, 29, v37
	v_sub_nc_u32_e32 v37, 30, v37
	v_lshlrev_b32_e32 v36, v38, v36
	v_bfe_u32 v38, v26, 26, 5
	v_and_b32_e32 v26, 0x80000000, v26
	s_delay_alu instid0(VALU_DEP_2) | instskip(NEXT) | instid1(VALU_DEP_4)
	v_cmp_eq_u32_e32 vcc_lo, 0, v38
	v_dual_cndmask_b32 v37, v38, v37 :: v_dual_and_b32 v36, 3, v36
	s_delay_alu instid0(VALU_DEP_1) | instskip(NEXT) | instid1(VALU_DEP_2)
	v_cndmask_b32_e32 v27, v27, v36, vcc_lo
	v_lshl_add_u32 v36, v37, 23, 0x37800000
	s_delay_alu instid0(VALU_DEP_2) | instskip(NEXT) | instid1(VALU_DEP_1)
	v_lshlrev_b32_e32 v27, 21, v27
	v_or3_b32 v27, v26, v36, v27
.LBB6_9099:                             ;   in Loop: Header=BB6_8078 Depth=3
	s_or_b32 exec_lo, exec_lo, s17
	v_lshrrev_b32_e32 v26, 24, v23
	s_mov_b32 s13, 0
	s_mov_b32 s30, exec_lo
                                        ; implicit-def: $sgpr17
	s_delay_alu instid0(VALU_DEP_1)
	v_cmpx_lt_i16_e32 0x7f, v26
	s_xor_b32 s30, exec_lo, s30
	s_cbranch_execnz .LBB6_10257
; %bb.9100:                             ;   in Loop: Header=BB6_8078 Depth=3
	s_or_saveexec_b32 s30, s30
	v_mov_b32_e32 v36, s17
	s_xor_b32 exec_lo, exec_lo, s30
	s_cbranch_execnz .LBB6_10260
.LBB6_9101:                             ;   in Loop: Header=BB6_8078 Depth=3
	s_or_b32 exec_lo, exec_lo, s30
	s_and_saveexec_b32 s17, s13
	s_cbranch_execz .LBB6_9103
.LBB6_9102:                             ;   in Loop: Header=BB6_8078 Depth=3
	v_bfe_u32 v36, v23, 24, 2
	s_delay_alu instid0(VALU_DEP_1) | instskip(NEXT) | instid1(VALU_DEP_1)
	v_clz_i32_u32_e32 v37, v36
	v_min_u32_e32 v37, 32, v37
	s_delay_alu instid0(VALU_DEP_1) | instskip(SKIP_1) | instid1(VALU_DEP_2)
	v_subrev_nc_u32_e32 v38, 29, v37
	v_sub_nc_u32_e32 v37, 30, v37
	v_lshlrev_b32_e32 v26, v38, v26
	v_bfe_u32 v38, v23, 26, 5
	v_and_b32_e32 v23, 0x80000000, v23
	s_delay_alu instid0(VALU_DEP_2) | instskip(NEXT) | instid1(VALU_DEP_4)
	v_cmp_eq_u32_e32 vcc_lo, 0, v38
	v_dual_cndmask_b32 v37, v38, v37 :: v_dual_and_b32 v26, 3, v26
	s_delay_alu instid0(VALU_DEP_1) | instskip(NEXT) | instid1(VALU_DEP_2)
	v_cndmask_b32_e32 v26, v36, v26, vcc_lo
	v_lshl_add_u32 v36, v37, 23, 0x37800000
	s_delay_alu instid0(VALU_DEP_2) | instskip(NEXT) | instid1(VALU_DEP_1)
	v_lshlrev_b32_e32 v26, 21, v26
	v_or3_b32 v36, v23, v36, v26
.LBB6_9103:                             ;   in Loop: Header=BB6_8078 Depth=3
	s_or_b32 exec_lo, exec_lo, s17
	s_delay_alu instid0(VALU_DEP_1) | instskip(NEXT) | instid1(VALU_DEP_1)
	v_add_f32_e32 v26, v27, v36
	v_and_b32_e32 v23, 0x7f800000, v26
	s_delay_alu instid0(VALU_DEP_1)
	v_cmp_ne_u32_e32 vcc_lo, 0x7f800000, v23
	v_mov_b32_e32 v23, 0x8000
	s_and_saveexec_b32 s17, vcc_lo
	s_cbranch_execz .LBB6_9111
; %bb.9104:                             ;   in Loop: Header=BB6_8078 Depth=3
	v_mov_b32_e32 v23, 0
	s_mov_b32 s30, exec_lo
	v_cmpx_ne_u32_e32 0, v26
	s_cbranch_execz .LBB6_9110
; %bb.9105:                             ;   in Loop: Header=BB6_8078 Depth=3
	v_bfe_u32 v23, v26, 23, 8
	s_delay_alu instid0(VALU_DEP_1) | instskip(SKIP_1) | instid1(VALU_DEP_2)
	v_sub_nc_u32_e32 v36, 0x70, v23
	v_cmp_gt_u32_e32 vcc_lo, 0x71, v23
	v_dual_cndmask_b32 v36, 0, v36 :: v_dual_and_b32 v27, 0x7fffff, v26
	s_delay_alu instid0(VALU_DEP_1) | instskip(SKIP_2) | instid1(VALU_DEP_4)
	v_or_b32_e32 v37, 0x800000, v27
	v_cmp_eq_u32_e32 vcc_lo, 0, v23
	v_add_nc_u32_e32 v23, 0xffffff91, v23
	v_cndmask_b32_e64 v36, v36, 0x6f, vcc_lo
	s_delay_alu instid0(VALU_DEP_4) | instskip(NEXT) | instid1(VALU_DEP_3)
	v_cndmask_b32_e32 v27, v37, v27, vcc_lo
	v_cndmask_b32_e64 v23, v23, 0xffffff92, vcc_lo
	s_delay_alu instid0(VALU_DEP_3) | instskip(NEXT) | instid1(VALU_DEP_3)
	v_lshl_add_u32 v37, 0x200000, v36, -1
	v_lshrrev_b32_e32 v38, v36, v27
	v_lshlrev_b32_e64 v48, v36, 0x100000
	s_delay_alu instid0(VALU_DEP_4) | instskip(NEXT) | instid1(VALU_DEP_4)
	v_add_nc_u32_e32 v36, v36, v23
	v_and_b32_e32 v27, v37, v27
	s_delay_alu instid0(VALU_DEP_4) | instskip(NEXT) | instid1(VALU_DEP_2)
	v_bfe_u32 v39, v38, 21, 1
	v_cmp_eq_u32_e64 s13, v27, v48
	s_delay_alu instid0(VALU_DEP_2) | instskip(NEXT) | instid1(VALU_DEP_1)
	v_add_nc_u32_e32 v37, -1, v39
	v_cndmask_b32_e64 v27, 0, v37, s13
	v_lshrrev_b32_e32 v37, 23, v38
	s_mov_b32 s13, exec_lo
	s_delay_alu instid0(VALU_DEP_2) | instskip(NEXT) | instid1(VALU_DEP_2)
	v_add_nc_u32_e32 v27, v27, v38
	v_xor_b32_e32 v37, 1, v37
	s_delay_alu instid0(VALU_DEP_2) | instskip(NEXT) | instid1(VALU_DEP_1)
	v_and_b32_e32 v23, 0x1fffff, v27
	v_add_nc_u32_e32 v27, v23, v38
                                        ; implicit-def: $vgpr23
	s_delay_alu instid0(VALU_DEP_3)
	v_cmpx_ne_u32_e64 v36, v37
	s_xor_b32 s13, exec_lo, s13
; %bb.9106:                             ;   in Loop: Header=BB6_8078 Depth=3
	s_delay_alu instid0(VALU_DEP_2) | instskip(SKIP_2) | instid1(VALU_DEP_2)
	v_cmp_lt_u32_e32 vcc_lo, 0xffffff, v27
	v_sub_nc_u32_e32 v23, v36, v37
	v_cndmask_b32_e64 v36, 0, 1, vcc_lo
	v_add_co_ci_u32_e32 v23, vcc_lo, 0, v23, vcc_lo
	s_delay_alu instid0(VALU_DEP_2)
	v_lshrrev_b32_e32 v27, v36, v27
; %bb.9107:                             ;   in Loop: Header=BB6_8078 Depth=3
	s_and_not1_saveexec_b32 s13, s13
; %bb.9108:                             ;   in Loop: Header=BB6_8078 Depth=3
	s_delay_alu instid0(VALU_DEP_1)
	v_bfe_u32 v23, v27, 23, 1
; %bb.9109:                             ;   in Loop: Header=BB6_8078 Depth=3
	s_or_b32 exec_lo, exec_lo, s13
	v_lshrrev_b32_e32 v27, 21, v27
	s_delay_alu instid0(VALU_DEP_2) | instskip(SKIP_2) | instid1(VALU_DEP_2)
	v_cmp_gt_i32_e32 vcc_lo, 32, v23
	v_min_i32_e32 v36, 31, v23
	v_lshrrev_b32_e32 v26, 24, v26
	v_dual_cndmask_b32 v27, 3, v27 :: v_dual_lshlrev_b32 v36, 2, v36
	s_delay_alu instid0(VALU_DEP_2) | instskip(NEXT) | instid1(VALU_DEP_2)
	v_and_b32_e32 v26, 0x80, v26
	v_or_b32_e32 v23, v23, v27
	v_and_b32_e32 v37, 3, v27
	s_delay_alu instid0(VALU_DEP_2) | instskip(SKIP_1) | instid1(VALU_DEP_1)
	v_cmp_ne_u32_e32 vcc_lo, 0, v23
	v_and_b32_e32 v36, 0xfc, v36
	v_or3_b32 v26, v26, v36, v37
	s_delay_alu instid0(VALU_DEP_1) | instskip(NEXT) | instid1(VALU_DEP_1)
	v_lshlrev_b32_e32 v26, 8, v26
	v_cndmask_b32_e32 v23, 0, v26, vcc_lo
.LBB6_9110:                             ;   in Loop: Header=BB6_8078 Depth=3
	s_or_b32 exec_lo, exec_lo, s30
.LBB6_9111:                             ;   in Loop: Header=BB6_8078 Depth=3
	s_delay_alu instid0(SALU_CYCLE_1) | instskip(SKIP_3) | instid1(VALU_DEP_1)
	s_or_b32 exec_lo, exec_lo, s17
	v_and_b32_e32 v27, 0xff, v124
	s_mov_b32 s13, 0
	s_mov_b32 s30, exec_lo
                                        ; implicit-def: $sgpr17
	v_cmpx_lt_i16_e32 0x7f, v27
	s_xor_b32 s30, exec_lo, s30
	s_cbranch_execnz .LBB6_10261
; %bb.9112:                             ;   in Loop: Header=BB6_8078 Depth=3
	s_or_saveexec_b32 s30, s30
	v_mov_b32_e32 v26, s17
	s_xor_b32 exec_lo, exec_lo, s30
	s_cbranch_execnz .LBB6_10264
.LBB6_9113:                             ;   in Loop: Header=BB6_8078 Depth=3
	s_or_b32 exec_lo, exec_lo, s30
	s_and_saveexec_b32 s17, s13
	s_cbranch_execz .LBB6_9115
.LBB6_9114:                             ;   in Loop: Header=BB6_8078 Depth=3
	v_bfe_u32 v37, v124, 2, 5
	v_lshlrev_b32_e32 v38, 24, v124
	s_delay_alu instid0(VALU_DEP_2) | instskip(SKIP_1) | instid1(VALU_DEP_1)
	v_cmp_eq_u32_e32 vcc_lo, 0, v37
	v_and_b32_e32 v26, 3, v124
	v_clz_i32_u32_e32 v27, v26
	s_delay_alu instid0(VALU_DEP_1) | instskip(NEXT) | instid1(VALU_DEP_1)
	v_min_u32_e32 v27, 32, v27
	v_subrev_nc_u32_e32 v36, 29, v27
	v_sub_nc_u32_e32 v27, 30, v27
	s_delay_alu instid0(VALU_DEP_1) | instskip(NEXT) | instid1(VALU_DEP_1)
	v_dual_cndmask_b32 v27, v37, v27 :: v_dual_lshlrev_b32 v36, v36, v124
	v_and_b32_e32 v36, 3, v36
	s_delay_alu instid0(VALU_DEP_2) | instskip(NEXT) | instid1(VALU_DEP_2)
	v_lshl_add_u32 v27, v27, 23, 0x37800000
	v_cndmask_b32_e32 v26, v26, v36, vcc_lo
	v_and_b32_e32 v36, 0x80000000, v38
	s_delay_alu instid0(VALU_DEP_2) | instskip(NEXT) | instid1(VALU_DEP_1)
	v_lshlrev_b32_e32 v26, 21, v26
	v_or3_b32 v26, v36, v27, v26
.LBB6_9115:                             ;   in Loop: Header=BB6_8078 Depth=3
	s_or_b32 exec_lo, exec_lo, s17
	s_waitcnt vmcnt(2)
	v_and_b32_e32 v36, 0xff, v16
	s_mov_b32 s13, 0
	s_mov_b32 s30, exec_lo
                                        ; implicit-def: $sgpr17
	s_delay_alu instid0(VALU_DEP_1)
	v_cmpx_lt_i16_e32 0x7f, v36
	s_xor_b32 s30, exec_lo, s30
	s_cbranch_execnz .LBB6_10265
; %bb.9116:                             ;   in Loop: Header=BB6_8078 Depth=3
	s_or_saveexec_b32 s30, s30
	v_mov_b32_e32 v27, s17
	s_xor_b32 exec_lo, exec_lo, s30
	s_cbranch_execnz .LBB6_10268
.LBB6_9117:                             ;   in Loop: Header=BB6_8078 Depth=3
	s_or_b32 exec_lo, exec_lo, s30
	s_and_saveexec_b32 s17, s13
	s_cbranch_execz .LBB6_9119
.LBB6_9118:                             ;   in Loop: Header=BB6_8078 Depth=3
	v_and_b32_e32 v27, 3, v16
	v_bfe_u32 v38, v16, 2, 5
	v_lshlrev_b32_e32 v39, 24, v16
	s_delay_alu instid0(VALU_DEP_3) | instskip(NEXT) | instid1(VALU_DEP_3)
	v_clz_i32_u32_e32 v36, v27
	v_cmp_eq_u32_e32 vcc_lo, 0, v38
	s_delay_alu instid0(VALU_DEP_2) | instskip(NEXT) | instid1(VALU_DEP_1)
	v_min_u32_e32 v36, 32, v36
	v_subrev_nc_u32_e32 v37, 29, v36
	v_sub_nc_u32_e32 v36, 30, v36
	s_delay_alu instid0(VALU_DEP_2) | instskip(NEXT) | instid1(VALU_DEP_1)
	v_lshlrev_b32_e32 v37, v37, v16
	v_dual_cndmask_b32 v36, v38, v36 :: v_dual_and_b32 v37, 3, v37
	s_delay_alu instid0(VALU_DEP_1) | instskip(NEXT) | instid1(VALU_DEP_2)
	v_lshl_add_u32 v36, v36, 23, 0x37800000
	v_cndmask_b32_e32 v27, v27, v37, vcc_lo
	v_and_b32_e32 v37, 0x80000000, v39
	s_delay_alu instid0(VALU_DEP_2) | instskip(NEXT) | instid1(VALU_DEP_1)
	v_lshlrev_b32_e32 v27, 21, v27
	v_or3_b32 v27, v37, v36, v27
.LBB6_9119:                             ;   in Loop: Header=BB6_8078 Depth=3
	s_or_b32 exec_lo, exec_lo, s17
	s_delay_alu instid0(VALU_DEP_1) | instskip(SKIP_2) | instid1(VALU_DEP_2)
	v_add_f32_e32 v26, v26, v27
	v_mov_b32_e32 v124, 0x80
	s_mov_b32 s17, exec_lo
	v_and_b32_e32 v27, 0x7f800000, v26
	s_delay_alu instid0(VALU_DEP_1)
	v_cmpx_ne_u32_e32 0x7f800000, v27
	s_cbranch_execz .LBB6_9127
; %bb.9120:                             ;   in Loop: Header=BB6_8078 Depth=3
	v_mov_b32_e32 v124, 0
	s_mov_b32 s30, exec_lo
	v_cmpx_ne_u32_e32 0, v26
	s_cbranch_execz .LBB6_9126
; %bb.9121:                             ;   in Loop: Header=BB6_8078 Depth=3
	v_bfe_u32 v27, v26, 23, 8
	s_delay_alu instid0(VALU_DEP_1) | instskip(SKIP_1) | instid1(VALU_DEP_2)
	v_sub_nc_u32_e32 v37, 0x70, v27
	v_cmp_gt_u32_e32 vcc_lo, 0x71, v27
	v_dual_cndmask_b32 v37, 0, v37 :: v_dual_and_b32 v36, 0x7fffff, v26
	s_delay_alu instid0(VALU_DEP_1) | instskip(SKIP_2) | instid1(VALU_DEP_4)
	v_or_b32_e32 v38, 0x800000, v36
	v_cmp_eq_u32_e32 vcc_lo, 0, v27
	v_add_nc_u32_e32 v27, 0xffffff91, v27
	v_cndmask_b32_e64 v37, v37, 0x6f, vcc_lo
	s_delay_alu instid0(VALU_DEP_4) | instskip(NEXT) | instid1(VALU_DEP_3)
	v_cndmask_b32_e32 v36, v38, v36, vcc_lo
	v_cndmask_b32_e64 v27, v27, 0xffffff92, vcc_lo
	s_delay_alu instid0(VALU_DEP_3) | instskip(NEXT) | instid1(VALU_DEP_3)
	v_lshl_add_u32 v38, 0x200000, v37, -1
	v_lshrrev_b32_e32 v39, v37, v36
	v_lshlrev_b32_e64 v49, v37, 0x100000
	s_delay_alu instid0(VALU_DEP_4) | instskip(NEXT) | instid1(VALU_DEP_4)
	v_add_nc_u32_e32 v37, v37, v27
	v_and_b32_e32 v36, v38, v36
	s_delay_alu instid0(VALU_DEP_4) | instskip(NEXT) | instid1(VALU_DEP_2)
	v_bfe_u32 v48, v39, 21, 1
	v_cmp_eq_u32_e64 s13, v36, v49
	s_delay_alu instid0(VALU_DEP_2) | instskip(NEXT) | instid1(VALU_DEP_1)
	v_add_nc_u32_e32 v38, -1, v48
	v_cndmask_b32_e64 v36, 0, v38, s13
	v_lshrrev_b32_e32 v38, 23, v39
	s_mov_b32 s13, exec_lo
	s_delay_alu instid0(VALU_DEP_2) | instskip(NEXT) | instid1(VALU_DEP_2)
	v_add_nc_u32_e32 v36, v36, v39
	v_xor_b32_e32 v38, 1, v38
	s_delay_alu instid0(VALU_DEP_2) | instskip(NEXT) | instid1(VALU_DEP_1)
	v_and_b32_e32 v27, 0x1fffff, v36
	v_add_nc_u32_e32 v36, v27, v39
                                        ; implicit-def: $vgpr27
	s_delay_alu instid0(VALU_DEP_3)
	v_cmpx_ne_u32_e64 v37, v38
	s_xor_b32 s13, exec_lo, s13
; %bb.9122:                             ;   in Loop: Header=BB6_8078 Depth=3
	s_delay_alu instid0(VALU_DEP_2) | instskip(SKIP_2) | instid1(VALU_DEP_2)
	v_cmp_lt_u32_e32 vcc_lo, 0xffffff, v36
	v_sub_nc_u32_e32 v27, v37, v38
	v_cndmask_b32_e64 v37, 0, 1, vcc_lo
	v_add_co_ci_u32_e32 v27, vcc_lo, 0, v27, vcc_lo
	s_delay_alu instid0(VALU_DEP_2)
	v_lshrrev_b32_e32 v36, v37, v36
; %bb.9123:                             ;   in Loop: Header=BB6_8078 Depth=3
	s_and_not1_saveexec_b32 s13, s13
; %bb.9124:                             ;   in Loop: Header=BB6_8078 Depth=3
	s_delay_alu instid0(VALU_DEP_1)
	v_bfe_u32 v27, v36, 23, 1
; %bb.9125:                             ;   in Loop: Header=BB6_8078 Depth=3
	s_or_b32 exec_lo, exec_lo, s13
	v_lshrrev_b32_e32 v36, 21, v36
	s_delay_alu instid0(VALU_DEP_2) | instskip(SKIP_2) | instid1(VALU_DEP_4)
	v_cmp_gt_i32_e32 vcc_lo, 32, v27
	v_lshrrev_b32_e32 v26, 24, v26
	v_min_i32_e32 v37, 31, v27
	v_cndmask_b32_e32 v36, 3, v36, vcc_lo
	s_delay_alu instid0(VALU_DEP_3) | instskip(NEXT) | instid1(VALU_DEP_3)
	v_and_b32_e32 v26, 0x80, v26
	v_lshlrev_b32_e32 v37, 2, v37
	s_delay_alu instid0(VALU_DEP_3) | instskip(SKIP_1) | instid1(VALU_DEP_2)
	v_and_b32_e32 v38, 3, v36
	v_or_b32_e32 v27, v27, v36
	v_or3_b32 v26, v37, v26, v38
	s_delay_alu instid0(VALU_DEP_2) | instskip(NEXT) | instid1(VALU_DEP_2)
	v_cmp_ne_u32_e32 vcc_lo, 0, v27
	v_cndmask_b32_e32 v124, 0, v26, vcc_lo
.LBB6_9126:                             ;   in Loop: Header=BB6_8078 Depth=3
	s_or_b32 exec_lo, exec_lo, s30
.LBB6_9127:                             ;   in Loop: Header=BB6_8078 Depth=3
	s_delay_alu instid0(SALU_CYCLE_1) | instskip(SKIP_3) | instid1(VALU_DEP_1)
	s_or_b32 exec_lo, exec_lo, s17
	v_and_b32_e32 v27, 0xff, v121
	s_mov_b32 s13, 0
	s_mov_b32 s30, exec_lo
                                        ; implicit-def: $sgpr17
	v_cmpx_lt_i16_e32 0x7f, v27
	s_xor_b32 s30, exec_lo, s30
	s_cbranch_execnz .LBB6_10269
; %bb.9128:                             ;   in Loop: Header=BB6_8078 Depth=3
	s_or_saveexec_b32 s30, s30
	v_mov_b32_e32 v26, s17
	s_xor_b32 exec_lo, exec_lo, s30
	s_cbranch_execnz .LBB6_10272
.LBB6_9129:                             ;   in Loop: Header=BB6_8078 Depth=3
	s_or_b32 exec_lo, exec_lo, s30
	s_and_saveexec_b32 s17, s13
	s_cbranch_execz .LBB6_9131
.LBB6_9130:                             ;   in Loop: Header=BB6_8078 Depth=3
	v_bfe_u32 v37, v121, 2, 5
	v_lshlrev_b32_e32 v38, 24, v121
	s_delay_alu instid0(VALU_DEP_2) | instskip(SKIP_1) | instid1(VALU_DEP_1)
	v_cmp_eq_u32_e32 vcc_lo, 0, v37
	v_and_b32_e32 v26, 3, v121
	v_clz_i32_u32_e32 v27, v26
	s_delay_alu instid0(VALU_DEP_1) | instskip(NEXT) | instid1(VALU_DEP_1)
	v_min_u32_e32 v27, 32, v27
	v_subrev_nc_u32_e32 v36, 29, v27
	v_sub_nc_u32_e32 v27, 30, v27
	s_delay_alu instid0(VALU_DEP_1) | instskip(NEXT) | instid1(VALU_DEP_1)
	v_dual_cndmask_b32 v27, v37, v27 :: v_dual_lshlrev_b32 v36, v36, v121
	v_and_b32_e32 v36, 3, v36
	s_delay_alu instid0(VALU_DEP_2) | instskip(NEXT) | instid1(VALU_DEP_2)
	v_lshl_add_u32 v27, v27, 23, 0x37800000
	v_cndmask_b32_e32 v26, v26, v36, vcc_lo
	v_and_b32_e32 v36, 0x80000000, v38
	s_delay_alu instid0(VALU_DEP_2) | instskip(NEXT) | instid1(VALU_DEP_1)
	v_lshlrev_b32_e32 v26, 21, v26
	v_or3_b32 v26, v36, v27, v26
.LBB6_9131:                             ;   in Loop: Header=BB6_8078 Depth=3
	s_or_b32 exec_lo, exec_lo, s17
	v_lshrrev_b16 v27, 8, v16
	s_mov_b32 s13, 0
	s_mov_b32 s30, exec_lo
                                        ; implicit-def: $sgpr17
	s_delay_alu instid0(VALU_DEP_1)
	v_cmpx_lt_i16_e32 0x7f, v27
	s_xor_b32 s30, exec_lo, s30
	s_cbranch_execnz .LBB6_10273
; %bb.9132:                             ;   in Loop: Header=BB6_8078 Depth=3
	s_or_saveexec_b32 s30, s30
	v_mov_b32_e32 v36, s17
	s_xor_b32 exec_lo, exec_lo, s30
	s_cbranch_execnz .LBB6_10276
.LBB6_9133:                             ;   in Loop: Header=BB6_8078 Depth=3
	s_or_b32 exec_lo, exec_lo, s30
	s_and_saveexec_b32 s17, s13
	s_cbranch_execz .LBB6_9135
.LBB6_9134:                             ;   in Loop: Header=BB6_8078 Depth=3
	v_and_b32_e32 v36, 0xffff, v27
	v_lshlrev_b32_e32 v27, 24, v27
	s_delay_alu instid0(VALU_DEP_2) | instskip(NEXT) | instid1(VALU_DEP_2)
	v_and_b32_e32 v37, 3, v36
	v_and_b32_e32 v27, 0x80000000, v27
	s_delay_alu instid0(VALU_DEP_2) | instskip(NEXT) | instid1(VALU_DEP_1)
	v_clz_i32_u32_e32 v38, v37
	v_min_u32_e32 v38, 32, v38
	s_delay_alu instid0(VALU_DEP_1) | instskip(SKIP_1) | instid1(VALU_DEP_2)
	v_subrev_nc_u32_e32 v39, 29, v38
	v_sub_nc_u32_e32 v38, 30, v38
	v_lshlrev_b32_e32 v39, v39, v36
	v_bfe_u32 v36, v36, 2, 5
	s_delay_alu instid0(VALU_DEP_2) | instskip(NEXT) | instid1(VALU_DEP_2)
	v_and_b32_e32 v39, 3, v39
	v_cmp_eq_u32_e32 vcc_lo, 0, v36
	s_delay_alu instid0(VALU_DEP_2) | instskip(NEXT) | instid1(VALU_DEP_1)
	v_dual_cndmask_b32 v36, v36, v38 :: v_dual_cndmask_b32 v37, v37, v39
	v_lshl_add_u32 v36, v36, 23, 0x37800000
	s_delay_alu instid0(VALU_DEP_2) | instskip(NEXT) | instid1(VALU_DEP_1)
	v_lshlrev_b32_e32 v37, 21, v37
	v_or3_b32 v36, v27, v36, v37
.LBB6_9135:                             ;   in Loop: Header=BB6_8078 Depth=3
	s_or_b32 exec_lo, exec_lo, s17
	s_delay_alu instid0(VALU_DEP_1) | instskip(SKIP_1) | instid1(VALU_DEP_1)
	v_dual_add_f32 v26, v26, v36 :: v_dual_mov_b32 v121, 0x80
	s_mov_b32 s17, exec_lo
	v_and_b32_e32 v27, 0x7f800000, v26
	s_delay_alu instid0(VALU_DEP_1)
	v_cmpx_ne_u32_e32 0x7f800000, v27
	s_cbranch_execz .LBB6_9143
; %bb.9136:                             ;   in Loop: Header=BB6_8078 Depth=3
	v_mov_b32_e32 v121, 0
	s_mov_b32 s30, exec_lo
	v_cmpx_ne_u32_e32 0, v26
	s_cbranch_execz .LBB6_9142
; %bb.9137:                             ;   in Loop: Header=BB6_8078 Depth=3
	v_bfe_u32 v27, v26, 23, 8
	s_delay_alu instid0(VALU_DEP_1) | instskip(SKIP_1) | instid1(VALU_DEP_2)
	v_sub_nc_u32_e32 v37, 0x70, v27
	v_cmp_gt_u32_e32 vcc_lo, 0x71, v27
	v_dual_cndmask_b32 v37, 0, v37 :: v_dual_and_b32 v36, 0x7fffff, v26
	s_delay_alu instid0(VALU_DEP_1) | instskip(SKIP_2) | instid1(VALU_DEP_4)
	v_or_b32_e32 v38, 0x800000, v36
	v_cmp_eq_u32_e32 vcc_lo, 0, v27
	v_add_nc_u32_e32 v27, 0xffffff91, v27
	v_cndmask_b32_e64 v37, v37, 0x6f, vcc_lo
	s_delay_alu instid0(VALU_DEP_4) | instskip(NEXT) | instid1(VALU_DEP_3)
	v_cndmask_b32_e32 v36, v38, v36, vcc_lo
	v_cndmask_b32_e64 v27, v27, 0xffffff92, vcc_lo
	s_delay_alu instid0(VALU_DEP_3) | instskip(NEXT) | instid1(VALU_DEP_3)
	v_lshl_add_u32 v38, 0x200000, v37, -1
	v_lshrrev_b32_e32 v39, v37, v36
	v_lshlrev_b32_e64 v49, v37, 0x100000
	s_delay_alu instid0(VALU_DEP_4) | instskip(NEXT) | instid1(VALU_DEP_4)
	v_add_nc_u32_e32 v37, v37, v27
	v_and_b32_e32 v36, v38, v36
	s_delay_alu instid0(VALU_DEP_4) | instskip(NEXT) | instid1(VALU_DEP_2)
	v_bfe_u32 v48, v39, 21, 1
	v_cmp_eq_u32_e64 s13, v36, v49
	s_delay_alu instid0(VALU_DEP_2) | instskip(NEXT) | instid1(VALU_DEP_1)
	v_add_nc_u32_e32 v38, -1, v48
	v_cndmask_b32_e64 v36, 0, v38, s13
	v_lshrrev_b32_e32 v38, 23, v39
	s_mov_b32 s13, exec_lo
	s_delay_alu instid0(VALU_DEP_2) | instskip(NEXT) | instid1(VALU_DEP_2)
	v_add_nc_u32_e32 v36, v36, v39
	v_xor_b32_e32 v38, 1, v38
	s_delay_alu instid0(VALU_DEP_2) | instskip(NEXT) | instid1(VALU_DEP_1)
	v_and_b32_e32 v27, 0x1fffff, v36
	v_add_nc_u32_e32 v36, v27, v39
                                        ; implicit-def: $vgpr27
	s_delay_alu instid0(VALU_DEP_3)
	v_cmpx_ne_u32_e64 v37, v38
	s_xor_b32 s13, exec_lo, s13
; %bb.9138:                             ;   in Loop: Header=BB6_8078 Depth=3
	s_delay_alu instid0(VALU_DEP_2) | instskip(SKIP_2) | instid1(VALU_DEP_2)
	v_cmp_lt_u32_e32 vcc_lo, 0xffffff, v36
	v_sub_nc_u32_e32 v27, v37, v38
	v_cndmask_b32_e64 v37, 0, 1, vcc_lo
	v_add_co_ci_u32_e32 v27, vcc_lo, 0, v27, vcc_lo
	s_delay_alu instid0(VALU_DEP_2)
	v_lshrrev_b32_e32 v36, v37, v36
; %bb.9139:                             ;   in Loop: Header=BB6_8078 Depth=3
	s_and_not1_saveexec_b32 s13, s13
; %bb.9140:                             ;   in Loop: Header=BB6_8078 Depth=3
	s_delay_alu instid0(VALU_DEP_1)
	v_bfe_u32 v27, v36, 23, 1
; %bb.9141:                             ;   in Loop: Header=BB6_8078 Depth=3
	s_or_b32 exec_lo, exec_lo, s13
	v_lshrrev_b32_e32 v36, 21, v36
	s_delay_alu instid0(VALU_DEP_2) | instskip(SKIP_2) | instid1(VALU_DEP_2)
	v_cmp_gt_i32_e32 vcc_lo, 32, v27
	v_min_i32_e32 v37, 31, v27
	v_lshrrev_b32_e32 v26, 24, v26
	v_dual_cndmask_b32 v36, 3, v36 :: v_dual_lshlrev_b32 v37, 2, v37
	s_delay_alu instid0(VALU_DEP_2) | instskip(NEXT) | instid1(VALU_DEP_2)
	v_and_b32_e32 v26, 0x80, v26
	v_or_b32_e32 v27, v27, v36
	s_delay_alu instid0(VALU_DEP_1) | instskip(SKIP_1) | instid1(VALU_DEP_1)
	v_cmp_ne_u32_e32 vcc_lo, 0, v27
	v_and_b32_e32 v38, 3, v36
	v_or3_b32 v26, v37, v26, v38
	s_delay_alu instid0(VALU_DEP_1)
	v_cndmask_b32_e32 v121, 0, v26, vcc_lo
.LBB6_9142:                             ;   in Loop: Header=BB6_8078 Depth=3
	s_or_b32 exec_lo, exec_lo, s30
.LBB6_9143:                             ;   in Loop: Header=BB6_8078 Depth=3
	s_delay_alu instid0(SALU_CYCLE_1) | instskip(SKIP_3) | instid1(VALU_DEP_1)
	s_or_b32 exec_lo, exec_lo, s17
	v_and_b32_e32 v27, 0xff, v120
	s_mov_b32 s13, 0
	s_mov_b32 s30, exec_lo
                                        ; implicit-def: $sgpr17
	v_cmpx_lt_i16_e32 0x7f, v27
	s_xor_b32 s30, exec_lo, s30
	s_cbranch_execnz .LBB6_10277
; %bb.9144:                             ;   in Loop: Header=BB6_8078 Depth=3
	s_or_saveexec_b32 s30, s30
	v_mov_b32_e32 v26, s17
	s_xor_b32 exec_lo, exec_lo, s30
	s_cbranch_execnz .LBB6_10280
.LBB6_9145:                             ;   in Loop: Header=BB6_8078 Depth=3
	s_or_b32 exec_lo, exec_lo, s30
	s_and_saveexec_b32 s17, s13
	s_cbranch_execz .LBB6_9147
.LBB6_9146:                             ;   in Loop: Header=BB6_8078 Depth=3
	v_bfe_u32 v37, v120, 2, 5
	v_lshlrev_b32_e32 v38, 24, v120
	s_delay_alu instid0(VALU_DEP_2) | instskip(SKIP_1) | instid1(VALU_DEP_1)
	v_cmp_eq_u32_e32 vcc_lo, 0, v37
	v_and_b32_e32 v26, 3, v120
	v_clz_i32_u32_e32 v27, v26
	s_delay_alu instid0(VALU_DEP_1) | instskip(NEXT) | instid1(VALU_DEP_1)
	v_min_u32_e32 v27, 32, v27
	v_subrev_nc_u32_e32 v36, 29, v27
	v_sub_nc_u32_e32 v27, 30, v27
	s_delay_alu instid0(VALU_DEP_1) | instskip(NEXT) | instid1(VALU_DEP_1)
	v_dual_cndmask_b32 v27, v37, v27 :: v_dual_lshlrev_b32 v36, v36, v120
	v_and_b32_e32 v36, 3, v36
	s_delay_alu instid0(VALU_DEP_2) | instskip(NEXT) | instid1(VALU_DEP_2)
	v_lshl_add_u32 v27, v27, 23, 0x37800000
	v_cndmask_b32_e32 v26, v26, v36, vcc_lo
	v_and_b32_e32 v36, 0x80000000, v38
	s_delay_alu instid0(VALU_DEP_2) | instskip(NEXT) | instid1(VALU_DEP_1)
	v_lshlrev_b32_e32 v26, 21, v26
	v_or3_b32 v26, v36, v27, v26
.LBB6_9147:                             ;   in Loop: Header=BB6_8078 Depth=3
	s_or_b32 exec_lo, exec_lo, s17
	v_lshrrev_b32_e32 v27, 16, v16
	s_mov_b32 s13, 0
	s_mov_b32 s30, exec_lo
                                        ; implicit-def: $sgpr17
	s_delay_alu instid0(VALU_DEP_1) | instskip(NEXT) | instid1(VALU_DEP_1)
	v_and_b32_e32 v37, 0xff, v27
	v_cmpx_lt_i16_e32 0x7f, v37
	s_xor_b32 s30, exec_lo, s30
	s_cbranch_execnz .LBB6_10281
; %bb.9148:                             ;   in Loop: Header=BB6_8078 Depth=3
	s_or_saveexec_b32 s30, s30
	v_mov_b32_e32 v36, s17
	s_xor_b32 exec_lo, exec_lo, s30
	s_cbranch_execnz .LBB6_10284
.LBB6_9149:                             ;   in Loop: Header=BB6_8078 Depth=3
	s_or_b32 exec_lo, exec_lo, s30
	s_and_saveexec_b32 s17, s13
	s_cbranch_execz .LBB6_9151
.LBB6_9150:                             ;   in Loop: Header=BB6_8078 Depth=3
	v_bfe_u32 v36, v16, 16, 2
	v_lshlrev_b32_e32 v39, 8, v16
	s_delay_alu instid0(VALU_DEP_2) | instskip(NEXT) | instid1(VALU_DEP_1)
	v_clz_i32_u32_e32 v37, v36
	v_min_u32_e32 v37, 32, v37
	s_delay_alu instid0(VALU_DEP_1) | instskip(SKIP_1) | instid1(VALU_DEP_2)
	v_subrev_nc_u32_e32 v38, 29, v37
	v_sub_nc_u32_e32 v37, 30, v37
	v_lshlrev_b32_e32 v27, v38, v27
	v_bfe_u32 v38, v16, 18, 5
	s_delay_alu instid0(VALU_DEP_2) | instskip(NEXT) | instid1(VALU_DEP_2)
	v_and_b32_e32 v27, 3, v27
	v_cmp_eq_u32_e32 vcc_lo, 0, v38
	v_cndmask_b32_e32 v37, v38, v37, vcc_lo
	s_delay_alu instid0(VALU_DEP_3) | instskip(SKIP_1) | instid1(VALU_DEP_3)
	v_cndmask_b32_e32 v27, v36, v27, vcc_lo
	v_and_b32_e32 v36, 0x80000000, v39
	v_lshl_add_u32 v37, v37, 23, 0x37800000
	s_delay_alu instid0(VALU_DEP_3) | instskip(NEXT) | instid1(VALU_DEP_1)
	v_lshlrev_b32_e32 v27, 21, v27
	v_or3_b32 v36, v36, v37, v27
.LBB6_9151:                             ;   in Loop: Header=BB6_8078 Depth=3
	s_or_b32 exec_lo, exec_lo, s17
	s_delay_alu instid0(VALU_DEP_1) | instskip(SKIP_2) | instid1(VALU_DEP_2)
	v_add_f32_e32 v26, v26, v36
	v_mov_b32_e32 v120, 0x80
	s_mov_b32 s17, exec_lo
	v_and_b32_e32 v27, 0x7f800000, v26
	s_delay_alu instid0(VALU_DEP_1)
	v_cmpx_ne_u32_e32 0x7f800000, v27
	s_cbranch_execz .LBB6_9159
; %bb.9152:                             ;   in Loop: Header=BB6_8078 Depth=3
	v_mov_b32_e32 v120, 0
	s_mov_b32 s30, exec_lo
	v_cmpx_ne_u32_e32 0, v26
	s_cbranch_execz .LBB6_9158
; %bb.9153:                             ;   in Loop: Header=BB6_8078 Depth=3
	v_bfe_u32 v27, v26, 23, 8
	s_delay_alu instid0(VALU_DEP_1) | instskip(SKIP_1) | instid1(VALU_DEP_2)
	v_sub_nc_u32_e32 v37, 0x70, v27
	v_cmp_gt_u32_e32 vcc_lo, 0x71, v27
	v_dual_cndmask_b32 v37, 0, v37 :: v_dual_and_b32 v36, 0x7fffff, v26
	s_delay_alu instid0(VALU_DEP_1) | instskip(SKIP_2) | instid1(VALU_DEP_4)
	v_or_b32_e32 v38, 0x800000, v36
	v_cmp_eq_u32_e32 vcc_lo, 0, v27
	v_add_nc_u32_e32 v27, 0xffffff91, v27
	v_cndmask_b32_e64 v37, v37, 0x6f, vcc_lo
	s_delay_alu instid0(VALU_DEP_4) | instskip(NEXT) | instid1(VALU_DEP_3)
	v_cndmask_b32_e32 v36, v38, v36, vcc_lo
	v_cndmask_b32_e64 v27, v27, 0xffffff92, vcc_lo
	s_delay_alu instid0(VALU_DEP_3) | instskip(NEXT) | instid1(VALU_DEP_3)
	v_lshl_add_u32 v38, 0x200000, v37, -1
	v_lshrrev_b32_e32 v39, v37, v36
	v_lshlrev_b32_e64 v49, v37, 0x100000
	s_delay_alu instid0(VALU_DEP_4) | instskip(NEXT) | instid1(VALU_DEP_4)
	v_add_nc_u32_e32 v37, v37, v27
	v_and_b32_e32 v36, v38, v36
	s_delay_alu instid0(VALU_DEP_4) | instskip(NEXT) | instid1(VALU_DEP_2)
	v_bfe_u32 v48, v39, 21, 1
	v_cmp_eq_u32_e64 s13, v36, v49
	s_delay_alu instid0(VALU_DEP_2) | instskip(NEXT) | instid1(VALU_DEP_1)
	v_add_nc_u32_e32 v38, -1, v48
	v_cndmask_b32_e64 v36, 0, v38, s13
	v_lshrrev_b32_e32 v38, 23, v39
	s_mov_b32 s13, exec_lo
	s_delay_alu instid0(VALU_DEP_2) | instskip(NEXT) | instid1(VALU_DEP_2)
	v_add_nc_u32_e32 v36, v36, v39
	v_xor_b32_e32 v38, 1, v38
	s_delay_alu instid0(VALU_DEP_2) | instskip(NEXT) | instid1(VALU_DEP_1)
	v_and_b32_e32 v27, 0x1fffff, v36
	v_add_nc_u32_e32 v36, v27, v39
                                        ; implicit-def: $vgpr27
	s_delay_alu instid0(VALU_DEP_3)
	v_cmpx_ne_u32_e64 v37, v38
	s_xor_b32 s13, exec_lo, s13
; %bb.9154:                             ;   in Loop: Header=BB6_8078 Depth=3
	s_delay_alu instid0(VALU_DEP_2) | instskip(SKIP_2) | instid1(VALU_DEP_2)
	v_cmp_lt_u32_e32 vcc_lo, 0xffffff, v36
	v_sub_nc_u32_e32 v27, v37, v38
	v_cndmask_b32_e64 v37, 0, 1, vcc_lo
	v_add_co_ci_u32_e32 v27, vcc_lo, 0, v27, vcc_lo
	s_delay_alu instid0(VALU_DEP_2)
	v_lshrrev_b32_e32 v36, v37, v36
; %bb.9155:                             ;   in Loop: Header=BB6_8078 Depth=3
	s_and_not1_saveexec_b32 s13, s13
; %bb.9156:                             ;   in Loop: Header=BB6_8078 Depth=3
	s_delay_alu instid0(VALU_DEP_1)
	v_bfe_u32 v27, v36, 23, 1
; %bb.9157:                             ;   in Loop: Header=BB6_8078 Depth=3
	s_or_b32 exec_lo, exec_lo, s13
	v_lshrrev_b32_e32 v36, 21, v36
	s_delay_alu instid0(VALU_DEP_2) | instskip(SKIP_2) | instid1(VALU_DEP_4)
	v_cmp_gt_i32_e32 vcc_lo, 32, v27
	v_lshrrev_b32_e32 v26, 24, v26
	v_min_i32_e32 v37, 31, v27
	v_cndmask_b32_e32 v36, 3, v36, vcc_lo
	s_delay_alu instid0(VALU_DEP_3) | instskip(NEXT) | instid1(VALU_DEP_3)
	v_and_b32_e32 v26, 0x80, v26
	v_lshlrev_b32_e32 v37, 2, v37
	s_delay_alu instid0(VALU_DEP_3) | instskip(SKIP_1) | instid1(VALU_DEP_2)
	v_and_b32_e32 v38, 3, v36
	v_or_b32_e32 v27, v27, v36
	v_or3_b32 v26, v37, v26, v38
	s_delay_alu instid0(VALU_DEP_2) | instskip(NEXT) | instid1(VALU_DEP_2)
	v_cmp_ne_u32_e32 vcc_lo, 0, v27
	v_cndmask_b32_e32 v120, 0, v26, vcc_lo
.LBB6_9158:                             ;   in Loop: Header=BB6_8078 Depth=3
	s_or_b32 exec_lo, exec_lo, s30
.LBB6_9159:                             ;   in Loop: Header=BB6_8078 Depth=3
	s_delay_alu instid0(SALU_CYCLE_1) | instskip(SKIP_3) | instid1(VALU_DEP_1)
	s_or_b32 exec_lo, exec_lo, s17
	v_and_b32_e32 v27, 0xff, v110
	s_mov_b32 s13, 0
	s_mov_b32 s30, exec_lo
                                        ; implicit-def: $sgpr17
	v_cmpx_lt_i16_e32 0x7f, v27
	s_xor_b32 s30, exec_lo, s30
	s_cbranch_execnz .LBB6_10285
; %bb.9160:                             ;   in Loop: Header=BB6_8078 Depth=3
	s_or_saveexec_b32 s30, s30
	v_mov_b32_e32 v26, s17
	s_xor_b32 exec_lo, exec_lo, s30
	s_cbranch_execnz .LBB6_10288
.LBB6_9161:                             ;   in Loop: Header=BB6_8078 Depth=3
	s_or_b32 exec_lo, exec_lo, s30
	s_and_saveexec_b32 s17, s13
	s_cbranch_execz .LBB6_9163
.LBB6_9162:                             ;   in Loop: Header=BB6_8078 Depth=3
	v_lshlrev_b32_e32 v26, 8, v110
	s_delay_alu instid0(VALU_DEP_1) | instskip(SKIP_1) | instid1(VALU_DEP_2)
	v_and_b32_e32 v36, 0xff00, v26
	v_bfe_u32 v26, v26, 10, 5
	v_bfe_u32 v37, v36, 8, 2
	s_delay_alu instid0(VALU_DEP_2) | instskip(SKIP_1) | instid1(VALU_DEP_3)
	v_cmp_eq_u32_e32 vcc_lo, 0, v26
	v_lshlrev_b32_e32 v36, 16, v36
	v_clz_i32_u32_e32 v38, v37
	s_delay_alu instid0(VALU_DEP_2) | instskip(NEXT) | instid1(VALU_DEP_2)
	v_and_b32_e32 v36, 0x80000000, v36
	v_min_u32_e32 v38, 32, v38
	s_delay_alu instid0(VALU_DEP_1) | instskip(SKIP_1) | instid1(VALU_DEP_1)
	v_subrev_nc_u32_e32 v39, 29, v38
	v_sub_nc_u32_e32 v38, 30, v38
	v_dual_cndmask_b32 v26, v26, v38 :: v_dual_lshlrev_b32 v27, v39, v27
	s_delay_alu instid0(VALU_DEP_1) | instskip(NEXT) | instid1(VALU_DEP_2)
	v_and_b32_e32 v27, 3, v27
	v_lshl_add_u32 v26, v26, 23, 0x37800000
	s_delay_alu instid0(VALU_DEP_2) | instskip(NEXT) | instid1(VALU_DEP_1)
	v_cndmask_b32_e32 v27, v37, v27, vcc_lo
	v_lshlrev_b32_e32 v27, 21, v27
	s_delay_alu instid0(VALU_DEP_1)
	v_or3_b32 v26, v36, v26, v27
.LBB6_9163:                             ;   in Loop: Header=BB6_8078 Depth=3
	s_or_b32 exec_lo, exec_lo, s17
	v_lshrrev_b32_e32 v27, 24, v16
	s_mov_b32 s13, 0
	s_mov_b32 s30, exec_lo
                                        ; implicit-def: $sgpr17
	s_delay_alu instid0(VALU_DEP_1)
	v_cmpx_lt_i16_e32 0x7f, v27
	s_xor_b32 s30, exec_lo, s30
	s_cbranch_execnz .LBB6_10289
; %bb.9164:                             ;   in Loop: Header=BB6_8078 Depth=3
	s_or_saveexec_b32 s30, s30
	v_mov_b32_e32 v36, s17
	s_xor_b32 exec_lo, exec_lo, s30
	s_cbranch_execnz .LBB6_10292
.LBB6_9165:                             ;   in Loop: Header=BB6_8078 Depth=3
	s_or_b32 exec_lo, exec_lo, s30
	s_and_saveexec_b32 s17, s13
	s_cbranch_execz .LBB6_9167
.LBB6_9166:                             ;   in Loop: Header=BB6_8078 Depth=3
	v_bfe_u32 v36, v16, 24, 2
	s_delay_alu instid0(VALU_DEP_1) | instskip(NEXT) | instid1(VALU_DEP_1)
	v_clz_i32_u32_e32 v37, v36
	v_min_u32_e32 v37, 32, v37
	s_delay_alu instid0(VALU_DEP_1) | instskip(SKIP_1) | instid1(VALU_DEP_2)
	v_subrev_nc_u32_e32 v38, 29, v37
	v_sub_nc_u32_e32 v37, 30, v37
	v_lshlrev_b32_e32 v27, v38, v27
	v_bfe_u32 v38, v16, 26, 5
	v_and_b32_e32 v16, 0x80000000, v16
	s_delay_alu instid0(VALU_DEP_3) | instskip(NEXT) | instid1(VALU_DEP_3)
	v_and_b32_e32 v27, 3, v27
	v_cmp_eq_u32_e32 vcc_lo, 0, v38
	v_cndmask_b32_e32 v37, v38, v37, vcc_lo
	s_delay_alu instid0(VALU_DEP_3) | instskip(NEXT) | instid1(VALU_DEP_2)
	v_cndmask_b32_e32 v27, v36, v27, vcc_lo
	v_lshl_add_u32 v36, v37, 23, 0x37800000
	s_delay_alu instid0(VALU_DEP_2) | instskip(NEXT) | instid1(VALU_DEP_1)
	v_lshlrev_b32_e32 v27, 21, v27
	v_or3_b32 v36, v16, v36, v27
.LBB6_9167:                             ;   in Loop: Header=BB6_8078 Depth=3
	s_or_b32 exec_lo, exec_lo, s17
	s_delay_alu instid0(VALU_DEP_1) | instskip(NEXT) | instid1(VALU_DEP_1)
	v_add_f32_e32 v26, v26, v36
	v_and_b32_e32 v16, 0x7f800000, v26
	s_delay_alu instid0(VALU_DEP_1)
	v_cmp_ne_u32_e32 vcc_lo, 0x7f800000, v16
	v_mov_b32_e32 v16, 0x80
	s_and_saveexec_b32 s17, vcc_lo
	s_cbranch_execz .LBB6_9175
; %bb.9168:                             ;   in Loop: Header=BB6_8078 Depth=3
	v_mov_b32_e32 v16, 0
	s_mov_b32 s30, exec_lo
	v_cmpx_ne_u32_e32 0, v26
	s_cbranch_execz .LBB6_9174
; %bb.9169:                             ;   in Loop: Header=BB6_8078 Depth=3
	v_bfe_u32 v16, v26, 23, 8
	s_delay_alu instid0(VALU_DEP_1) | instskip(SKIP_1) | instid1(VALU_DEP_2)
	v_sub_nc_u32_e32 v36, 0x70, v16
	v_cmp_gt_u32_e32 vcc_lo, 0x71, v16
	v_dual_cndmask_b32 v36, 0, v36 :: v_dual_and_b32 v27, 0x7fffff, v26
	s_delay_alu instid0(VALU_DEP_1) | instskip(SKIP_2) | instid1(VALU_DEP_4)
	v_or_b32_e32 v37, 0x800000, v27
	v_cmp_eq_u32_e32 vcc_lo, 0, v16
	v_add_nc_u32_e32 v16, 0xffffff91, v16
	v_cndmask_b32_e64 v36, v36, 0x6f, vcc_lo
	s_delay_alu instid0(VALU_DEP_4) | instskip(NEXT) | instid1(VALU_DEP_3)
	v_cndmask_b32_e32 v27, v37, v27, vcc_lo
	v_cndmask_b32_e64 v16, v16, 0xffffff92, vcc_lo
	s_delay_alu instid0(VALU_DEP_3) | instskip(NEXT) | instid1(VALU_DEP_3)
	v_lshl_add_u32 v37, 0x200000, v36, -1
	v_lshrrev_b32_e32 v38, v36, v27
	v_lshlrev_b32_e64 v48, v36, 0x100000
	s_delay_alu instid0(VALU_DEP_4) | instskip(NEXT) | instid1(VALU_DEP_4)
	v_add_nc_u32_e32 v36, v36, v16
	v_and_b32_e32 v27, v37, v27
	s_delay_alu instid0(VALU_DEP_4) | instskip(NEXT) | instid1(VALU_DEP_2)
	v_bfe_u32 v39, v38, 21, 1
	v_cmp_eq_u32_e64 s13, v27, v48
	s_delay_alu instid0(VALU_DEP_2) | instskip(NEXT) | instid1(VALU_DEP_1)
	v_add_nc_u32_e32 v37, -1, v39
	v_cndmask_b32_e64 v27, 0, v37, s13
	v_lshrrev_b32_e32 v37, 23, v38
	s_mov_b32 s13, exec_lo
	s_delay_alu instid0(VALU_DEP_2) | instskip(NEXT) | instid1(VALU_DEP_2)
	v_add_nc_u32_e32 v27, v27, v38
	v_xor_b32_e32 v37, 1, v37
	s_delay_alu instid0(VALU_DEP_2) | instskip(NEXT) | instid1(VALU_DEP_1)
	v_and_b32_e32 v16, 0x1fffff, v27
	v_add_nc_u32_e32 v27, v16, v38
                                        ; implicit-def: $vgpr16
	s_delay_alu instid0(VALU_DEP_3)
	v_cmpx_ne_u32_e64 v36, v37
	s_xor_b32 s13, exec_lo, s13
; %bb.9170:                             ;   in Loop: Header=BB6_8078 Depth=3
	s_delay_alu instid0(VALU_DEP_2) | instskip(SKIP_2) | instid1(VALU_DEP_2)
	v_cmp_lt_u32_e32 vcc_lo, 0xffffff, v27
	v_sub_nc_u32_e32 v16, v36, v37
	v_cndmask_b32_e64 v36, 0, 1, vcc_lo
	v_add_co_ci_u32_e32 v16, vcc_lo, 0, v16, vcc_lo
	s_delay_alu instid0(VALU_DEP_2)
	v_lshrrev_b32_e32 v27, v36, v27
; %bb.9171:                             ;   in Loop: Header=BB6_8078 Depth=3
	s_and_not1_saveexec_b32 s13, s13
; %bb.9172:                             ;   in Loop: Header=BB6_8078 Depth=3
	s_delay_alu instid0(VALU_DEP_1)
	v_bfe_u32 v16, v27, 23, 1
; %bb.9173:                             ;   in Loop: Header=BB6_8078 Depth=3
	s_or_b32 exec_lo, exec_lo, s13
	v_lshrrev_b32_e32 v27, 21, v27
	s_delay_alu instid0(VALU_DEP_2) | instskip(SKIP_2) | instid1(VALU_DEP_2)
	v_cmp_gt_i32_e32 vcc_lo, 32, v16
	v_lshrrev_b32_e32 v26, 24, v26
	v_min_i32_e32 v36, 31, v16
	v_dual_cndmask_b32 v27, 3, v27 :: v_dual_and_b32 v26, 0x80, v26
	s_delay_alu instid0(VALU_DEP_2) | instskip(NEXT) | instid1(VALU_DEP_2)
	v_lshlrev_b32_e32 v36, 2, v36
	v_or_b32_e32 v16, v16, v27
	s_delay_alu instid0(VALU_DEP_1) | instskip(SKIP_1) | instid1(VALU_DEP_1)
	v_cmp_ne_u32_e32 vcc_lo, 0, v16
	v_and_b32_e32 v37, 3, v27
	v_or3_b32 v26, v36, v26, v37
	s_delay_alu instid0(VALU_DEP_1)
	v_cndmask_b32_e32 v16, 0, v26, vcc_lo
.LBB6_9174:                             ;   in Loop: Header=BB6_8078 Depth=3
	s_or_b32 exec_lo, exec_lo, s30
.LBB6_9175:                             ;   in Loop: Header=BB6_8078 Depth=3
	s_delay_alu instid0(SALU_CYCLE_1) | instskip(SKIP_3) | instid1(VALU_DEP_1)
	s_or_b32 exec_lo, exec_lo, s17
	v_or_b32_e32 v26, v122, v109
	s_mov_b32 s13, 0
	s_mov_b32 s30, exec_lo
                                        ; implicit-def: $sgpr17
	v_and_b32_e32 v36, 0xff, v26
	s_delay_alu instid0(VALU_DEP_1)
	v_cmpx_lt_i16_e32 0x7f, v36
	s_xor_b32 s30, exec_lo, s30
	s_cbranch_execnz .LBB6_10293
; %bb.9176:                             ;   in Loop: Header=BB6_8078 Depth=3
	s_or_saveexec_b32 s30, s30
	v_mov_b32_e32 v27, s17
	s_xor_b32 exec_lo, exec_lo, s30
	s_cbranch_execnz .LBB6_10296
.LBB6_9177:                             ;   in Loop: Header=BB6_8078 Depth=3
	s_or_b32 exec_lo, exec_lo, s30
	s_and_saveexec_b32 s17, s13
	s_cbranch_execz .LBB6_9179
.LBB6_9178:                             ;   in Loop: Header=BB6_8078 Depth=3
	v_bfe_u32 v38, v26, 2, 5
	v_lshlrev_b32_e32 v39, 24, v26
	s_delay_alu instid0(VALU_DEP_2) | instskip(SKIP_1) | instid1(VALU_DEP_1)
	v_cmp_eq_u32_e32 vcc_lo, 0, v38
	v_and_b32_e32 v27, 3, v26
	v_clz_i32_u32_e32 v36, v27
	s_delay_alu instid0(VALU_DEP_1) | instskip(NEXT) | instid1(VALU_DEP_1)
	v_min_u32_e32 v36, 32, v36
	v_subrev_nc_u32_e32 v37, 29, v36
	v_sub_nc_u32_e32 v36, 30, v36
	s_delay_alu instid0(VALU_DEP_1) | instskip(NEXT) | instid1(VALU_DEP_1)
	v_dual_cndmask_b32 v36, v38, v36 :: v_dual_lshlrev_b32 v37, v37, v26
	v_and_b32_e32 v37, 3, v37
	s_delay_alu instid0(VALU_DEP_2) | instskip(NEXT) | instid1(VALU_DEP_2)
	v_lshl_add_u32 v36, v36, 23, 0x37800000
	v_cndmask_b32_e32 v27, v27, v37, vcc_lo
	v_and_b32_e32 v37, 0x80000000, v39
	s_delay_alu instid0(VALU_DEP_2) | instskip(NEXT) | instid1(VALU_DEP_1)
	v_lshlrev_b32_e32 v27, 21, v27
	v_or3_b32 v27, v37, v36, v27
.LBB6_9179:                             ;   in Loop: Header=BB6_8078 Depth=3
	s_or_b32 exec_lo, exec_lo, s17
	v_and_b32_e32 v37, 0xff, v17
	s_mov_b32 s13, 0
	s_mov_b32 s30, exec_lo
                                        ; implicit-def: $sgpr17
	s_delay_alu instid0(VALU_DEP_1)
	v_cmpx_lt_i16_e32 0x7f, v37
	s_xor_b32 s30, exec_lo, s30
	s_cbranch_execnz .LBB6_10297
; %bb.9180:                             ;   in Loop: Header=BB6_8078 Depth=3
	s_or_saveexec_b32 s30, s30
	v_mov_b32_e32 v36, s17
	s_xor_b32 exec_lo, exec_lo, s30
	s_cbranch_execnz .LBB6_10300
.LBB6_9181:                             ;   in Loop: Header=BB6_8078 Depth=3
	s_or_b32 exec_lo, exec_lo, s30
	s_and_saveexec_b32 s17, s13
	s_cbranch_execz .LBB6_9183
.LBB6_9182:                             ;   in Loop: Header=BB6_8078 Depth=3
	v_and_b32_e32 v36, 3, v17
	v_bfe_u32 v39, v17, 2, 5
	v_lshlrev_b32_e32 v48, 24, v17
	s_delay_alu instid0(VALU_DEP_3) | instskip(NEXT) | instid1(VALU_DEP_3)
	v_clz_i32_u32_e32 v37, v36
	v_cmp_eq_u32_e32 vcc_lo, 0, v39
	s_delay_alu instid0(VALU_DEP_2) | instskip(NEXT) | instid1(VALU_DEP_1)
	v_min_u32_e32 v37, 32, v37
	v_subrev_nc_u32_e32 v38, 29, v37
	v_sub_nc_u32_e32 v37, 30, v37
	s_delay_alu instid0(VALU_DEP_2) | instskip(NEXT) | instid1(VALU_DEP_1)
	v_lshlrev_b32_e32 v38, v38, v17
	v_dual_cndmask_b32 v37, v39, v37 :: v_dual_and_b32 v38, 3, v38
	s_delay_alu instid0(VALU_DEP_1) | instskip(NEXT) | instid1(VALU_DEP_2)
	v_lshl_add_u32 v37, v37, 23, 0x37800000
	v_cndmask_b32_e32 v36, v36, v38, vcc_lo
	v_and_b32_e32 v38, 0x80000000, v48
	s_delay_alu instid0(VALU_DEP_2) | instskip(NEXT) | instid1(VALU_DEP_1)
	v_lshlrev_b32_e32 v36, 21, v36
	v_or3_b32 v36, v38, v37, v36
.LBB6_9183:                             ;   in Loop: Header=BB6_8078 Depth=3
	s_or_b32 exec_lo, exec_lo, s17
	s_delay_alu instid0(VALU_DEP_1) | instskip(SKIP_2) | instid1(VALU_DEP_2)
	v_add_f32_e32 v27, v27, v36
	v_mov_b32_e32 v109, 0x80
	s_mov_b32 s17, exec_lo
	v_and_b32_e32 v36, 0x7f800000, v27
	s_delay_alu instid0(VALU_DEP_1)
	v_cmpx_ne_u32_e32 0x7f800000, v36
	s_cbranch_execz .LBB6_9191
; %bb.9184:                             ;   in Loop: Header=BB6_8078 Depth=3
	v_mov_b32_e32 v109, 0
	s_mov_b32 s30, exec_lo
	v_cmpx_ne_u32_e32 0, v27
	s_cbranch_execz .LBB6_9190
; %bb.9185:                             ;   in Loop: Header=BB6_8078 Depth=3
	v_bfe_u32 v36, v27, 23, 8
	s_delay_alu instid0(VALU_DEP_1) | instskip(SKIP_1) | instid1(VALU_DEP_2)
	v_sub_nc_u32_e32 v38, 0x70, v36
	v_cmp_gt_u32_e32 vcc_lo, 0x71, v36
	v_dual_cndmask_b32 v38, 0, v38 :: v_dual_and_b32 v37, 0x7fffff, v27
	s_delay_alu instid0(VALU_DEP_1) | instskip(SKIP_2) | instid1(VALU_DEP_4)
	v_or_b32_e32 v39, 0x800000, v37
	v_cmp_eq_u32_e32 vcc_lo, 0, v36
	v_add_nc_u32_e32 v36, 0xffffff91, v36
	v_cndmask_b32_e64 v38, v38, 0x6f, vcc_lo
	s_delay_alu instid0(VALU_DEP_4) | instskip(NEXT) | instid1(VALU_DEP_3)
	v_cndmask_b32_e32 v37, v39, v37, vcc_lo
	v_cndmask_b32_e64 v36, v36, 0xffffff92, vcc_lo
	s_delay_alu instid0(VALU_DEP_3) | instskip(NEXT) | instid1(VALU_DEP_3)
	v_lshl_add_u32 v39, 0x200000, v38, -1
	v_lshrrev_b32_e32 v48, v38, v37
	v_lshlrev_b32_e64 v50, v38, 0x100000
	s_delay_alu instid0(VALU_DEP_4) | instskip(NEXT) | instid1(VALU_DEP_4)
	v_add_nc_u32_e32 v38, v38, v36
	v_and_b32_e32 v37, v39, v37
	s_delay_alu instid0(VALU_DEP_4) | instskip(NEXT) | instid1(VALU_DEP_2)
	v_bfe_u32 v49, v48, 21, 1
	v_cmp_eq_u32_e64 s13, v37, v50
	s_delay_alu instid0(VALU_DEP_2) | instskip(NEXT) | instid1(VALU_DEP_1)
	v_add_nc_u32_e32 v39, -1, v49
	v_cndmask_b32_e64 v37, 0, v39, s13
	v_lshrrev_b32_e32 v39, 23, v48
	s_mov_b32 s13, exec_lo
	s_delay_alu instid0(VALU_DEP_2) | instskip(NEXT) | instid1(VALU_DEP_2)
	v_add_nc_u32_e32 v37, v37, v48
	v_xor_b32_e32 v39, 1, v39
	s_delay_alu instid0(VALU_DEP_2) | instskip(NEXT) | instid1(VALU_DEP_1)
	v_and_b32_e32 v36, 0x1fffff, v37
	v_add_nc_u32_e32 v37, v36, v48
                                        ; implicit-def: $vgpr36
	s_delay_alu instid0(VALU_DEP_3)
	v_cmpx_ne_u32_e64 v38, v39
	s_xor_b32 s13, exec_lo, s13
; %bb.9186:                             ;   in Loop: Header=BB6_8078 Depth=3
	s_delay_alu instid0(VALU_DEP_2) | instskip(SKIP_2) | instid1(VALU_DEP_2)
	v_cmp_lt_u32_e32 vcc_lo, 0xffffff, v37
	v_sub_nc_u32_e32 v36, v38, v39
	v_cndmask_b32_e64 v38, 0, 1, vcc_lo
	v_add_co_ci_u32_e32 v36, vcc_lo, 0, v36, vcc_lo
	s_delay_alu instid0(VALU_DEP_2)
	v_lshrrev_b32_e32 v37, v38, v37
; %bb.9187:                             ;   in Loop: Header=BB6_8078 Depth=3
	s_and_not1_saveexec_b32 s13, s13
; %bb.9188:                             ;   in Loop: Header=BB6_8078 Depth=3
	s_delay_alu instid0(VALU_DEP_1)
	v_bfe_u32 v36, v37, 23, 1
; %bb.9189:                             ;   in Loop: Header=BB6_8078 Depth=3
	s_or_b32 exec_lo, exec_lo, s13
	v_lshrrev_b32_e32 v37, 21, v37
	s_delay_alu instid0(VALU_DEP_2) | instskip(SKIP_2) | instid1(VALU_DEP_4)
	v_cmp_gt_i32_e32 vcc_lo, 32, v36
	v_lshrrev_b32_e32 v27, 24, v27
	v_min_i32_e32 v38, 31, v36
	v_cndmask_b32_e32 v37, 3, v37, vcc_lo
	s_delay_alu instid0(VALU_DEP_3) | instskip(NEXT) | instid1(VALU_DEP_3)
	v_and_b32_e32 v27, 0x80, v27
	v_lshlrev_b32_e32 v38, 2, v38
	s_delay_alu instid0(VALU_DEP_3) | instskip(SKIP_1) | instid1(VALU_DEP_2)
	v_and_b32_e32 v39, 3, v37
	v_or_b32_e32 v36, v36, v37
	v_or3_b32 v27, v38, v27, v39
	s_delay_alu instid0(VALU_DEP_2) | instskip(NEXT) | instid1(VALU_DEP_2)
	v_cmp_ne_u32_e32 vcc_lo, 0, v36
	v_cndmask_b32_e32 v109, 0, v27, vcc_lo
.LBB6_9190:                             ;   in Loop: Header=BB6_8078 Depth=3
	s_or_b32 exec_lo, exec_lo, s30
.LBB6_9191:                             ;   in Loop: Header=BB6_8078 Depth=3
	s_delay_alu instid0(SALU_CYCLE_1) | instskip(SKIP_3) | instid1(VALU_DEP_1)
	s_or_b32 exec_lo, exec_lo, s17
	v_lshrrev_b16 v36, 8, v26
	s_mov_b32 s13, 0
	s_mov_b32 s30, exec_lo
                                        ; implicit-def: $sgpr17
	v_cmpx_lt_i16_e32 0x7f, v36
	s_xor_b32 s30, exec_lo, s30
	s_cbranch_execnz .LBB6_10301
; %bb.9192:                             ;   in Loop: Header=BB6_8078 Depth=3
	s_or_saveexec_b32 s30, s30
	v_mov_b32_e32 v27, s17
	s_xor_b32 exec_lo, exec_lo, s30
	s_cbranch_execnz .LBB6_10304
.LBB6_9193:                             ;   in Loop: Header=BB6_8078 Depth=3
	s_or_b32 exec_lo, exec_lo, s30
	s_and_saveexec_b32 s17, s13
	s_cbranch_execz .LBB6_9195
.LBB6_9194:                             ;   in Loop: Header=BB6_8078 Depth=3
	v_and_b32_e32 v27, 0xffff, v36
	s_delay_alu instid0(VALU_DEP_1) | instskip(NEXT) | instid1(VALU_DEP_1)
	v_and_b32_e32 v37, 3, v27
	v_clz_i32_u32_e32 v38, v37
	s_delay_alu instid0(VALU_DEP_1) | instskip(NEXT) | instid1(VALU_DEP_1)
	v_min_u32_e32 v38, 32, v38
	v_subrev_nc_u32_e32 v39, 29, v38
	v_sub_nc_u32_e32 v38, 30, v38
	s_delay_alu instid0(VALU_DEP_2) | instskip(SKIP_1) | instid1(VALU_DEP_2)
	v_lshlrev_b32_e32 v39, v39, v27
	v_bfe_u32 v27, v27, 2, 5
	v_and_b32_e32 v39, 3, v39
	s_delay_alu instid0(VALU_DEP_2) | instskip(SKIP_1) | instid1(VALU_DEP_1)
	v_cmp_eq_u32_e32 vcc_lo, 0, v27
	v_dual_cndmask_b32 v27, v27, v38 :: v_dual_lshlrev_b32 v36, 24, v36
	v_dual_cndmask_b32 v37, v37, v39 :: v_dual_and_b32 v36, 0x80000000, v36
	s_delay_alu instid0(VALU_DEP_2) | instskip(NEXT) | instid1(VALU_DEP_2)
	v_lshl_add_u32 v27, v27, 23, 0x37800000
	v_lshlrev_b32_e32 v37, 21, v37
	s_delay_alu instid0(VALU_DEP_1)
	v_or3_b32 v27, v36, v27, v37
.LBB6_9195:                             ;   in Loop: Header=BB6_8078 Depth=3
	s_or_b32 exec_lo, exec_lo, s17
	v_lshrrev_b16 v36, 8, v17
	s_mov_b32 s13, 0
	s_mov_b32 s30, exec_lo
                                        ; implicit-def: $sgpr17
	s_delay_alu instid0(VALU_DEP_1)
	v_cmpx_lt_i16_e32 0x7f, v36
	s_xor_b32 s30, exec_lo, s30
	s_cbranch_execnz .LBB6_10305
; %bb.9196:                             ;   in Loop: Header=BB6_8078 Depth=3
	s_or_saveexec_b32 s30, s30
	v_mov_b32_e32 v37, s17
	s_xor_b32 exec_lo, exec_lo, s30
	s_cbranch_execnz .LBB6_10308
.LBB6_9197:                             ;   in Loop: Header=BB6_8078 Depth=3
	s_or_b32 exec_lo, exec_lo, s30
	s_and_saveexec_b32 s17, s13
	s_cbranch_execz .LBB6_9199
.LBB6_9198:                             ;   in Loop: Header=BB6_8078 Depth=3
	v_and_b32_e32 v37, 0xffff, v36
	v_lshlrev_b32_e32 v36, 24, v36
	s_delay_alu instid0(VALU_DEP_2) | instskip(NEXT) | instid1(VALU_DEP_2)
	v_and_b32_e32 v38, 3, v37
	v_and_b32_e32 v36, 0x80000000, v36
	s_delay_alu instid0(VALU_DEP_2) | instskip(NEXT) | instid1(VALU_DEP_1)
	v_clz_i32_u32_e32 v39, v38
	v_min_u32_e32 v39, 32, v39
	s_delay_alu instid0(VALU_DEP_1) | instskip(SKIP_1) | instid1(VALU_DEP_2)
	v_subrev_nc_u32_e32 v48, 29, v39
	v_sub_nc_u32_e32 v39, 30, v39
	v_lshlrev_b32_e32 v48, v48, v37
	v_bfe_u32 v37, v37, 2, 5
	s_delay_alu instid0(VALU_DEP_2) | instskip(NEXT) | instid1(VALU_DEP_2)
	v_and_b32_e32 v48, 3, v48
	v_cmp_eq_u32_e32 vcc_lo, 0, v37
	s_delay_alu instid0(VALU_DEP_2) | instskip(NEXT) | instid1(VALU_DEP_1)
	v_dual_cndmask_b32 v37, v37, v39 :: v_dual_cndmask_b32 v38, v38, v48
	v_lshl_add_u32 v37, v37, 23, 0x37800000
	s_delay_alu instid0(VALU_DEP_2) | instskip(NEXT) | instid1(VALU_DEP_1)
	v_lshlrev_b32_e32 v38, 21, v38
	v_or3_b32 v37, v36, v37, v38
.LBB6_9199:                             ;   in Loop: Header=BB6_8078 Depth=3
	s_or_b32 exec_lo, exec_lo, s17
	s_delay_alu instid0(VALU_DEP_1) | instskip(SKIP_1) | instid1(VALU_DEP_1)
	v_dual_add_f32 v27, v27, v37 :: v_dual_mov_b32 v110, 0x8000
	s_mov_b32 s17, exec_lo
	v_and_b32_e32 v36, 0x7f800000, v27
	s_delay_alu instid0(VALU_DEP_1)
	v_cmpx_ne_u32_e32 0x7f800000, v36
	s_cbranch_execz .LBB6_9207
; %bb.9200:                             ;   in Loop: Header=BB6_8078 Depth=3
	v_mov_b32_e32 v110, 0
	s_mov_b32 s30, exec_lo
	v_cmpx_ne_u32_e32 0, v27
	s_cbranch_execz .LBB6_9206
; %bb.9201:                             ;   in Loop: Header=BB6_8078 Depth=3
	v_bfe_u32 v36, v27, 23, 8
	s_delay_alu instid0(VALU_DEP_1) | instskip(SKIP_1) | instid1(VALU_DEP_2)
	v_sub_nc_u32_e32 v38, 0x70, v36
	v_cmp_gt_u32_e32 vcc_lo, 0x71, v36
	v_dual_cndmask_b32 v38, 0, v38 :: v_dual_and_b32 v37, 0x7fffff, v27
	s_delay_alu instid0(VALU_DEP_1) | instskip(SKIP_2) | instid1(VALU_DEP_4)
	v_or_b32_e32 v39, 0x800000, v37
	v_cmp_eq_u32_e32 vcc_lo, 0, v36
	v_add_nc_u32_e32 v36, 0xffffff91, v36
	v_cndmask_b32_e64 v38, v38, 0x6f, vcc_lo
	s_delay_alu instid0(VALU_DEP_4) | instskip(NEXT) | instid1(VALU_DEP_3)
	v_cndmask_b32_e32 v37, v39, v37, vcc_lo
	v_cndmask_b32_e64 v36, v36, 0xffffff92, vcc_lo
	s_delay_alu instid0(VALU_DEP_3) | instskip(NEXT) | instid1(VALU_DEP_3)
	v_lshl_add_u32 v39, 0x200000, v38, -1
	v_lshrrev_b32_e32 v48, v38, v37
	v_lshlrev_b32_e64 v50, v38, 0x100000
	s_delay_alu instid0(VALU_DEP_4) | instskip(NEXT) | instid1(VALU_DEP_4)
	v_add_nc_u32_e32 v38, v38, v36
	v_and_b32_e32 v37, v39, v37
	s_delay_alu instid0(VALU_DEP_4) | instskip(NEXT) | instid1(VALU_DEP_2)
	v_bfe_u32 v49, v48, 21, 1
	v_cmp_eq_u32_e64 s13, v37, v50
	s_delay_alu instid0(VALU_DEP_2) | instskip(NEXT) | instid1(VALU_DEP_1)
	v_add_nc_u32_e32 v39, -1, v49
	v_cndmask_b32_e64 v37, 0, v39, s13
	v_lshrrev_b32_e32 v39, 23, v48
	s_mov_b32 s13, exec_lo
	s_delay_alu instid0(VALU_DEP_2) | instskip(NEXT) | instid1(VALU_DEP_2)
	v_add_nc_u32_e32 v37, v37, v48
	v_xor_b32_e32 v39, 1, v39
	s_delay_alu instid0(VALU_DEP_2) | instskip(NEXT) | instid1(VALU_DEP_1)
	v_and_b32_e32 v36, 0x1fffff, v37
	v_add_nc_u32_e32 v37, v36, v48
                                        ; implicit-def: $vgpr36
	s_delay_alu instid0(VALU_DEP_3)
	v_cmpx_ne_u32_e64 v38, v39
	s_xor_b32 s13, exec_lo, s13
; %bb.9202:                             ;   in Loop: Header=BB6_8078 Depth=3
	s_delay_alu instid0(VALU_DEP_2) | instskip(SKIP_2) | instid1(VALU_DEP_2)
	v_cmp_lt_u32_e32 vcc_lo, 0xffffff, v37
	v_sub_nc_u32_e32 v36, v38, v39
	v_cndmask_b32_e64 v38, 0, 1, vcc_lo
	v_add_co_ci_u32_e32 v36, vcc_lo, 0, v36, vcc_lo
	s_delay_alu instid0(VALU_DEP_2)
	v_lshrrev_b32_e32 v37, v38, v37
; %bb.9203:                             ;   in Loop: Header=BB6_8078 Depth=3
	s_and_not1_saveexec_b32 s13, s13
; %bb.9204:                             ;   in Loop: Header=BB6_8078 Depth=3
	s_delay_alu instid0(VALU_DEP_1)
	v_bfe_u32 v36, v37, 23, 1
; %bb.9205:                             ;   in Loop: Header=BB6_8078 Depth=3
	s_or_b32 exec_lo, exec_lo, s13
	v_lshrrev_b32_e32 v37, 21, v37
	s_delay_alu instid0(VALU_DEP_2) | instskip(SKIP_2) | instid1(VALU_DEP_2)
	v_cmp_gt_i32_e32 vcc_lo, 32, v36
	v_min_i32_e32 v38, 31, v36
	v_lshrrev_b32_e32 v27, 24, v27
	v_dual_cndmask_b32 v37, 3, v37 :: v_dual_lshlrev_b32 v38, 2, v38
	s_delay_alu instid0(VALU_DEP_2) | instskip(NEXT) | instid1(VALU_DEP_2)
	v_and_b32_e32 v27, 0x80, v27
	v_or_b32_e32 v36, v36, v37
	s_delay_alu instid0(VALU_DEP_3) | instskip(NEXT) | instid1(VALU_DEP_2)
	v_and_b32_e32 v38, 0xfc, v38
	v_cmp_ne_u32_e32 vcc_lo, 0, v36
	v_and_b32_e32 v39, 3, v37
	s_delay_alu instid0(VALU_DEP_1) | instskip(NEXT) | instid1(VALU_DEP_1)
	v_or3_b32 v27, v27, v38, v39
	v_lshlrev_b32_e32 v27, 8, v27
	s_delay_alu instid0(VALU_DEP_1)
	v_cndmask_b32_e32 v110, 0, v27, vcc_lo
.LBB6_9206:                             ;   in Loop: Header=BB6_8078 Depth=3
	s_or_b32 exec_lo, exec_lo, s30
.LBB6_9207:                             ;   in Loop: Header=BB6_8078 Depth=3
	s_delay_alu instid0(SALU_CYCLE_1) | instskip(SKIP_3) | instid1(VALU_DEP_1)
	s_or_b32 exec_lo, exec_lo, s17
	v_or_b32_e32 v36, v111, v107
	s_mov_b32 s13, 0
	s_mov_b32 s30, exec_lo
                                        ; implicit-def: $sgpr17
	v_and_b32_e32 v37, 0xff, v36
	s_delay_alu instid0(VALU_DEP_1)
	v_cmpx_lt_i16_e32 0x7f, v37
	s_xor_b32 s30, exec_lo, s30
	s_cbranch_execnz .LBB6_10309
; %bb.9208:                             ;   in Loop: Header=BB6_8078 Depth=3
	s_or_saveexec_b32 s30, s30
	v_mov_b32_e32 v27, s17
	s_xor_b32 exec_lo, exec_lo, s30
	s_cbranch_execnz .LBB6_10312
.LBB6_9209:                             ;   in Loop: Header=BB6_8078 Depth=3
	s_or_b32 exec_lo, exec_lo, s30
	v_lshl_or_b32 v26, v36, 16, v26
	s_and_saveexec_b32 s17, s13
	s_cbranch_execz .LBB6_9211
.LBB6_9210:                             ;   in Loop: Header=BB6_8078 Depth=3
	s_delay_alu instid0(VALU_DEP_1) | instskip(SKIP_2) | instid1(VALU_DEP_3)
	v_bfe_u32 v27, v26, 16, 2
	v_lshrrev_b32_e32 v37, 16, v26
	v_lshlrev_b32_e32 v39, 8, v26
	v_clz_i32_u32_e32 v36, v27
	s_delay_alu instid0(VALU_DEP_1) | instskip(NEXT) | instid1(VALU_DEP_1)
	v_min_u32_e32 v36, 32, v36
	v_subrev_nc_u32_e32 v38, 29, v36
	v_sub_nc_u32_e32 v36, 30, v36
	s_delay_alu instid0(VALU_DEP_2) | instskip(SKIP_1) | instid1(VALU_DEP_1)
	v_lshlrev_b32_e32 v37, v38, v37
	v_bfe_u32 v38, v26, 18, 5
	v_cmp_eq_u32_e32 vcc_lo, 0, v38
	s_delay_alu instid0(VALU_DEP_3) | instskip(NEXT) | instid1(VALU_DEP_1)
	v_dual_cndmask_b32 v36, v38, v36 :: v_dual_and_b32 v37, 3, v37
	v_cndmask_b32_e32 v27, v27, v37, vcc_lo
	v_and_b32_e32 v37, 0x80000000, v39
	s_delay_alu instid0(VALU_DEP_3) | instskip(NEXT) | instid1(VALU_DEP_3)
	v_lshl_add_u32 v36, v36, 23, 0x37800000
	v_lshlrev_b32_e32 v27, 21, v27
	s_delay_alu instid0(VALU_DEP_1)
	v_or3_b32 v27, v37, v36, v27
.LBB6_9211:                             ;   in Loop: Header=BB6_8078 Depth=3
	s_or_b32 exec_lo, exec_lo, s17
	v_lshrrev_b32_e32 v36, 16, v17
	s_mov_b32 s13, 0
	s_mov_b32 s30, exec_lo
                                        ; implicit-def: $sgpr17
	s_delay_alu instid0(VALU_DEP_1) | instskip(NEXT) | instid1(VALU_DEP_1)
	v_and_b32_e32 v38, 0xff, v36
	v_cmpx_lt_i16_e32 0x7f, v38
	s_xor_b32 s30, exec_lo, s30
	s_cbranch_execnz .LBB6_10313
; %bb.9212:                             ;   in Loop: Header=BB6_8078 Depth=3
	s_or_saveexec_b32 s30, s30
	v_mov_b32_e32 v37, s17
	s_xor_b32 exec_lo, exec_lo, s30
	s_cbranch_execnz .LBB6_10316
.LBB6_9213:                             ;   in Loop: Header=BB6_8078 Depth=3
	s_or_b32 exec_lo, exec_lo, s30
	s_and_saveexec_b32 s17, s13
	s_cbranch_execz .LBB6_9215
.LBB6_9214:                             ;   in Loop: Header=BB6_8078 Depth=3
	v_bfe_u32 v37, v17, 16, 2
	v_lshlrev_b32_e32 v48, 8, v17
	s_delay_alu instid0(VALU_DEP_2) | instskip(NEXT) | instid1(VALU_DEP_1)
	v_clz_i32_u32_e32 v38, v37
	v_min_u32_e32 v38, 32, v38
	s_delay_alu instid0(VALU_DEP_1) | instskip(SKIP_1) | instid1(VALU_DEP_2)
	v_subrev_nc_u32_e32 v39, 29, v38
	v_sub_nc_u32_e32 v38, 30, v38
	v_lshlrev_b32_e32 v36, v39, v36
	v_bfe_u32 v39, v17, 18, 5
	s_delay_alu instid0(VALU_DEP_2) | instskip(NEXT) | instid1(VALU_DEP_2)
	v_and_b32_e32 v36, 3, v36
	v_cmp_eq_u32_e32 vcc_lo, 0, v39
	v_cndmask_b32_e32 v38, v39, v38, vcc_lo
	s_delay_alu instid0(VALU_DEP_3) | instskip(SKIP_1) | instid1(VALU_DEP_3)
	v_cndmask_b32_e32 v36, v37, v36, vcc_lo
	v_and_b32_e32 v37, 0x80000000, v48
	v_lshl_add_u32 v38, v38, 23, 0x37800000
	s_delay_alu instid0(VALU_DEP_3) | instskip(NEXT) | instid1(VALU_DEP_1)
	v_lshlrev_b32_e32 v36, 21, v36
	v_or3_b32 v37, v37, v38, v36
.LBB6_9215:                             ;   in Loop: Header=BB6_8078 Depth=3
	s_or_b32 exec_lo, exec_lo, s17
	s_delay_alu instid0(VALU_DEP_1) | instskip(SKIP_2) | instid1(VALU_DEP_2)
	v_add_f32_e32 v27, v27, v37
	v_mov_b32_e32 v107, 0x80
	s_mov_b32 s17, exec_lo
	v_and_b32_e32 v36, 0x7f800000, v27
	s_delay_alu instid0(VALU_DEP_1)
	v_cmpx_ne_u32_e32 0x7f800000, v36
	s_cbranch_execz .LBB6_9223
; %bb.9216:                             ;   in Loop: Header=BB6_8078 Depth=3
	v_mov_b32_e32 v107, 0
	s_mov_b32 s30, exec_lo
	v_cmpx_ne_u32_e32 0, v27
	s_cbranch_execz .LBB6_9222
; %bb.9217:                             ;   in Loop: Header=BB6_8078 Depth=3
	v_bfe_u32 v36, v27, 23, 8
	s_delay_alu instid0(VALU_DEP_1) | instskip(SKIP_1) | instid1(VALU_DEP_2)
	v_sub_nc_u32_e32 v38, 0x70, v36
	v_cmp_gt_u32_e32 vcc_lo, 0x71, v36
	v_dual_cndmask_b32 v38, 0, v38 :: v_dual_and_b32 v37, 0x7fffff, v27
	s_delay_alu instid0(VALU_DEP_1) | instskip(SKIP_2) | instid1(VALU_DEP_4)
	v_or_b32_e32 v39, 0x800000, v37
	v_cmp_eq_u32_e32 vcc_lo, 0, v36
	v_add_nc_u32_e32 v36, 0xffffff91, v36
	v_cndmask_b32_e64 v38, v38, 0x6f, vcc_lo
	s_delay_alu instid0(VALU_DEP_4) | instskip(NEXT) | instid1(VALU_DEP_3)
	v_cndmask_b32_e32 v37, v39, v37, vcc_lo
	v_cndmask_b32_e64 v36, v36, 0xffffff92, vcc_lo
	s_delay_alu instid0(VALU_DEP_3) | instskip(NEXT) | instid1(VALU_DEP_3)
	v_lshl_add_u32 v39, 0x200000, v38, -1
	v_lshrrev_b32_e32 v48, v38, v37
	v_lshlrev_b32_e64 v50, v38, 0x100000
	s_delay_alu instid0(VALU_DEP_4) | instskip(NEXT) | instid1(VALU_DEP_4)
	v_add_nc_u32_e32 v38, v38, v36
	v_and_b32_e32 v37, v39, v37
	s_delay_alu instid0(VALU_DEP_4) | instskip(NEXT) | instid1(VALU_DEP_2)
	v_bfe_u32 v49, v48, 21, 1
	v_cmp_eq_u32_e64 s13, v37, v50
	s_delay_alu instid0(VALU_DEP_2) | instskip(NEXT) | instid1(VALU_DEP_1)
	v_add_nc_u32_e32 v39, -1, v49
	v_cndmask_b32_e64 v37, 0, v39, s13
	v_lshrrev_b32_e32 v39, 23, v48
	s_mov_b32 s13, exec_lo
	s_delay_alu instid0(VALU_DEP_2) | instskip(NEXT) | instid1(VALU_DEP_2)
	v_add_nc_u32_e32 v37, v37, v48
	v_xor_b32_e32 v39, 1, v39
	s_delay_alu instid0(VALU_DEP_2) | instskip(NEXT) | instid1(VALU_DEP_1)
	v_and_b32_e32 v36, 0x1fffff, v37
	v_add_nc_u32_e32 v37, v36, v48
                                        ; implicit-def: $vgpr36
	s_delay_alu instid0(VALU_DEP_3)
	v_cmpx_ne_u32_e64 v38, v39
	s_xor_b32 s13, exec_lo, s13
; %bb.9218:                             ;   in Loop: Header=BB6_8078 Depth=3
	s_delay_alu instid0(VALU_DEP_2) | instskip(SKIP_2) | instid1(VALU_DEP_2)
	v_cmp_lt_u32_e32 vcc_lo, 0xffffff, v37
	v_sub_nc_u32_e32 v36, v38, v39
	v_cndmask_b32_e64 v38, 0, 1, vcc_lo
	v_add_co_ci_u32_e32 v36, vcc_lo, 0, v36, vcc_lo
	s_delay_alu instid0(VALU_DEP_2)
	v_lshrrev_b32_e32 v37, v38, v37
; %bb.9219:                             ;   in Loop: Header=BB6_8078 Depth=3
	s_and_not1_saveexec_b32 s13, s13
; %bb.9220:                             ;   in Loop: Header=BB6_8078 Depth=3
	s_delay_alu instid0(VALU_DEP_1)
	v_bfe_u32 v36, v37, 23, 1
; %bb.9221:                             ;   in Loop: Header=BB6_8078 Depth=3
	s_or_b32 exec_lo, exec_lo, s13
	v_lshrrev_b32_e32 v37, 21, v37
	s_delay_alu instid0(VALU_DEP_2) | instskip(SKIP_2) | instid1(VALU_DEP_2)
	v_cmp_gt_i32_e32 vcc_lo, 32, v36
	v_min_i32_e32 v38, 31, v36
	v_lshrrev_b32_e32 v27, 24, v27
	v_dual_cndmask_b32 v37, 3, v37 :: v_dual_lshlrev_b32 v38, 2, v38
	s_delay_alu instid0(VALU_DEP_2) | instskip(NEXT) | instid1(VALU_DEP_2)
	v_and_b32_e32 v27, 0x80, v27
	v_or_b32_e32 v36, v36, v37
	v_and_b32_e32 v39, 3, v37
	s_delay_alu instid0(VALU_DEP_2) | instskip(SKIP_1) | instid1(VALU_DEP_1)
	v_cmp_ne_u32_e32 vcc_lo, 0, v36
	v_and_b32_e32 v38, 0xfc, v38
	v_or3_b32 v27, v38, v27, v39
	s_delay_alu instid0(VALU_DEP_1)
	v_cndmask_b32_e32 v107, 0, v27, vcc_lo
.LBB6_9222:                             ;   in Loop: Header=BB6_8078 Depth=3
	s_or_b32 exec_lo, exec_lo, s30
.LBB6_9223:                             ;   in Loop: Header=BB6_8078 Depth=3
	s_delay_alu instid0(SALU_CYCLE_1) | instskip(SKIP_3) | instid1(VALU_DEP_1)
	s_or_b32 exec_lo, exec_lo, s17
	v_lshrrev_b32_e32 v36, 24, v26
	s_mov_b32 s13, 0
	s_mov_b32 s30, exec_lo
                                        ; implicit-def: $sgpr17
	v_cmpx_lt_i16_e32 0x7f, v36
	s_xor_b32 s30, exec_lo, s30
	s_cbranch_execnz .LBB6_10317
; %bb.9224:                             ;   in Loop: Header=BB6_8078 Depth=3
	s_or_saveexec_b32 s30, s30
	v_mov_b32_e32 v27, s17
	s_xor_b32 exec_lo, exec_lo, s30
	s_cbranch_execnz .LBB6_10320
.LBB6_9225:                             ;   in Loop: Header=BB6_8078 Depth=3
	s_or_b32 exec_lo, exec_lo, s30
	s_and_saveexec_b32 s17, s13
	s_cbranch_execz .LBB6_9227
.LBB6_9226:                             ;   in Loop: Header=BB6_8078 Depth=3
	v_bfe_u32 v27, v26, 24, 2
	s_delay_alu instid0(VALU_DEP_1) | instskip(NEXT) | instid1(VALU_DEP_1)
	v_clz_i32_u32_e32 v37, v27
	v_min_u32_e32 v37, 32, v37
	s_delay_alu instid0(VALU_DEP_1) | instskip(SKIP_1) | instid1(VALU_DEP_2)
	v_subrev_nc_u32_e32 v38, 29, v37
	v_sub_nc_u32_e32 v37, 30, v37
	v_lshlrev_b32_e32 v36, v38, v36
	v_bfe_u32 v38, v26, 26, 5
	v_and_b32_e32 v26, 0x80000000, v26
	s_delay_alu instid0(VALU_DEP_2) | instskip(NEXT) | instid1(VALU_DEP_4)
	v_cmp_eq_u32_e32 vcc_lo, 0, v38
	v_dual_cndmask_b32 v37, v38, v37 :: v_dual_and_b32 v36, 3, v36
	s_delay_alu instid0(VALU_DEP_1) | instskip(NEXT) | instid1(VALU_DEP_2)
	v_cndmask_b32_e32 v27, v27, v36, vcc_lo
	v_lshl_add_u32 v36, v37, 23, 0x37800000
	s_delay_alu instid0(VALU_DEP_2) | instskip(NEXT) | instid1(VALU_DEP_1)
	v_lshlrev_b32_e32 v27, 21, v27
	v_or3_b32 v27, v26, v36, v27
.LBB6_9227:                             ;   in Loop: Header=BB6_8078 Depth=3
	s_or_b32 exec_lo, exec_lo, s17
	v_lshrrev_b32_e32 v26, 24, v17
	s_mov_b32 s13, 0
	s_mov_b32 s30, exec_lo
                                        ; implicit-def: $sgpr17
	s_delay_alu instid0(VALU_DEP_1)
	v_cmpx_lt_i16_e32 0x7f, v26
	s_xor_b32 s30, exec_lo, s30
	s_cbranch_execnz .LBB6_10321
; %bb.9228:                             ;   in Loop: Header=BB6_8078 Depth=3
	s_or_saveexec_b32 s30, s30
	v_mov_b32_e32 v36, s17
	s_xor_b32 exec_lo, exec_lo, s30
	s_cbranch_execnz .LBB6_10324
.LBB6_9229:                             ;   in Loop: Header=BB6_8078 Depth=3
	s_or_b32 exec_lo, exec_lo, s30
	s_and_saveexec_b32 s17, s13
	s_cbranch_execz .LBB6_9231
.LBB6_9230:                             ;   in Loop: Header=BB6_8078 Depth=3
	v_bfe_u32 v36, v17, 24, 2
	s_delay_alu instid0(VALU_DEP_1) | instskip(NEXT) | instid1(VALU_DEP_1)
	v_clz_i32_u32_e32 v37, v36
	v_min_u32_e32 v37, 32, v37
	s_delay_alu instid0(VALU_DEP_1) | instskip(SKIP_1) | instid1(VALU_DEP_2)
	v_subrev_nc_u32_e32 v38, 29, v37
	v_sub_nc_u32_e32 v37, 30, v37
	v_lshlrev_b32_e32 v26, v38, v26
	v_bfe_u32 v38, v17, 26, 5
	v_and_b32_e32 v17, 0x80000000, v17
	s_delay_alu instid0(VALU_DEP_2) | instskip(NEXT) | instid1(VALU_DEP_4)
	v_cmp_eq_u32_e32 vcc_lo, 0, v38
	v_dual_cndmask_b32 v37, v38, v37 :: v_dual_and_b32 v26, 3, v26
	s_delay_alu instid0(VALU_DEP_1) | instskip(NEXT) | instid1(VALU_DEP_2)
	v_cndmask_b32_e32 v26, v36, v26, vcc_lo
	v_lshl_add_u32 v36, v37, 23, 0x37800000
	s_delay_alu instid0(VALU_DEP_2) | instskip(NEXT) | instid1(VALU_DEP_1)
	v_lshlrev_b32_e32 v26, 21, v26
	v_or3_b32 v36, v17, v36, v26
.LBB6_9231:                             ;   in Loop: Header=BB6_8078 Depth=3
	s_or_b32 exec_lo, exec_lo, s17
	s_delay_alu instid0(VALU_DEP_1) | instskip(NEXT) | instid1(VALU_DEP_1)
	v_add_f32_e32 v26, v27, v36
	v_and_b32_e32 v17, 0x7f800000, v26
	s_delay_alu instid0(VALU_DEP_1)
	v_cmp_ne_u32_e32 vcc_lo, 0x7f800000, v17
	v_mov_b32_e32 v17, 0x8000
	s_and_saveexec_b32 s17, vcc_lo
	s_cbranch_execz .LBB6_9239
; %bb.9232:                             ;   in Loop: Header=BB6_8078 Depth=3
	v_mov_b32_e32 v17, 0
	s_mov_b32 s30, exec_lo
	v_cmpx_ne_u32_e32 0, v26
	s_cbranch_execz .LBB6_9238
; %bb.9233:                             ;   in Loop: Header=BB6_8078 Depth=3
	v_bfe_u32 v17, v26, 23, 8
	s_delay_alu instid0(VALU_DEP_1) | instskip(SKIP_1) | instid1(VALU_DEP_2)
	v_sub_nc_u32_e32 v36, 0x70, v17
	v_cmp_gt_u32_e32 vcc_lo, 0x71, v17
	v_dual_cndmask_b32 v36, 0, v36 :: v_dual_and_b32 v27, 0x7fffff, v26
	s_delay_alu instid0(VALU_DEP_1) | instskip(SKIP_2) | instid1(VALU_DEP_4)
	v_or_b32_e32 v37, 0x800000, v27
	v_cmp_eq_u32_e32 vcc_lo, 0, v17
	v_add_nc_u32_e32 v17, 0xffffff91, v17
	v_cndmask_b32_e64 v36, v36, 0x6f, vcc_lo
	s_delay_alu instid0(VALU_DEP_2) | instskip(SKIP_1) | instid1(VALU_DEP_3)
	v_cndmask_b32_e64 v17, v17, 0xffffff92, vcc_lo
	v_cndmask_b32_e32 v27, v37, v27, vcc_lo
	v_lshl_add_u32 v37, 0x200000, v36, -1
	v_lshlrev_b32_e64 v48, v36, 0x100000
	s_delay_alu instid0(VALU_DEP_3) | instskip(SKIP_1) | instid1(VALU_DEP_4)
	v_lshrrev_b32_e32 v38, v36, v27
	v_add_nc_u32_e32 v36, v36, v17
	v_and_b32_e32 v27, v37, v27
	s_delay_alu instid0(VALU_DEP_3) | instskip(NEXT) | instid1(VALU_DEP_2)
	v_bfe_u32 v39, v38, 21, 1
	v_cmp_eq_u32_e64 s13, v27, v48
	s_delay_alu instid0(VALU_DEP_2) | instskip(NEXT) | instid1(VALU_DEP_1)
	v_add_nc_u32_e32 v37, -1, v39
	v_cndmask_b32_e64 v27, 0, v37, s13
	v_lshrrev_b32_e32 v37, 23, v38
	s_mov_b32 s13, exec_lo
	s_delay_alu instid0(VALU_DEP_2) | instskip(NEXT) | instid1(VALU_DEP_2)
	v_add_nc_u32_e32 v27, v27, v38
	v_xor_b32_e32 v37, 1, v37
	s_delay_alu instid0(VALU_DEP_2) | instskip(NEXT) | instid1(VALU_DEP_1)
	v_and_b32_e32 v17, 0x1fffff, v27
	v_add_nc_u32_e32 v27, v17, v38
                                        ; implicit-def: $vgpr17
	s_delay_alu instid0(VALU_DEP_3)
	v_cmpx_ne_u32_e64 v36, v37
	s_xor_b32 s13, exec_lo, s13
; %bb.9234:                             ;   in Loop: Header=BB6_8078 Depth=3
	s_delay_alu instid0(VALU_DEP_2) | instskip(SKIP_2) | instid1(VALU_DEP_2)
	v_cmp_lt_u32_e32 vcc_lo, 0xffffff, v27
	v_sub_nc_u32_e32 v17, v36, v37
	v_cndmask_b32_e64 v36, 0, 1, vcc_lo
	v_add_co_ci_u32_e32 v17, vcc_lo, 0, v17, vcc_lo
	s_delay_alu instid0(VALU_DEP_2)
	v_lshrrev_b32_e32 v27, v36, v27
; %bb.9235:                             ;   in Loop: Header=BB6_8078 Depth=3
	s_and_not1_saveexec_b32 s13, s13
; %bb.9236:                             ;   in Loop: Header=BB6_8078 Depth=3
	s_delay_alu instid0(VALU_DEP_1)
	v_bfe_u32 v17, v27, 23, 1
; %bb.9237:                             ;   in Loop: Header=BB6_8078 Depth=3
	s_or_b32 exec_lo, exec_lo, s13
	v_lshrrev_b32_e32 v27, 21, v27
	s_delay_alu instid0(VALU_DEP_2) | instskip(SKIP_2) | instid1(VALU_DEP_2)
	v_cmp_gt_i32_e32 vcc_lo, 32, v17
	v_min_i32_e32 v36, 31, v17
	v_lshrrev_b32_e32 v26, 24, v26
	v_dual_cndmask_b32 v27, 3, v27 :: v_dual_lshlrev_b32 v36, 2, v36
	s_delay_alu instid0(VALU_DEP_2) | instskip(NEXT) | instid1(VALU_DEP_2)
	v_and_b32_e32 v26, 0x80, v26
	v_or_b32_e32 v17, v17, v27
	v_and_b32_e32 v37, 3, v27
	s_delay_alu instid0(VALU_DEP_2) | instskip(SKIP_1) | instid1(VALU_DEP_1)
	v_cmp_ne_u32_e32 vcc_lo, 0, v17
	v_and_b32_e32 v36, 0xfc, v36
	v_or3_b32 v26, v26, v36, v37
	s_delay_alu instid0(VALU_DEP_1) | instskip(NEXT) | instid1(VALU_DEP_1)
	v_lshlrev_b32_e32 v26, 8, v26
	v_cndmask_b32_e32 v17, 0, v26, vcc_lo
.LBB6_9238:                             ;   in Loop: Header=BB6_8078 Depth=3
	s_or_b32 exec_lo, exec_lo, s30
.LBB6_9239:                             ;   in Loop: Header=BB6_8078 Depth=3
	s_delay_alu instid0(SALU_CYCLE_1) | instskip(SKIP_3) | instid1(VALU_DEP_1)
	s_or_b32 exec_lo, exec_lo, s17
	v_and_b32_e32 v27, 0xff, v105
	s_mov_b32 s13, 0
	s_mov_b32 s30, exec_lo
                                        ; implicit-def: $sgpr17
	v_cmpx_lt_i16_e32 0x7f, v27
	s_xor_b32 s30, exec_lo, s30
	s_cbranch_execnz .LBB6_10325
; %bb.9240:                             ;   in Loop: Header=BB6_8078 Depth=3
	s_or_saveexec_b32 s30, s30
	v_mov_b32_e32 v26, s17
	s_xor_b32 exec_lo, exec_lo, s30
	s_cbranch_execnz .LBB6_10328
.LBB6_9241:                             ;   in Loop: Header=BB6_8078 Depth=3
	s_or_b32 exec_lo, exec_lo, s30
	s_and_saveexec_b32 s17, s13
	s_cbranch_execz .LBB6_9243
.LBB6_9242:                             ;   in Loop: Header=BB6_8078 Depth=3
	v_bfe_u32 v37, v105, 2, 5
	v_lshlrev_b32_e32 v38, 24, v105
	s_delay_alu instid0(VALU_DEP_2) | instskip(SKIP_1) | instid1(VALU_DEP_1)
	v_cmp_eq_u32_e32 vcc_lo, 0, v37
	v_and_b32_e32 v26, 3, v105
	v_clz_i32_u32_e32 v27, v26
	s_delay_alu instid0(VALU_DEP_1) | instskip(NEXT) | instid1(VALU_DEP_1)
	v_min_u32_e32 v27, 32, v27
	v_subrev_nc_u32_e32 v36, 29, v27
	v_sub_nc_u32_e32 v27, 30, v27
	s_delay_alu instid0(VALU_DEP_1) | instskip(NEXT) | instid1(VALU_DEP_1)
	v_dual_cndmask_b32 v27, v37, v27 :: v_dual_lshlrev_b32 v36, v36, v105
	v_and_b32_e32 v36, 3, v36
	s_delay_alu instid0(VALU_DEP_2) | instskip(NEXT) | instid1(VALU_DEP_2)
	v_lshl_add_u32 v27, v27, 23, 0x37800000
	v_cndmask_b32_e32 v26, v26, v36, vcc_lo
	v_and_b32_e32 v36, 0x80000000, v38
	s_delay_alu instid0(VALU_DEP_2) | instskip(NEXT) | instid1(VALU_DEP_1)
	v_lshlrev_b32_e32 v26, 21, v26
	v_or3_b32 v26, v36, v27, v26
.LBB6_9243:                             ;   in Loop: Header=BB6_8078 Depth=3
	s_or_b32 exec_lo, exec_lo, s17
	v_and_b32_e32 v36, 0xff, v18
	s_mov_b32 s13, 0
	s_mov_b32 s30, exec_lo
                                        ; implicit-def: $sgpr17
	s_delay_alu instid0(VALU_DEP_1)
	v_cmpx_lt_i16_e32 0x7f, v36
	s_xor_b32 s30, exec_lo, s30
	s_cbranch_execnz .LBB6_10329
; %bb.9244:                             ;   in Loop: Header=BB6_8078 Depth=3
	s_or_saveexec_b32 s30, s30
	v_mov_b32_e32 v27, s17
	s_xor_b32 exec_lo, exec_lo, s30
	s_cbranch_execnz .LBB6_10332
.LBB6_9245:                             ;   in Loop: Header=BB6_8078 Depth=3
	s_or_b32 exec_lo, exec_lo, s30
	s_and_saveexec_b32 s17, s13
	s_cbranch_execz .LBB6_9247
.LBB6_9246:                             ;   in Loop: Header=BB6_8078 Depth=3
	v_bfe_u32 v38, v18, 2, 5
	v_lshlrev_b32_e32 v39, 24, v18
	s_delay_alu instid0(VALU_DEP_2) | instskip(SKIP_1) | instid1(VALU_DEP_1)
	v_cmp_eq_u32_e32 vcc_lo, 0, v38
	v_and_b32_e32 v27, 3, v18
	v_clz_i32_u32_e32 v36, v27
	s_delay_alu instid0(VALU_DEP_1) | instskip(NEXT) | instid1(VALU_DEP_1)
	v_min_u32_e32 v36, 32, v36
	v_subrev_nc_u32_e32 v37, 29, v36
	v_sub_nc_u32_e32 v36, 30, v36
	s_delay_alu instid0(VALU_DEP_1) | instskip(NEXT) | instid1(VALU_DEP_1)
	v_dual_cndmask_b32 v36, v38, v36 :: v_dual_lshlrev_b32 v37, v37, v18
	v_and_b32_e32 v37, 3, v37
	s_delay_alu instid0(VALU_DEP_2) | instskip(NEXT) | instid1(VALU_DEP_2)
	v_lshl_add_u32 v36, v36, 23, 0x37800000
	v_cndmask_b32_e32 v27, v27, v37, vcc_lo
	v_and_b32_e32 v37, 0x80000000, v39
	s_delay_alu instid0(VALU_DEP_2) | instskip(NEXT) | instid1(VALU_DEP_1)
	v_lshlrev_b32_e32 v27, 21, v27
	v_or3_b32 v27, v37, v36, v27
.LBB6_9247:                             ;   in Loop: Header=BB6_8078 Depth=3
	s_or_b32 exec_lo, exec_lo, s17
	s_delay_alu instid0(VALU_DEP_1) | instskip(SKIP_1) | instid1(VALU_DEP_1)
	v_dual_add_f32 v26, v26, v27 :: v_dual_mov_b32 v105, 0x80
	s_mov_b32 s17, exec_lo
	v_and_b32_e32 v27, 0x7f800000, v26
	s_delay_alu instid0(VALU_DEP_1)
	v_cmpx_ne_u32_e32 0x7f800000, v27
	s_cbranch_execz .LBB6_9255
; %bb.9248:                             ;   in Loop: Header=BB6_8078 Depth=3
	v_mov_b32_e32 v105, 0
	s_mov_b32 s30, exec_lo
	v_cmpx_ne_u32_e32 0, v26
	s_cbranch_execz .LBB6_9254
; %bb.9249:                             ;   in Loop: Header=BB6_8078 Depth=3
	v_bfe_u32 v27, v26, 23, 8
	s_delay_alu instid0(VALU_DEP_1) | instskip(SKIP_1) | instid1(VALU_DEP_2)
	v_sub_nc_u32_e32 v37, 0x70, v27
	v_cmp_gt_u32_e32 vcc_lo, 0x71, v27
	v_dual_cndmask_b32 v37, 0, v37 :: v_dual_and_b32 v36, 0x7fffff, v26
	s_delay_alu instid0(VALU_DEP_1) | instskip(SKIP_2) | instid1(VALU_DEP_4)
	v_or_b32_e32 v38, 0x800000, v36
	v_cmp_eq_u32_e32 vcc_lo, 0, v27
	v_add_nc_u32_e32 v27, 0xffffff91, v27
	v_cndmask_b32_e64 v37, v37, 0x6f, vcc_lo
	s_delay_alu instid0(VALU_DEP_4) | instskip(NEXT) | instid1(VALU_DEP_3)
	v_cndmask_b32_e32 v36, v38, v36, vcc_lo
	v_cndmask_b32_e64 v27, v27, 0xffffff92, vcc_lo
	s_delay_alu instid0(VALU_DEP_3) | instskip(NEXT) | instid1(VALU_DEP_3)
	v_lshl_add_u32 v38, 0x200000, v37, -1
	v_lshrrev_b32_e32 v39, v37, v36
	v_lshlrev_b32_e64 v49, v37, 0x100000
	s_delay_alu instid0(VALU_DEP_4) | instskip(NEXT) | instid1(VALU_DEP_4)
	v_add_nc_u32_e32 v37, v37, v27
	v_and_b32_e32 v36, v38, v36
	s_delay_alu instid0(VALU_DEP_4) | instskip(NEXT) | instid1(VALU_DEP_2)
	v_bfe_u32 v48, v39, 21, 1
	v_cmp_eq_u32_e64 s13, v36, v49
	s_delay_alu instid0(VALU_DEP_2) | instskip(NEXT) | instid1(VALU_DEP_1)
	v_add_nc_u32_e32 v38, -1, v48
	v_cndmask_b32_e64 v36, 0, v38, s13
	v_lshrrev_b32_e32 v38, 23, v39
	s_mov_b32 s13, exec_lo
	s_delay_alu instid0(VALU_DEP_2) | instskip(NEXT) | instid1(VALU_DEP_2)
	v_add_nc_u32_e32 v36, v36, v39
	v_xor_b32_e32 v38, 1, v38
	s_delay_alu instid0(VALU_DEP_2) | instskip(NEXT) | instid1(VALU_DEP_1)
	v_and_b32_e32 v27, 0x1fffff, v36
	v_add_nc_u32_e32 v36, v27, v39
                                        ; implicit-def: $vgpr27
	s_delay_alu instid0(VALU_DEP_3)
	v_cmpx_ne_u32_e64 v37, v38
	s_xor_b32 s13, exec_lo, s13
; %bb.9250:                             ;   in Loop: Header=BB6_8078 Depth=3
	s_delay_alu instid0(VALU_DEP_2) | instskip(SKIP_2) | instid1(VALU_DEP_2)
	v_cmp_lt_u32_e32 vcc_lo, 0xffffff, v36
	v_sub_nc_u32_e32 v27, v37, v38
	v_cndmask_b32_e64 v37, 0, 1, vcc_lo
	v_add_co_ci_u32_e32 v27, vcc_lo, 0, v27, vcc_lo
	s_delay_alu instid0(VALU_DEP_2)
	v_lshrrev_b32_e32 v36, v37, v36
; %bb.9251:                             ;   in Loop: Header=BB6_8078 Depth=3
	s_and_not1_saveexec_b32 s13, s13
; %bb.9252:                             ;   in Loop: Header=BB6_8078 Depth=3
	s_delay_alu instid0(VALU_DEP_1)
	v_bfe_u32 v27, v36, 23, 1
; %bb.9253:                             ;   in Loop: Header=BB6_8078 Depth=3
	s_or_b32 exec_lo, exec_lo, s13
	v_lshrrev_b32_e32 v36, 21, v36
	s_delay_alu instid0(VALU_DEP_2) | instskip(SKIP_2) | instid1(VALU_DEP_2)
	v_cmp_gt_i32_e32 vcc_lo, 32, v27
	v_min_i32_e32 v37, 31, v27
	v_lshrrev_b32_e32 v26, 24, v26
	v_dual_cndmask_b32 v36, 3, v36 :: v_dual_lshlrev_b32 v37, 2, v37
	s_delay_alu instid0(VALU_DEP_2) | instskip(NEXT) | instid1(VALU_DEP_2)
	v_and_b32_e32 v26, 0x80, v26
	v_or_b32_e32 v27, v27, v36
	s_delay_alu instid0(VALU_DEP_1) | instskip(SKIP_1) | instid1(VALU_DEP_1)
	v_cmp_ne_u32_e32 vcc_lo, 0, v27
	v_and_b32_e32 v38, 3, v36
	v_or3_b32 v26, v37, v26, v38
	s_delay_alu instid0(VALU_DEP_1)
	v_cndmask_b32_e32 v105, 0, v26, vcc_lo
.LBB6_9254:                             ;   in Loop: Header=BB6_8078 Depth=3
	s_or_b32 exec_lo, exec_lo, s30
.LBB6_9255:                             ;   in Loop: Header=BB6_8078 Depth=3
	s_delay_alu instid0(SALU_CYCLE_1) | instskip(SKIP_3) | instid1(VALU_DEP_1)
	s_or_b32 exec_lo, exec_lo, s17
	v_and_b32_e32 v27, 0xff, v95
	s_mov_b32 s13, 0
	s_mov_b32 s30, exec_lo
                                        ; implicit-def: $sgpr17
	v_cmpx_lt_i16_e32 0x7f, v27
	s_xor_b32 s30, exec_lo, s30
	s_cbranch_execnz .LBB6_10333
; %bb.9256:                             ;   in Loop: Header=BB6_8078 Depth=3
	s_or_saveexec_b32 s30, s30
	v_mov_b32_e32 v26, s17
	s_xor_b32 exec_lo, exec_lo, s30
	s_cbranch_execnz .LBB6_10336
.LBB6_9257:                             ;   in Loop: Header=BB6_8078 Depth=3
	s_or_b32 exec_lo, exec_lo, s30
	s_and_saveexec_b32 s17, s13
	s_cbranch_execz .LBB6_9259
.LBB6_9258:                             ;   in Loop: Header=BB6_8078 Depth=3
	v_and_b32_e32 v26, 3, v95
	v_bfe_u32 v37, v95, 2, 5
	v_lshlrev_b32_e32 v38, 24, v95
	s_delay_alu instid0(VALU_DEP_3) | instskip(NEXT) | instid1(VALU_DEP_3)
	v_clz_i32_u32_e32 v27, v26
	v_cmp_eq_u32_e32 vcc_lo, 0, v37
	s_delay_alu instid0(VALU_DEP_2) | instskip(NEXT) | instid1(VALU_DEP_1)
	v_min_u32_e32 v27, 32, v27
	v_subrev_nc_u32_e32 v36, 29, v27
	v_sub_nc_u32_e32 v27, 30, v27
	s_delay_alu instid0(VALU_DEP_2) | instskip(NEXT) | instid1(VALU_DEP_1)
	v_lshlrev_b32_e32 v36, v36, v95
	v_dual_cndmask_b32 v27, v37, v27 :: v_dual_and_b32 v36, 3, v36
	s_delay_alu instid0(VALU_DEP_1) | instskip(NEXT) | instid1(VALU_DEP_2)
	v_lshl_add_u32 v27, v27, 23, 0x37800000
	v_cndmask_b32_e32 v26, v26, v36, vcc_lo
	v_and_b32_e32 v36, 0x80000000, v38
	s_delay_alu instid0(VALU_DEP_2) | instskip(NEXT) | instid1(VALU_DEP_1)
	v_lshlrev_b32_e32 v26, 21, v26
	v_or3_b32 v26, v36, v27, v26
.LBB6_9259:                             ;   in Loop: Header=BB6_8078 Depth=3
	s_or_b32 exec_lo, exec_lo, s17
	v_lshrrev_b16 v27, 8, v18
	s_mov_b32 s13, 0
	s_mov_b32 s30, exec_lo
                                        ; implicit-def: $sgpr17
	s_delay_alu instid0(VALU_DEP_1)
	v_cmpx_lt_i16_e32 0x7f, v27
	s_xor_b32 s30, exec_lo, s30
	s_cbranch_execnz .LBB6_10337
; %bb.9260:                             ;   in Loop: Header=BB6_8078 Depth=3
	s_or_saveexec_b32 s30, s30
	v_mov_b32_e32 v36, s17
	s_xor_b32 exec_lo, exec_lo, s30
	s_cbranch_execnz .LBB6_10340
.LBB6_9261:                             ;   in Loop: Header=BB6_8078 Depth=3
	s_or_b32 exec_lo, exec_lo, s30
	s_and_saveexec_b32 s17, s13
	s_cbranch_execz .LBB6_9263
.LBB6_9262:                             ;   in Loop: Header=BB6_8078 Depth=3
	v_and_b32_e32 v36, 0xffff, v27
	v_lshlrev_b32_e32 v27, 24, v27
	s_delay_alu instid0(VALU_DEP_2) | instskip(NEXT) | instid1(VALU_DEP_2)
	v_and_b32_e32 v37, 3, v36
	v_and_b32_e32 v27, 0x80000000, v27
	s_delay_alu instid0(VALU_DEP_2) | instskip(NEXT) | instid1(VALU_DEP_1)
	v_clz_i32_u32_e32 v38, v37
	v_min_u32_e32 v38, 32, v38
	s_delay_alu instid0(VALU_DEP_1) | instskip(SKIP_1) | instid1(VALU_DEP_2)
	v_subrev_nc_u32_e32 v39, 29, v38
	v_sub_nc_u32_e32 v38, 30, v38
	v_lshlrev_b32_e32 v39, v39, v36
	v_bfe_u32 v36, v36, 2, 5
	s_delay_alu instid0(VALU_DEP_2) | instskip(NEXT) | instid1(VALU_DEP_2)
	v_and_b32_e32 v39, 3, v39
	v_cmp_eq_u32_e32 vcc_lo, 0, v36
	s_delay_alu instid0(VALU_DEP_2) | instskip(NEXT) | instid1(VALU_DEP_1)
	v_dual_cndmask_b32 v36, v36, v38 :: v_dual_cndmask_b32 v37, v37, v39
	v_lshl_add_u32 v36, v36, 23, 0x37800000
	s_delay_alu instid0(VALU_DEP_2) | instskip(NEXT) | instid1(VALU_DEP_1)
	v_lshlrev_b32_e32 v37, 21, v37
	v_or3_b32 v36, v27, v36, v37
.LBB6_9263:                             ;   in Loop: Header=BB6_8078 Depth=3
	s_or_b32 exec_lo, exec_lo, s17
	s_delay_alu instid0(VALU_DEP_1) | instskip(SKIP_1) | instid1(VALU_DEP_1)
	v_dual_add_f32 v26, v26, v36 :: v_dual_mov_b32 v95, 0x80
	s_mov_b32 s17, exec_lo
	v_and_b32_e32 v27, 0x7f800000, v26
	s_delay_alu instid0(VALU_DEP_1)
	v_cmpx_ne_u32_e32 0x7f800000, v27
	s_cbranch_execz .LBB6_9271
; %bb.9264:                             ;   in Loop: Header=BB6_8078 Depth=3
	v_mov_b32_e32 v95, 0
	s_mov_b32 s30, exec_lo
	v_cmpx_ne_u32_e32 0, v26
	s_cbranch_execz .LBB6_9270
; %bb.9265:                             ;   in Loop: Header=BB6_8078 Depth=3
	v_bfe_u32 v27, v26, 23, 8
	s_delay_alu instid0(VALU_DEP_1) | instskip(SKIP_1) | instid1(VALU_DEP_2)
	v_sub_nc_u32_e32 v37, 0x70, v27
	v_cmp_gt_u32_e32 vcc_lo, 0x71, v27
	v_dual_cndmask_b32 v37, 0, v37 :: v_dual_and_b32 v36, 0x7fffff, v26
	s_delay_alu instid0(VALU_DEP_1) | instskip(SKIP_2) | instid1(VALU_DEP_4)
	v_or_b32_e32 v38, 0x800000, v36
	v_cmp_eq_u32_e32 vcc_lo, 0, v27
	v_add_nc_u32_e32 v27, 0xffffff91, v27
	v_cndmask_b32_e64 v37, v37, 0x6f, vcc_lo
	s_delay_alu instid0(VALU_DEP_4) | instskip(NEXT) | instid1(VALU_DEP_3)
	v_cndmask_b32_e32 v36, v38, v36, vcc_lo
	v_cndmask_b32_e64 v27, v27, 0xffffff92, vcc_lo
	s_delay_alu instid0(VALU_DEP_3) | instskip(NEXT) | instid1(VALU_DEP_3)
	v_lshl_add_u32 v38, 0x200000, v37, -1
	v_lshrrev_b32_e32 v39, v37, v36
	v_lshlrev_b32_e64 v49, v37, 0x100000
	s_delay_alu instid0(VALU_DEP_4) | instskip(NEXT) | instid1(VALU_DEP_4)
	v_add_nc_u32_e32 v37, v37, v27
	v_and_b32_e32 v36, v38, v36
	s_delay_alu instid0(VALU_DEP_4) | instskip(NEXT) | instid1(VALU_DEP_2)
	v_bfe_u32 v48, v39, 21, 1
	v_cmp_eq_u32_e64 s13, v36, v49
	s_delay_alu instid0(VALU_DEP_2) | instskip(NEXT) | instid1(VALU_DEP_1)
	v_add_nc_u32_e32 v38, -1, v48
	v_cndmask_b32_e64 v36, 0, v38, s13
	v_lshrrev_b32_e32 v38, 23, v39
	s_mov_b32 s13, exec_lo
	s_delay_alu instid0(VALU_DEP_2) | instskip(NEXT) | instid1(VALU_DEP_2)
	v_add_nc_u32_e32 v36, v36, v39
	v_xor_b32_e32 v38, 1, v38
	s_delay_alu instid0(VALU_DEP_2) | instskip(NEXT) | instid1(VALU_DEP_1)
	v_and_b32_e32 v27, 0x1fffff, v36
	v_add_nc_u32_e32 v36, v27, v39
                                        ; implicit-def: $vgpr27
	s_delay_alu instid0(VALU_DEP_3)
	v_cmpx_ne_u32_e64 v37, v38
	s_xor_b32 s13, exec_lo, s13
; %bb.9266:                             ;   in Loop: Header=BB6_8078 Depth=3
	s_delay_alu instid0(VALU_DEP_2) | instskip(SKIP_2) | instid1(VALU_DEP_2)
	v_cmp_lt_u32_e32 vcc_lo, 0xffffff, v36
	v_sub_nc_u32_e32 v27, v37, v38
	v_cndmask_b32_e64 v37, 0, 1, vcc_lo
	v_add_co_ci_u32_e32 v27, vcc_lo, 0, v27, vcc_lo
	s_delay_alu instid0(VALU_DEP_2)
	v_lshrrev_b32_e32 v36, v37, v36
; %bb.9267:                             ;   in Loop: Header=BB6_8078 Depth=3
	s_and_not1_saveexec_b32 s13, s13
; %bb.9268:                             ;   in Loop: Header=BB6_8078 Depth=3
	s_delay_alu instid0(VALU_DEP_1)
	v_bfe_u32 v27, v36, 23, 1
; %bb.9269:                             ;   in Loop: Header=BB6_8078 Depth=3
	s_or_b32 exec_lo, exec_lo, s13
	v_lshrrev_b32_e32 v36, 21, v36
	s_delay_alu instid0(VALU_DEP_2) | instskip(SKIP_2) | instid1(VALU_DEP_2)
	v_cmp_gt_i32_e32 vcc_lo, 32, v27
	v_min_i32_e32 v37, 31, v27
	v_lshrrev_b32_e32 v26, 24, v26
	v_dual_cndmask_b32 v36, 3, v36 :: v_dual_lshlrev_b32 v37, 2, v37
	s_delay_alu instid0(VALU_DEP_2) | instskip(NEXT) | instid1(VALU_DEP_2)
	v_and_b32_e32 v26, 0x80, v26
	v_or_b32_e32 v27, v27, v36
	s_delay_alu instid0(VALU_DEP_1) | instskip(SKIP_1) | instid1(VALU_DEP_1)
	v_cmp_ne_u32_e32 vcc_lo, 0, v27
	v_and_b32_e32 v38, 3, v36
	v_or3_b32 v26, v37, v26, v38
	s_delay_alu instid0(VALU_DEP_1)
	v_cndmask_b32_e32 v95, 0, v26, vcc_lo
.LBB6_9270:                             ;   in Loop: Header=BB6_8078 Depth=3
	s_or_b32 exec_lo, exec_lo, s30
.LBB6_9271:                             ;   in Loop: Header=BB6_8078 Depth=3
	s_delay_alu instid0(SALU_CYCLE_1) | instskip(SKIP_3) | instid1(VALU_DEP_1)
	s_or_b32 exec_lo, exec_lo, s17
	v_and_b32_e32 v27, 0xff, v94
	s_mov_b32 s13, 0
	s_mov_b32 s30, exec_lo
                                        ; implicit-def: $sgpr17
	v_cmpx_lt_i16_e32 0x7f, v27
	s_xor_b32 s30, exec_lo, s30
	s_cbranch_execnz .LBB6_10341
; %bb.9272:                             ;   in Loop: Header=BB6_8078 Depth=3
	s_or_saveexec_b32 s30, s30
	v_mov_b32_e32 v26, s17
	s_xor_b32 exec_lo, exec_lo, s30
	s_cbranch_execnz .LBB6_10344
.LBB6_9273:                             ;   in Loop: Header=BB6_8078 Depth=3
	s_or_b32 exec_lo, exec_lo, s30
	s_and_saveexec_b32 s17, s13
	s_cbranch_execz .LBB6_9275
.LBB6_9274:                             ;   in Loop: Header=BB6_8078 Depth=3
	v_bfe_u32 v37, v94, 2, 5
	v_lshlrev_b32_e32 v38, 24, v94
	s_delay_alu instid0(VALU_DEP_2) | instskip(SKIP_1) | instid1(VALU_DEP_1)
	v_cmp_eq_u32_e32 vcc_lo, 0, v37
	v_and_b32_e32 v26, 3, v94
	v_clz_i32_u32_e32 v27, v26
	s_delay_alu instid0(VALU_DEP_1) | instskip(NEXT) | instid1(VALU_DEP_1)
	v_min_u32_e32 v27, 32, v27
	v_subrev_nc_u32_e32 v36, 29, v27
	v_sub_nc_u32_e32 v27, 30, v27
	s_delay_alu instid0(VALU_DEP_1) | instskip(NEXT) | instid1(VALU_DEP_1)
	v_dual_cndmask_b32 v27, v37, v27 :: v_dual_lshlrev_b32 v36, v36, v94
	v_and_b32_e32 v36, 3, v36
	s_delay_alu instid0(VALU_DEP_2) | instskip(NEXT) | instid1(VALU_DEP_2)
	v_lshl_add_u32 v27, v27, 23, 0x37800000
	v_cndmask_b32_e32 v26, v26, v36, vcc_lo
	v_and_b32_e32 v36, 0x80000000, v38
	s_delay_alu instid0(VALU_DEP_2) | instskip(NEXT) | instid1(VALU_DEP_1)
	v_lshlrev_b32_e32 v26, 21, v26
	v_or3_b32 v26, v36, v27, v26
.LBB6_9275:                             ;   in Loop: Header=BB6_8078 Depth=3
	s_or_b32 exec_lo, exec_lo, s17
	v_lshrrev_b32_e32 v27, 16, v18
	s_mov_b32 s13, 0
	s_mov_b32 s30, exec_lo
                                        ; implicit-def: $sgpr17
	s_delay_alu instid0(VALU_DEP_1) | instskip(NEXT) | instid1(VALU_DEP_1)
	v_and_b32_e32 v37, 0xff, v27
	v_cmpx_lt_i16_e32 0x7f, v37
	s_xor_b32 s30, exec_lo, s30
	s_cbranch_execnz .LBB6_10345
; %bb.9276:                             ;   in Loop: Header=BB6_8078 Depth=3
	s_or_saveexec_b32 s30, s30
	v_mov_b32_e32 v36, s17
	s_xor_b32 exec_lo, exec_lo, s30
	s_cbranch_execnz .LBB6_10348
.LBB6_9277:                             ;   in Loop: Header=BB6_8078 Depth=3
	s_or_b32 exec_lo, exec_lo, s30
	s_and_saveexec_b32 s17, s13
	s_cbranch_execz .LBB6_9279
.LBB6_9278:                             ;   in Loop: Header=BB6_8078 Depth=3
	v_bfe_u32 v36, v18, 16, 2
	v_lshlrev_b32_e32 v39, 8, v18
	s_delay_alu instid0(VALU_DEP_2) | instskip(NEXT) | instid1(VALU_DEP_1)
	v_clz_i32_u32_e32 v37, v36
	v_min_u32_e32 v37, 32, v37
	s_delay_alu instid0(VALU_DEP_1) | instskip(SKIP_1) | instid1(VALU_DEP_2)
	v_subrev_nc_u32_e32 v38, 29, v37
	v_sub_nc_u32_e32 v37, 30, v37
	v_lshlrev_b32_e32 v27, v38, v27
	v_bfe_u32 v38, v18, 18, 5
	s_delay_alu instid0(VALU_DEP_2) | instskip(NEXT) | instid1(VALU_DEP_2)
	v_and_b32_e32 v27, 3, v27
	v_cmp_eq_u32_e32 vcc_lo, 0, v38
	v_cndmask_b32_e32 v37, v38, v37, vcc_lo
	s_delay_alu instid0(VALU_DEP_3) | instskip(SKIP_1) | instid1(VALU_DEP_3)
	v_cndmask_b32_e32 v27, v36, v27, vcc_lo
	v_and_b32_e32 v36, 0x80000000, v39
	v_lshl_add_u32 v37, v37, 23, 0x37800000
	s_delay_alu instid0(VALU_DEP_3) | instskip(NEXT) | instid1(VALU_DEP_1)
	v_lshlrev_b32_e32 v27, 21, v27
	v_or3_b32 v36, v36, v37, v27
.LBB6_9279:                             ;   in Loop: Header=BB6_8078 Depth=3
	s_or_b32 exec_lo, exec_lo, s17
	s_delay_alu instid0(VALU_DEP_1) | instskip(SKIP_2) | instid1(VALU_DEP_2)
	v_add_f32_e32 v26, v26, v36
	v_mov_b32_e32 v94, 0x80
	s_mov_b32 s17, exec_lo
	v_and_b32_e32 v27, 0x7f800000, v26
	s_delay_alu instid0(VALU_DEP_1)
	v_cmpx_ne_u32_e32 0x7f800000, v27
	s_cbranch_execz .LBB6_9287
; %bb.9280:                             ;   in Loop: Header=BB6_8078 Depth=3
	v_mov_b32_e32 v94, 0
	s_mov_b32 s30, exec_lo
	v_cmpx_ne_u32_e32 0, v26
	s_cbranch_execz .LBB6_9286
; %bb.9281:                             ;   in Loop: Header=BB6_8078 Depth=3
	v_bfe_u32 v27, v26, 23, 8
	s_delay_alu instid0(VALU_DEP_1) | instskip(SKIP_1) | instid1(VALU_DEP_2)
	v_sub_nc_u32_e32 v37, 0x70, v27
	v_cmp_gt_u32_e32 vcc_lo, 0x71, v27
	v_dual_cndmask_b32 v37, 0, v37 :: v_dual_and_b32 v36, 0x7fffff, v26
	s_delay_alu instid0(VALU_DEP_1) | instskip(SKIP_2) | instid1(VALU_DEP_4)
	v_or_b32_e32 v38, 0x800000, v36
	v_cmp_eq_u32_e32 vcc_lo, 0, v27
	v_add_nc_u32_e32 v27, 0xffffff91, v27
	v_cndmask_b32_e64 v37, v37, 0x6f, vcc_lo
	s_delay_alu instid0(VALU_DEP_4) | instskip(NEXT) | instid1(VALU_DEP_3)
	v_cndmask_b32_e32 v36, v38, v36, vcc_lo
	v_cndmask_b32_e64 v27, v27, 0xffffff92, vcc_lo
	s_delay_alu instid0(VALU_DEP_3) | instskip(NEXT) | instid1(VALU_DEP_3)
	v_lshl_add_u32 v38, 0x200000, v37, -1
	v_lshrrev_b32_e32 v39, v37, v36
	v_lshlrev_b32_e64 v49, v37, 0x100000
	s_delay_alu instid0(VALU_DEP_4) | instskip(NEXT) | instid1(VALU_DEP_4)
	v_add_nc_u32_e32 v37, v37, v27
	v_and_b32_e32 v36, v38, v36
	s_delay_alu instid0(VALU_DEP_4) | instskip(NEXT) | instid1(VALU_DEP_2)
	v_bfe_u32 v48, v39, 21, 1
	v_cmp_eq_u32_e64 s13, v36, v49
	s_delay_alu instid0(VALU_DEP_2) | instskip(NEXT) | instid1(VALU_DEP_1)
	v_add_nc_u32_e32 v38, -1, v48
	v_cndmask_b32_e64 v36, 0, v38, s13
	v_lshrrev_b32_e32 v38, 23, v39
	s_mov_b32 s13, exec_lo
	s_delay_alu instid0(VALU_DEP_2) | instskip(NEXT) | instid1(VALU_DEP_2)
	v_add_nc_u32_e32 v36, v36, v39
	v_xor_b32_e32 v38, 1, v38
	s_delay_alu instid0(VALU_DEP_2) | instskip(NEXT) | instid1(VALU_DEP_1)
	v_and_b32_e32 v27, 0x1fffff, v36
	v_add_nc_u32_e32 v36, v27, v39
                                        ; implicit-def: $vgpr27
	s_delay_alu instid0(VALU_DEP_3)
	v_cmpx_ne_u32_e64 v37, v38
	s_xor_b32 s13, exec_lo, s13
; %bb.9282:                             ;   in Loop: Header=BB6_8078 Depth=3
	s_delay_alu instid0(VALU_DEP_2) | instskip(SKIP_2) | instid1(VALU_DEP_2)
	v_cmp_lt_u32_e32 vcc_lo, 0xffffff, v36
	v_sub_nc_u32_e32 v27, v37, v38
	v_cndmask_b32_e64 v37, 0, 1, vcc_lo
	v_add_co_ci_u32_e32 v27, vcc_lo, 0, v27, vcc_lo
	s_delay_alu instid0(VALU_DEP_2)
	v_lshrrev_b32_e32 v36, v37, v36
; %bb.9283:                             ;   in Loop: Header=BB6_8078 Depth=3
	s_and_not1_saveexec_b32 s13, s13
; %bb.9284:                             ;   in Loop: Header=BB6_8078 Depth=3
	s_delay_alu instid0(VALU_DEP_1)
	v_bfe_u32 v27, v36, 23, 1
; %bb.9285:                             ;   in Loop: Header=BB6_8078 Depth=3
	s_or_b32 exec_lo, exec_lo, s13
	v_lshrrev_b32_e32 v36, 21, v36
	s_delay_alu instid0(VALU_DEP_2) | instskip(SKIP_2) | instid1(VALU_DEP_4)
	v_cmp_gt_i32_e32 vcc_lo, 32, v27
	v_lshrrev_b32_e32 v26, 24, v26
	v_min_i32_e32 v37, 31, v27
	v_cndmask_b32_e32 v36, 3, v36, vcc_lo
	s_delay_alu instid0(VALU_DEP_3) | instskip(NEXT) | instid1(VALU_DEP_3)
	v_and_b32_e32 v26, 0x80, v26
	v_lshlrev_b32_e32 v37, 2, v37
	s_delay_alu instid0(VALU_DEP_3) | instskip(SKIP_1) | instid1(VALU_DEP_2)
	v_and_b32_e32 v38, 3, v36
	v_or_b32_e32 v27, v27, v36
	v_or3_b32 v26, v37, v26, v38
	s_delay_alu instid0(VALU_DEP_2) | instskip(NEXT) | instid1(VALU_DEP_2)
	v_cmp_ne_u32_e32 vcc_lo, 0, v27
	v_cndmask_b32_e32 v94, 0, v26, vcc_lo
.LBB6_9286:                             ;   in Loop: Header=BB6_8078 Depth=3
	s_or_b32 exec_lo, exec_lo, s30
.LBB6_9287:                             ;   in Loop: Header=BB6_8078 Depth=3
	s_delay_alu instid0(SALU_CYCLE_1) | instskip(SKIP_3) | instid1(VALU_DEP_1)
	s_or_b32 exec_lo, exec_lo, s17
	v_and_b32_e32 v27, 0xff, v92
	s_mov_b32 s13, 0
	s_mov_b32 s30, exec_lo
                                        ; implicit-def: $sgpr17
	v_cmpx_lt_i16_e32 0x7f, v27
	s_xor_b32 s30, exec_lo, s30
	s_cbranch_execnz .LBB6_10349
; %bb.9288:                             ;   in Loop: Header=BB6_8078 Depth=3
	s_or_saveexec_b32 s30, s30
	v_mov_b32_e32 v26, s17
	s_xor_b32 exec_lo, exec_lo, s30
	s_cbranch_execnz .LBB6_10352
.LBB6_9289:                             ;   in Loop: Header=BB6_8078 Depth=3
	s_or_b32 exec_lo, exec_lo, s30
	s_and_saveexec_b32 s17, s13
	s_cbranch_execz .LBB6_9291
.LBB6_9290:                             ;   in Loop: Header=BB6_8078 Depth=3
	v_lshlrev_b32_e32 v26, 8, v92
	s_delay_alu instid0(VALU_DEP_1) | instskip(SKIP_1) | instid1(VALU_DEP_2)
	v_and_b32_e32 v36, 0xff00, v26
	v_bfe_u32 v26, v26, 10, 5
	v_bfe_u32 v37, v36, 8, 2
	s_delay_alu instid0(VALU_DEP_2) | instskip(SKIP_1) | instid1(VALU_DEP_3)
	v_cmp_eq_u32_e32 vcc_lo, 0, v26
	v_lshlrev_b32_e32 v36, 16, v36
	v_clz_i32_u32_e32 v38, v37
	s_delay_alu instid0(VALU_DEP_2) | instskip(NEXT) | instid1(VALU_DEP_2)
	v_and_b32_e32 v36, 0x80000000, v36
	v_min_u32_e32 v38, 32, v38
	s_delay_alu instid0(VALU_DEP_1) | instskip(SKIP_1) | instid1(VALU_DEP_1)
	v_subrev_nc_u32_e32 v39, 29, v38
	v_sub_nc_u32_e32 v38, 30, v38
	v_dual_cndmask_b32 v26, v26, v38 :: v_dual_lshlrev_b32 v27, v39, v27
	s_delay_alu instid0(VALU_DEP_1) | instskip(NEXT) | instid1(VALU_DEP_2)
	v_and_b32_e32 v27, 3, v27
	v_lshl_add_u32 v26, v26, 23, 0x37800000
	s_delay_alu instid0(VALU_DEP_2) | instskip(NEXT) | instid1(VALU_DEP_1)
	v_cndmask_b32_e32 v27, v37, v27, vcc_lo
	v_lshlrev_b32_e32 v27, 21, v27
	s_delay_alu instid0(VALU_DEP_1)
	v_or3_b32 v26, v36, v26, v27
.LBB6_9291:                             ;   in Loop: Header=BB6_8078 Depth=3
	s_or_b32 exec_lo, exec_lo, s17
	v_lshrrev_b32_e32 v27, 24, v18
	s_mov_b32 s13, 0
	s_mov_b32 s30, exec_lo
                                        ; implicit-def: $sgpr17
	s_delay_alu instid0(VALU_DEP_1)
	v_cmpx_lt_i16_e32 0x7f, v27
	s_xor_b32 s30, exec_lo, s30
	s_cbranch_execnz .LBB6_10353
; %bb.9292:                             ;   in Loop: Header=BB6_8078 Depth=3
	s_or_saveexec_b32 s30, s30
	v_mov_b32_e32 v36, s17
	s_xor_b32 exec_lo, exec_lo, s30
	s_cbranch_execnz .LBB6_10356
.LBB6_9293:                             ;   in Loop: Header=BB6_8078 Depth=3
	s_or_b32 exec_lo, exec_lo, s30
	s_and_saveexec_b32 s17, s13
	s_cbranch_execz .LBB6_9295
.LBB6_9294:                             ;   in Loop: Header=BB6_8078 Depth=3
	v_bfe_u32 v36, v18, 24, 2
	s_delay_alu instid0(VALU_DEP_1) | instskip(NEXT) | instid1(VALU_DEP_1)
	v_clz_i32_u32_e32 v37, v36
	v_min_u32_e32 v37, 32, v37
	s_delay_alu instid0(VALU_DEP_1) | instskip(SKIP_1) | instid1(VALU_DEP_2)
	v_subrev_nc_u32_e32 v38, 29, v37
	v_sub_nc_u32_e32 v37, 30, v37
	v_lshlrev_b32_e32 v27, v38, v27
	v_bfe_u32 v38, v18, 26, 5
	v_and_b32_e32 v18, 0x80000000, v18
	s_delay_alu instid0(VALU_DEP_3) | instskip(NEXT) | instid1(VALU_DEP_3)
	v_and_b32_e32 v27, 3, v27
	v_cmp_eq_u32_e32 vcc_lo, 0, v38
	v_cndmask_b32_e32 v37, v38, v37, vcc_lo
	s_delay_alu instid0(VALU_DEP_3) | instskip(NEXT) | instid1(VALU_DEP_2)
	v_cndmask_b32_e32 v27, v36, v27, vcc_lo
	v_lshl_add_u32 v36, v37, 23, 0x37800000
	s_delay_alu instid0(VALU_DEP_2) | instskip(NEXT) | instid1(VALU_DEP_1)
	v_lshlrev_b32_e32 v27, 21, v27
	v_or3_b32 v36, v18, v36, v27
.LBB6_9295:                             ;   in Loop: Header=BB6_8078 Depth=3
	s_or_b32 exec_lo, exec_lo, s17
	s_delay_alu instid0(VALU_DEP_1) | instskip(NEXT) | instid1(VALU_DEP_1)
	v_add_f32_e32 v26, v26, v36
	v_and_b32_e32 v18, 0x7f800000, v26
	s_delay_alu instid0(VALU_DEP_1)
	v_cmp_ne_u32_e32 vcc_lo, 0x7f800000, v18
	v_mov_b32_e32 v18, 0x80
	s_and_saveexec_b32 s17, vcc_lo
	s_cbranch_execz .LBB6_9303
; %bb.9296:                             ;   in Loop: Header=BB6_8078 Depth=3
	v_mov_b32_e32 v18, 0
	s_mov_b32 s30, exec_lo
	v_cmpx_ne_u32_e32 0, v26
	s_cbranch_execz .LBB6_9302
; %bb.9297:                             ;   in Loop: Header=BB6_8078 Depth=3
	v_bfe_u32 v18, v26, 23, 8
	s_delay_alu instid0(VALU_DEP_1) | instskip(SKIP_1) | instid1(VALU_DEP_2)
	v_sub_nc_u32_e32 v36, 0x70, v18
	v_cmp_gt_u32_e32 vcc_lo, 0x71, v18
	v_dual_cndmask_b32 v36, 0, v36 :: v_dual_and_b32 v27, 0x7fffff, v26
	s_delay_alu instid0(VALU_DEP_1) | instskip(SKIP_2) | instid1(VALU_DEP_4)
	v_or_b32_e32 v37, 0x800000, v27
	v_cmp_eq_u32_e32 vcc_lo, 0, v18
	v_add_nc_u32_e32 v18, 0xffffff91, v18
	v_cndmask_b32_e64 v36, v36, 0x6f, vcc_lo
	s_delay_alu instid0(VALU_DEP_4) | instskip(NEXT) | instid1(VALU_DEP_3)
	v_cndmask_b32_e32 v27, v37, v27, vcc_lo
	v_cndmask_b32_e64 v18, v18, 0xffffff92, vcc_lo
	s_delay_alu instid0(VALU_DEP_3) | instskip(NEXT) | instid1(VALU_DEP_3)
	v_lshl_add_u32 v37, 0x200000, v36, -1
	v_lshrrev_b32_e32 v38, v36, v27
	v_lshlrev_b32_e64 v48, v36, 0x100000
	s_delay_alu instid0(VALU_DEP_4) | instskip(NEXT) | instid1(VALU_DEP_4)
	v_add_nc_u32_e32 v36, v36, v18
	v_and_b32_e32 v27, v37, v27
	s_delay_alu instid0(VALU_DEP_4) | instskip(NEXT) | instid1(VALU_DEP_2)
	v_bfe_u32 v39, v38, 21, 1
	v_cmp_eq_u32_e64 s13, v27, v48
	s_delay_alu instid0(VALU_DEP_2) | instskip(NEXT) | instid1(VALU_DEP_1)
	v_add_nc_u32_e32 v37, -1, v39
	v_cndmask_b32_e64 v27, 0, v37, s13
	v_lshrrev_b32_e32 v37, 23, v38
	s_mov_b32 s13, exec_lo
	s_delay_alu instid0(VALU_DEP_2) | instskip(NEXT) | instid1(VALU_DEP_2)
	v_add_nc_u32_e32 v27, v27, v38
	v_xor_b32_e32 v37, 1, v37
	s_delay_alu instid0(VALU_DEP_2) | instskip(NEXT) | instid1(VALU_DEP_1)
	v_and_b32_e32 v18, 0x1fffff, v27
	v_add_nc_u32_e32 v27, v18, v38
                                        ; implicit-def: $vgpr18
	s_delay_alu instid0(VALU_DEP_3)
	v_cmpx_ne_u32_e64 v36, v37
	s_xor_b32 s13, exec_lo, s13
; %bb.9298:                             ;   in Loop: Header=BB6_8078 Depth=3
	s_delay_alu instid0(VALU_DEP_2) | instskip(SKIP_2) | instid1(VALU_DEP_2)
	v_cmp_lt_u32_e32 vcc_lo, 0xffffff, v27
	v_sub_nc_u32_e32 v18, v36, v37
	v_cndmask_b32_e64 v36, 0, 1, vcc_lo
	v_add_co_ci_u32_e32 v18, vcc_lo, 0, v18, vcc_lo
	s_delay_alu instid0(VALU_DEP_2)
	v_lshrrev_b32_e32 v27, v36, v27
; %bb.9299:                             ;   in Loop: Header=BB6_8078 Depth=3
	s_and_not1_saveexec_b32 s13, s13
; %bb.9300:                             ;   in Loop: Header=BB6_8078 Depth=3
	s_delay_alu instid0(VALU_DEP_1)
	v_bfe_u32 v18, v27, 23, 1
; %bb.9301:                             ;   in Loop: Header=BB6_8078 Depth=3
	s_or_b32 exec_lo, exec_lo, s13
	v_lshrrev_b32_e32 v27, 21, v27
	s_delay_alu instid0(VALU_DEP_2) | instskip(SKIP_2) | instid1(VALU_DEP_2)
	v_cmp_gt_i32_e32 vcc_lo, 32, v18
	v_lshrrev_b32_e32 v26, 24, v26
	v_min_i32_e32 v36, 31, v18
	v_dual_cndmask_b32 v27, 3, v27 :: v_dual_and_b32 v26, 0x80, v26
	s_delay_alu instid0(VALU_DEP_2) | instskip(NEXT) | instid1(VALU_DEP_2)
	v_lshlrev_b32_e32 v36, 2, v36
	v_or_b32_e32 v18, v18, v27
	s_delay_alu instid0(VALU_DEP_1) | instskip(SKIP_1) | instid1(VALU_DEP_1)
	v_cmp_ne_u32_e32 vcc_lo, 0, v18
	v_and_b32_e32 v37, 3, v27
	v_or3_b32 v26, v36, v26, v37
	s_delay_alu instid0(VALU_DEP_1)
	v_cndmask_b32_e32 v18, 0, v26, vcc_lo
.LBB6_9302:                             ;   in Loop: Header=BB6_8078 Depth=3
	s_or_b32 exec_lo, exec_lo, s30
.LBB6_9303:                             ;   in Loop: Header=BB6_8078 Depth=3
	s_delay_alu instid0(SALU_CYCLE_1) | instskip(SKIP_3) | instid1(VALU_DEP_1)
	s_or_b32 exec_lo, exec_lo, s17
	v_or_b32_e32 v26, v104, v91
	s_mov_b32 s13, 0
	s_mov_b32 s30, exec_lo
                                        ; implicit-def: $sgpr17
	v_and_b32_e32 v36, 0xff, v26
	s_delay_alu instid0(VALU_DEP_1)
	v_cmpx_lt_i16_e32 0x7f, v36
	s_xor_b32 s30, exec_lo, s30
	s_cbranch_execnz .LBB6_10357
; %bb.9304:                             ;   in Loop: Header=BB6_8078 Depth=3
	s_or_saveexec_b32 s30, s30
	v_mov_b32_e32 v27, s17
	s_xor_b32 exec_lo, exec_lo, s30
	s_cbranch_execnz .LBB6_10360
.LBB6_9305:                             ;   in Loop: Header=BB6_8078 Depth=3
	s_or_b32 exec_lo, exec_lo, s30
	s_and_saveexec_b32 s17, s13
	s_cbranch_execz .LBB6_9307
.LBB6_9306:                             ;   in Loop: Header=BB6_8078 Depth=3
	v_bfe_u32 v38, v26, 2, 5
	v_lshlrev_b32_e32 v39, 24, v26
	s_delay_alu instid0(VALU_DEP_2) | instskip(SKIP_1) | instid1(VALU_DEP_1)
	v_cmp_eq_u32_e32 vcc_lo, 0, v38
	v_and_b32_e32 v27, 3, v26
	v_clz_i32_u32_e32 v36, v27
	s_delay_alu instid0(VALU_DEP_1) | instskip(NEXT) | instid1(VALU_DEP_1)
	v_min_u32_e32 v36, 32, v36
	v_subrev_nc_u32_e32 v37, 29, v36
	v_sub_nc_u32_e32 v36, 30, v36
	s_delay_alu instid0(VALU_DEP_1) | instskip(NEXT) | instid1(VALU_DEP_1)
	v_dual_cndmask_b32 v36, v38, v36 :: v_dual_lshlrev_b32 v37, v37, v26
	v_and_b32_e32 v37, 3, v37
	s_delay_alu instid0(VALU_DEP_2) | instskip(NEXT) | instid1(VALU_DEP_2)
	v_lshl_add_u32 v36, v36, 23, 0x37800000
	v_cndmask_b32_e32 v27, v27, v37, vcc_lo
	v_and_b32_e32 v37, 0x80000000, v39
	s_delay_alu instid0(VALU_DEP_2) | instskip(NEXT) | instid1(VALU_DEP_1)
	v_lshlrev_b32_e32 v27, 21, v27
	v_or3_b32 v27, v37, v36, v27
.LBB6_9307:                             ;   in Loop: Header=BB6_8078 Depth=3
	s_or_b32 exec_lo, exec_lo, s17
	v_and_b32_e32 v37, 0xff, v19
	s_mov_b32 s13, 0
	s_mov_b32 s30, exec_lo
                                        ; implicit-def: $sgpr17
	s_delay_alu instid0(VALU_DEP_1)
	v_cmpx_lt_i16_e32 0x7f, v37
	s_xor_b32 s30, exec_lo, s30
	s_cbranch_execnz .LBB6_10361
; %bb.9308:                             ;   in Loop: Header=BB6_8078 Depth=3
	s_or_saveexec_b32 s30, s30
	v_mov_b32_e32 v36, s17
	s_xor_b32 exec_lo, exec_lo, s30
	s_cbranch_execnz .LBB6_10364
.LBB6_9309:                             ;   in Loop: Header=BB6_8078 Depth=3
	s_or_b32 exec_lo, exec_lo, s30
	s_and_saveexec_b32 s17, s13
	s_cbranch_execz .LBB6_9311
.LBB6_9310:                             ;   in Loop: Header=BB6_8078 Depth=3
	v_bfe_u32 v39, v19, 2, 5
	v_lshlrev_b32_e32 v48, 24, v19
	s_delay_alu instid0(VALU_DEP_2) | instskip(SKIP_1) | instid1(VALU_DEP_1)
	v_cmp_eq_u32_e32 vcc_lo, 0, v39
	v_and_b32_e32 v36, 3, v19
	v_clz_i32_u32_e32 v37, v36
	s_delay_alu instid0(VALU_DEP_1) | instskip(NEXT) | instid1(VALU_DEP_1)
	v_min_u32_e32 v37, 32, v37
	v_subrev_nc_u32_e32 v38, 29, v37
	v_sub_nc_u32_e32 v37, 30, v37
	s_delay_alu instid0(VALU_DEP_1) | instskip(NEXT) | instid1(VALU_DEP_1)
	v_dual_cndmask_b32 v37, v39, v37 :: v_dual_lshlrev_b32 v38, v38, v19
	v_and_b32_e32 v38, 3, v38
	s_delay_alu instid0(VALU_DEP_2) | instskip(NEXT) | instid1(VALU_DEP_2)
	v_lshl_add_u32 v37, v37, 23, 0x37800000
	v_cndmask_b32_e32 v36, v36, v38, vcc_lo
	v_and_b32_e32 v38, 0x80000000, v48
	s_delay_alu instid0(VALU_DEP_2) | instskip(NEXT) | instid1(VALU_DEP_1)
	v_lshlrev_b32_e32 v36, 21, v36
	v_or3_b32 v36, v38, v37, v36
.LBB6_9311:                             ;   in Loop: Header=BB6_8078 Depth=3
	s_or_b32 exec_lo, exec_lo, s17
	s_delay_alu instid0(VALU_DEP_1) | instskip(SKIP_2) | instid1(VALU_DEP_2)
	v_add_f32_e32 v27, v27, v36
	v_mov_b32_e32 v91, 0x80
	s_mov_b32 s17, exec_lo
	v_and_b32_e32 v36, 0x7f800000, v27
	s_delay_alu instid0(VALU_DEP_1)
	v_cmpx_ne_u32_e32 0x7f800000, v36
	s_cbranch_execz .LBB6_9319
; %bb.9312:                             ;   in Loop: Header=BB6_8078 Depth=3
	v_mov_b32_e32 v91, 0
	s_mov_b32 s30, exec_lo
	v_cmpx_ne_u32_e32 0, v27
	s_cbranch_execz .LBB6_9318
; %bb.9313:                             ;   in Loop: Header=BB6_8078 Depth=3
	v_bfe_u32 v36, v27, 23, 8
	s_delay_alu instid0(VALU_DEP_1) | instskip(SKIP_1) | instid1(VALU_DEP_2)
	v_sub_nc_u32_e32 v38, 0x70, v36
	v_cmp_gt_u32_e32 vcc_lo, 0x71, v36
	v_dual_cndmask_b32 v38, 0, v38 :: v_dual_and_b32 v37, 0x7fffff, v27
	s_delay_alu instid0(VALU_DEP_1) | instskip(SKIP_2) | instid1(VALU_DEP_4)
	v_or_b32_e32 v39, 0x800000, v37
	v_cmp_eq_u32_e32 vcc_lo, 0, v36
	v_add_nc_u32_e32 v36, 0xffffff91, v36
	v_cndmask_b32_e64 v38, v38, 0x6f, vcc_lo
	s_delay_alu instid0(VALU_DEP_4) | instskip(NEXT) | instid1(VALU_DEP_3)
	v_cndmask_b32_e32 v37, v39, v37, vcc_lo
	v_cndmask_b32_e64 v36, v36, 0xffffff92, vcc_lo
	s_delay_alu instid0(VALU_DEP_3) | instskip(NEXT) | instid1(VALU_DEP_3)
	v_lshl_add_u32 v39, 0x200000, v38, -1
	v_lshrrev_b32_e32 v48, v38, v37
	v_lshlrev_b32_e64 v50, v38, 0x100000
	s_delay_alu instid0(VALU_DEP_4) | instskip(NEXT) | instid1(VALU_DEP_4)
	v_add_nc_u32_e32 v38, v38, v36
	v_and_b32_e32 v37, v39, v37
	s_delay_alu instid0(VALU_DEP_4) | instskip(NEXT) | instid1(VALU_DEP_2)
	v_bfe_u32 v49, v48, 21, 1
	v_cmp_eq_u32_e64 s13, v37, v50
	s_delay_alu instid0(VALU_DEP_2) | instskip(NEXT) | instid1(VALU_DEP_1)
	v_add_nc_u32_e32 v39, -1, v49
	v_cndmask_b32_e64 v37, 0, v39, s13
	v_lshrrev_b32_e32 v39, 23, v48
	s_mov_b32 s13, exec_lo
	s_delay_alu instid0(VALU_DEP_2) | instskip(NEXT) | instid1(VALU_DEP_2)
	v_add_nc_u32_e32 v37, v37, v48
	v_xor_b32_e32 v39, 1, v39
	s_delay_alu instid0(VALU_DEP_2) | instskip(NEXT) | instid1(VALU_DEP_1)
	v_and_b32_e32 v36, 0x1fffff, v37
	v_add_nc_u32_e32 v37, v36, v48
                                        ; implicit-def: $vgpr36
	s_delay_alu instid0(VALU_DEP_3)
	v_cmpx_ne_u32_e64 v38, v39
	s_xor_b32 s13, exec_lo, s13
; %bb.9314:                             ;   in Loop: Header=BB6_8078 Depth=3
	s_delay_alu instid0(VALU_DEP_2) | instskip(SKIP_2) | instid1(VALU_DEP_2)
	v_cmp_lt_u32_e32 vcc_lo, 0xffffff, v37
	v_sub_nc_u32_e32 v36, v38, v39
	v_cndmask_b32_e64 v38, 0, 1, vcc_lo
	v_add_co_ci_u32_e32 v36, vcc_lo, 0, v36, vcc_lo
	s_delay_alu instid0(VALU_DEP_2)
	v_lshrrev_b32_e32 v37, v38, v37
; %bb.9315:                             ;   in Loop: Header=BB6_8078 Depth=3
	s_and_not1_saveexec_b32 s13, s13
; %bb.9316:                             ;   in Loop: Header=BB6_8078 Depth=3
	s_delay_alu instid0(VALU_DEP_1)
	v_bfe_u32 v36, v37, 23, 1
; %bb.9317:                             ;   in Loop: Header=BB6_8078 Depth=3
	s_or_b32 exec_lo, exec_lo, s13
	v_lshrrev_b32_e32 v37, 21, v37
	s_delay_alu instid0(VALU_DEP_2) | instskip(SKIP_2) | instid1(VALU_DEP_4)
	v_cmp_gt_i32_e32 vcc_lo, 32, v36
	v_lshrrev_b32_e32 v27, 24, v27
	v_min_i32_e32 v38, 31, v36
	v_cndmask_b32_e32 v37, 3, v37, vcc_lo
	s_delay_alu instid0(VALU_DEP_3) | instskip(NEXT) | instid1(VALU_DEP_3)
	v_and_b32_e32 v27, 0x80, v27
	v_lshlrev_b32_e32 v38, 2, v38
	s_delay_alu instid0(VALU_DEP_3) | instskip(SKIP_1) | instid1(VALU_DEP_2)
	v_and_b32_e32 v39, 3, v37
	v_or_b32_e32 v36, v36, v37
	v_or3_b32 v27, v38, v27, v39
	s_delay_alu instid0(VALU_DEP_2) | instskip(NEXT) | instid1(VALU_DEP_2)
	v_cmp_ne_u32_e32 vcc_lo, 0, v36
	v_cndmask_b32_e32 v91, 0, v27, vcc_lo
.LBB6_9318:                             ;   in Loop: Header=BB6_8078 Depth=3
	s_or_b32 exec_lo, exec_lo, s30
.LBB6_9319:                             ;   in Loop: Header=BB6_8078 Depth=3
	s_delay_alu instid0(SALU_CYCLE_1) | instskip(SKIP_3) | instid1(VALU_DEP_1)
	s_or_b32 exec_lo, exec_lo, s17
	v_lshrrev_b16 v36, 8, v26
	s_mov_b32 s13, 0
	s_mov_b32 s30, exec_lo
                                        ; implicit-def: $sgpr17
	v_cmpx_lt_i16_e32 0x7f, v36
	s_xor_b32 s30, exec_lo, s30
	s_cbranch_execnz .LBB6_10365
; %bb.9320:                             ;   in Loop: Header=BB6_8078 Depth=3
	s_or_saveexec_b32 s30, s30
	v_mov_b32_e32 v27, s17
	s_xor_b32 exec_lo, exec_lo, s30
	s_cbranch_execnz .LBB6_10368
.LBB6_9321:                             ;   in Loop: Header=BB6_8078 Depth=3
	s_or_b32 exec_lo, exec_lo, s30
	s_and_saveexec_b32 s17, s13
	s_cbranch_execz .LBB6_9323
.LBB6_9322:                             ;   in Loop: Header=BB6_8078 Depth=3
	v_and_b32_e32 v27, 0xffff, v36
	s_delay_alu instid0(VALU_DEP_1) | instskip(NEXT) | instid1(VALU_DEP_1)
	v_and_b32_e32 v37, 3, v27
	v_clz_i32_u32_e32 v38, v37
	s_delay_alu instid0(VALU_DEP_1) | instskip(NEXT) | instid1(VALU_DEP_1)
	v_min_u32_e32 v38, 32, v38
	v_subrev_nc_u32_e32 v39, 29, v38
	v_sub_nc_u32_e32 v38, 30, v38
	s_delay_alu instid0(VALU_DEP_2) | instskip(SKIP_1) | instid1(VALU_DEP_2)
	v_lshlrev_b32_e32 v39, v39, v27
	v_bfe_u32 v27, v27, 2, 5
	v_and_b32_e32 v39, 3, v39
	s_delay_alu instid0(VALU_DEP_2) | instskip(SKIP_1) | instid1(VALU_DEP_1)
	v_cmp_eq_u32_e32 vcc_lo, 0, v27
	v_dual_cndmask_b32 v27, v27, v38 :: v_dual_lshlrev_b32 v36, 24, v36
	v_dual_cndmask_b32 v37, v37, v39 :: v_dual_and_b32 v36, 0x80000000, v36
	s_delay_alu instid0(VALU_DEP_2) | instskip(NEXT) | instid1(VALU_DEP_2)
	v_lshl_add_u32 v27, v27, 23, 0x37800000
	v_lshlrev_b32_e32 v37, 21, v37
	s_delay_alu instid0(VALU_DEP_1)
	v_or3_b32 v27, v36, v27, v37
.LBB6_9323:                             ;   in Loop: Header=BB6_8078 Depth=3
	s_or_b32 exec_lo, exec_lo, s17
	v_lshrrev_b16 v36, 8, v19
	s_mov_b32 s13, 0
	s_mov_b32 s30, exec_lo
                                        ; implicit-def: $sgpr17
	s_delay_alu instid0(VALU_DEP_1)
	v_cmpx_lt_i16_e32 0x7f, v36
	s_xor_b32 s30, exec_lo, s30
	s_cbranch_execnz .LBB6_10369
; %bb.9324:                             ;   in Loop: Header=BB6_8078 Depth=3
	s_or_saveexec_b32 s30, s30
	v_mov_b32_e32 v37, s17
	s_xor_b32 exec_lo, exec_lo, s30
	s_cbranch_execnz .LBB6_10372
.LBB6_9325:                             ;   in Loop: Header=BB6_8078 Depth=3
	s_or_b32 exec_lo, exec_lo, s30
	s_and_saveexec_b32 s17, s13
	s_cbranch_execz .LBB6_9327
.LBB6_9326:                             ;   in Loop: Header=BB6_8078 Depth=3
	v_and_b32_e32 v37, 0xffff, v36
	v_lshlrev_b32_e32 v36, 24, v36
	s_delay_alu instid0(VALU_DEP_2) | instskip(NEXT) | instid1(VALU_DEP_2)
	v_and_b32_e32 v38, 3, v37
	v_and_b32_e32 v36, 0x80000000, v36
	s_delay_alu instid0(VALU_DEP_2) | instskip(NEXT) | instid1(VALU_DEP_1)
	v_clz_i32_u32_e32 v39, v38
	v_min_u32_e32 v39, 32, v39
	s_delay_alu instid0(VALU_DEP_1) | instskip(SKIP_1) | instid1(VALU_DEP_2)
	v_subrev_nc_u32_e32 v48, 29, v39
	v_sub_nc_u32_e32 v39, 30, v39
	v_lshlrev_b32_e32 v48, v48, v37
	v_bfe_u32 v37, v37, 2, 5
	s_delay_alu instid0(VALU_DEP_2) | instskip(NEXT) | instid1(VALU_DEP_2)
	v_and_b32_e32 v48, 3, v48
	v_cmp_eq_u32_e32 vcc_lo, 0, v37
	s_delay_alu instid0(VALU_DEP_2) | instskip(NEXT) | instid1(VALU_DEP_1)
	v_dual_cndmask_b32 v37, v37, v39 :: v_dual_cndmask_b32 v38, v38, v48
	v_lshl_add_u32 v37, v37, 23, 0x37800000
	s_delay_alu instid0(VALU_DEP_2) | instskip(NEXT) | instid1(VALU_DEP_1)
	v_lshlrev_b32_e32 v38, 21, v38
	v_or3_b32 v37, v36, v37, v38
.LBB6_9327:                             ;   in Loop: Header=BB6_8078 Depth=3
	s_or_b32 exec_lo, exec_lo, s17
	s_delay_alu instid0(VALU_DEP_1) | instskip(SKIP_1) | instid1(VALU_DEP_1)
	v_dual_add_f32 v27, v27, v37 :: v_dual_mov_b32 v92, 0x8000
	s_mov_b32 s17, exec_lo
	v_and_b32_e32 v36, 0x7f800000, v27
	s_delay_alu instid0(VALU_DEP_1)
	v_cmpx_ne_u32_e32 0x7f800000, v36
	s_cbranch_execz .LBB6_9335
; %bb.9328:                             ;   in Loop: Header=BB6_8078 Depth=3
	v_mov_b32_e32 v92, 0
	s_mov_b32 s30, exec_lo
	v_cmpx_ne_u32_e32 0, v27
	s_cbranch_execz .LBB6_9334
; %bb.9329:                             ;   in Loop: Header=BB6_8078 Depth=3
	v_bfe_u32 v36, v27, 23, 8
	s_delay_alu instid0(VALU_DEP_1) | instskip(SKIP_1) | instid1(VALU_DEP_2)
	v_sub_nc_u32_e32 v38, 0x70, v36
	v_cmp_gt_u32_e32 vcc_lo, 0x71, v36
	v_dual_cndmask_b32 v38, 0, v38 :: v_dual_and_b32 v37, 0x7fffff, v27
	s_delay_alu instid0(VALU_DEP_1) | instskip(SKIP_2) | instid1(VALU_DEP_4)
	v_or_b32_e32 v39, 0x800000, v37
	v_cmp_eq_u32_e32 vcc_lo, 0, v36
	v_add_nc_u32_e32 v36, 0xffffff91, v36
	v_cndmask_b32_e64 v38, v38, 0x6f, vcc_lo
	s_delay_alu instid0(VALU_DEP_4) | instskip(NEXT) | instid1(VALU_DEP_3)
	v_cndmask_b32_e32 v37, v39, v37, vcc_lo
	v_cndmask_b32_e64 v36, v36, 0xffffff92, vcc_lo
	s_delay_alu instid0(VALU_DEP_3) | instskip(NEXT) | instid1(VALU_DEP_3)
	v_lshl_add_u32 v39, 0x200000, v38, -1
	v_lshrrev_b32_e32 v48, v38, v37
	v_lshlrev_b32_e64 v50, v38, 0x100000
	s_delay_alu instid0(VALU_DEP_4) | instskip(NEXT) | instid1(VALU_DEP_4)
	v_add_nc_u32_e32 v38, v38, v36
	v_and_b32_e32 v37, v39, v37
	s_delay_alu instid0(VALU_DEP_4) | instskip(NEXT) | instid1(VALU_DEP_2)
	v_bfe_u32 v49, v48, 21, 1
	v_cmp_eq_u32_e64 s13, v37, v50
	s_delay_alu instid0(VALU_DEP_2) | instskip(NEXT) | instid1(VALU_DEP_1)
	v_add_nc_u32_e32 v39, -1, v49
	v_cndmask_b32_e64 v37, 0, v39, s13
	v_lshrrev_b32_e32 v39, 23, v48
	s_mov_b32 s13, exec_lo
	s_delay_alu instid0(VALU_DEP_2) | instskip(NEXT) | instid1(VALU_DEP_2)
	v_add_nc_u32_e32 v37, v37, v48
	v_xor_b32_e32 v39, 1, v39
	s_delay_alu instid0(VALU_DEP_2) | instskip(NEXT) | instid1(VALU_DEP_1)
	v_and_b32_e32 v36, 0x1fffff, v37
	v_add_nc_u32_e32 v37, v36, v48
                                        ; implicit-def: $vgpr36
	s_delay_alu instid0(VALU_DEP_3)
	v_cmpx_ne_u32_e64 v38, v39
	s_xor_b32 s13, exec_lo, s13
; %bb.9330:                             ;   in Loop: Header=BB6_8078 Depth=3
	s_delay_alu instid0(VALU_DEP_2) | instskip(SKIP_2) | instid1(VALU_DEP_2)
	v_cmp_lt_u32_e32 vcc_lo, 0xffffff, v37
	v_sub_nc_u32_e32 v36, v38, v39
	v_cndmask_b32_e64 v38, 0, 1, vcc_lo
	v_add_co_ci_u32_e32 v36, vcc_lo, 0, v36, vcc_lo
	s_delay_alu instid0(VALU_DEP_2)
	v_lshrrev_b32_e32 v37, v38, v37
; %bb.9331:                             ;   in Loop: Header=BB6_8078 Depth=3
	s_and_not1_saveexec_b32 s13, s13
; %bb.9332:                             ;   in Loop: Header=BB6_8078 Depth=3
	s_delay_alu instid0(VALU_DEP_1)
	v_bfe_u32 v36, v37, 23, 1
; %bb.9333:                             ;   in Loop: Header=BB6_8078 Depth=3
	s_or_b32 exec_lo, exec_lo, s13
	v_lshrrev_b32_e32 v37, 21, v37
	s_delay_alu instid0(VALU_DEP_2) | instskip(SKIP_2) | instid1(VALU_DEP_2)
	v_cmp_gt_i32_e32 vcc_lo, 32, v36
	v_min_i32_e32 v38, 31, v36
	v_lshrrev_b32_e32 v27, 24, v27
	v_dual_cndmask_b32 v37, 3, v37 :: v_dual_lshlrev_b32 v38, 2, v38
	s_delay_alu instid0(VALU_DEP_2) | instskip(NEXT) | instid1(VALU_DEP_2)
	v_and_b32_e32 v27, 0x80, v27
	v_or_b32_e32 v36, v36, v37
	s_delay_alu instid0(VALU_DEP_3) | instskip(NEXT) | instid1(VALU_DEP_2)
	v_and_b32_e32 v38, 0xfc, v38
	v_cmp_ne_u32_e32 vcc_lo, 0, v36
	v_and_b32_e32 v39, 3, v37
	s_delay_alu instid0(VALU_DEP_1) | instskip(NEXT) | instid1(VALU_DEP_1)
	v_or3_b32 v27, v27, v38, v39
	v_lshlrev_b32_e32 v27, 8, v27
	s_delay_alu instid0(VALU_DEP_1)
	v_cndmask_b32_e32 v92, 0, v27, vcc_lo
.LBB6_9334:                             ;   in Loop: Header=BB6_8078 Depth=3
	s_or_b32 exec_lo, exec_lo, s30
.LBB6_9335:                             ;   in Loop: Header=BB6_8078 Depth=3
	s_delay_alu instid0(SALU_CYCLE_1) | instskip(SKIP_3) | instid1(VALU_DEP_1)
	s_or_b32 exec_lo, exec_lo, s17
	v_or_b32_e32 v36, v93, v90
	s_mov_b32 s13, 0
	s_mov_b32 s30, exec_lo
                                        ; implicit-def: $sgpr17
	v_and_b32_e32 v37, 0xff, v36
	s_delay_alu instid0(VALU_DEP_1)
	v_cmpx_lt_i16_e32 0x7f, v37
	s_xor_b32 s30, exec_lo, s30
	s_cbranch_execnz .LBB6_10373
; %bb.9336:                             ;   in Loop: Header=BB6_8078 Depth=3
	s_or_saveexec_b32 s30, s30
	v_mov_b32_e32 v27, s17
	s_xor_b32 exec_lo, exec_lo, s30
	s_cbranch_execnz .LBB6_10376
.LBB6_9337:                             ;   in Loop: Header=BB6_8078 Depth=3
	s_or_b32 exec_lo, exec_lo, s30
	v_lshl_or_b32 v26, v36, 16, v26
	s_and_saveexec_b32 s17, s13
	s_cbranch_execz .LBB6_9339
.LBB6_9338:                             ;   in Loop: Header=BB6_8078 Depth=3
	s_delay_alu instid0(VALU_DEP_1) | instskip(SKIP_2) | instid1(VALU_DEP_3)
	v_bfe_u32 v27, v26, 16, 2
	v_lshrrev_b32_e32 v37, 16, v26
	v_lshlrev_b32_e32 v39, 8, v26
	v_clz_i32_u32_e32 v36, v27
	s_delay_alu instid0(VALU_DEP_1) | instskip(NEXT) | instid1(VALU_DEP_1)
	v_min_u32_e32 v36, 32, v36
	v_subrev_nc_u32_e32 v38, 29, v36
	v_sub_nc_u32_e32 v36, 30, v36
	s_delay_alu instid0(VALU_DEP_2) | instskip(SKIP_1) | instid1(VALU_DEP_1)
	v_lshlrev_b32_e32 v37, v38, v37
	v_bfe_u32 v38, v26, 18, 5
	v_cmp_eq_u32_e32 vcc_lo, 0, v38
	s_delay_alu instid0(VALU_DEP_3) | instskip(NEXT) | instid1(VALU_DEP_1)
	v_dual_cndmask_b32 v36, v38, v36 :: v_dual_and_b32 v37, 3, v37
	v_cndmask_b32_e32 v27, v27, v37, vcc_lo
	v_and_b32_e32 v37, 0x80000000, v39
	s_delay_alu instid0(VALU_DEP_3) | instskip(NEXT) | instid1(VALU_DEP_3)
	v_lshl_add_u32 v36, v36, 23, 0x37800000
	v_lshlrev_b32_e32 v27, 21, v27
	s_delay_alu instid0(VALU_DEP_1)
	v_or3_b32 v27, v37, v36, v27
.LBB6_9339:                             ;   in Loop: Header=BB6_8078 Depth=3
	s_or_b32 exec_lo, exec_lo, s17
	v_lshrrev_b32_e32 v36, 16, v19
	s_mov_b32 s13, 0
	s_mov_b32 s30, exec_lo
                                        ; implicit-def: $sgpr17
	s_delay_alu instid0(VALU_DEP_1) | instskip(NEXT) | instid1(VALU_DEP_1)
	v_and_b32_e32 v38, 0xff, v36
	v_cmpx_lt_i16_e32 0x7f, v38
	s_xor_b32 s30, exec_lo, s30
	s_cbranch_execnz .LBB6_10377
; %bb.9340:                             ;   in Loop: Header=BB6_8078 Depth=3
	s_or_saveexec_b32 s30, s30
	v_mov_b32_e32 v37, s17
	s_xor_b32 exec_lo, exec_lo, s30
	s_cbranch_execnz .LBB6_10380
.LBB6_9341:                             ;   in Loop: Header=BB6_8078 Depth=3
	s_or_b32 exec_lo, exec_lo, s30
	s_and_saveexec_b32 s17, s13
	s_cbranch_execz .LBB6_9343
.LBB6_9342:                             ;   in Loop: Header=BB6_8078 Depth=3
	v_bfe_u32 v37, v19, 16, 2
	v_lshlrev_b32_e32 v48, 8, v19
	s_delay_alu instid0(VALU_DEP_2) | instskip(NEXT) | instid1(VALU_DEP_1)
	v_clz_i32_u32_e32 v38, v37
	v_min_u32_e32 v38, 32, v38
	s_delay_alu instid0(VALU_DEP_1) | instskip(SKIP_1) | instid1(VALU_DEP_2)
	v_subrev_nc_u32_e32 v39, 29, v38
	v_sub_nc_u32_e32 v38, 30, v38
	v_lshlrev_b32_e32 v36, v39, v36
	v_bfe_u32 v39, v19, 18, 5
	s_delay_alu instid0(VALU_DEP_2) | instskip(NEXT) | instid1(VALU_DEP_2)
	v_and_b32_e32 v36, 3, v36
	v_cmp_eq_u32_e32 vcc_lo, 0, v39
	v_cndmask_b32_e32 v38, v39, v38, vcc_lo
	s_delay_alu instid0(VALU_DEP_3) | instskip(SKIP_1) | instid1(VALU_DEP_3)
	v_cndmask_b32_e32 v36, v37, v36, vcc_lo
	v_and_b32_e32 v37, 0x80000000, v48
	v_lshl_add_u32 v38, v38, 23, 0x37800000
	s_delay_alu instid0(VALU_DEP_3) | instskip(NEXT) | instid1(VALU_DEP_1)
	v_lshlrev_b32_e32 v36, 21, v36
	v_or3_b32 v37, v37, v38, v36
.LBB6_9343:                             ;   in Loop: Header=BB6_8078 Depth=3
	s_or_b32 exec_lo, exec_lo, s17
	s_delay_alu instid0(VALU_DEP_1) | instskip(SKIP_1) | instid1(VALU_DEP_1)
	v_dual_add_f32 v27, v27, v37 :: v_dual_mov_b32 v90, 0x80
	s_mov_b32 s17, exec_lo
	v_and_b32_e32 v36, 0x7f800000, v27
	s_delay_alu instid0(VALU_DEP_1)
	v_cmpx_ne_u32_e32 0x7f800000, v36
	s_cbranch_execz .LBB6_9351
; %bb.9344:                             ;   in Loop: Header=BB6_8078 Depth=3
	v_mov_b32_e32 v90, 0
	s_mov_b32 s30, exec_lo
	v_cmpx_ne_u32_e32 0, v27
	s_cbranch_execz .LBB6_9350
; %bb.9345:                             ;   in Loop: Header=BB6_8078 Depth=3
	v_bfe_u32 v36, v27, 23, 8
	s_delay_alu instid0(VALU_DEP_1) | instskip(SKIP_1) | instid1(VALU_DEP_2)
	v_sub_nc_u32_e32 v38, 0x70, v36
	v_cmp_gt_u32_e32 vcc_lo, 0x71, v36
	v_dual_cndmask_b32 v38, 0, v38 :: v_dual_and_b32 v37, 0x7fffff, v27
	s_delay_alu instid0(VALU_DEP_1) | instskip(SKIP_2) | instid1(VALU_DEP_4)
	v_or_b32_e32 v39, 0x800000, v37
	v_cmp_eq_u32_e32 vcc_lo, 0, v36
	v_add_nc_u32_e32 v36, 0xffffff91, v36
	v_cndmask_b32_e64 v38, v38, 0x6f, vcc_lo
	s_delay_alu instid0(VALU_DEP_4) | instskip(NEXT) | instid1(VALU_DEP_3)
	v_cndmask_b32_e32 v37, v39, v37, vcc_lo
	v_cndmask_b32_e64 v36, v36, 0xffffff92, vcc_lo
	s_delay_alu instid0(VALU_DEP_3) | instskip(NEXT) | instid1(VALU_DEP_3)
	v_lshl_add_u32 v39, 0x200000, v38, -1
	v_lshrrev_b32_e32 v48, v38, v37
	v_lshlrev_b32_e64 v50, v38, 0x100000
	s_delay_alu instid0(VALU_DEP_4) | instskip(NEXT) | instid1(VALU_DEP_4)
	v_add_nc_u32_e32 v38, v38, v36
	v_and_b32_e32 v37, v39, v37
	s_delay_alu instid0(VALU_DEP_4) | instskip(NEXT) | instid1(VALU_DEP_2)
	v_bfe_u32 v49, v48, 21, 1
	v_cmp_eq_u32_e64 s13, v37, v50
	s_delay_alu instid0(VALU_DEP_2) | instskip(NEXT) | instid1(VALU_DEP_1)
	v_add_nc_u32_e32 v39, -1, v49
	v_cndmask_b32_e64 v37, 0, v39, s13
	v_lshrrev_b32_e32 v39, 23, v48
	s_mov_b32 s13, exec_lo
	s_delay_alu instid0(VALU_DEP_2) | instskip(NEXT) | instid1(VALU_DEP_2)
	v_add_nc_u32_e32 v37, v37, v48
	v_xor_b32_e32 v39, 1, v39
	s_delay_alu instid0(VALU_DEP_2) | instskip(NEXT) | instid1(VALU_DEP_1)
	v_and_b32_e32 v36, 0x1fffff, v37
	v_add_nc_u32_e32 v37, v36, v48
                                        ; implicit-def: $vgpr36
	s_delay_alu instid0(VALU_DEP_3)
	v_cmpx_ne_u32_e64 v38, v39
	s_xor_b32 s13, exec_lo, s13
; %bb.9346:                             ;   in Loop: Header=BB6_8078 Depth=3
	s_delay_alu instid0(VALU_DEP_2) | instskip(SKIP_2) | instid1(VALU_DEP_2)
	v_cmp_lt_u32_e32 vcc_lo, 0xffffff, v37
	v_sub_nc_u32_e32 v36, v38, v39
	v_cndmask_b32_e64 v38, 0, 1, vcc_lo
	v_add_co_ci_u32_e32 v36, vcc_lo, 0, v36, vcc_lo
	s_delay_alu instid0(VALU_DEP_2)
	v_lshrrev_b32_e32 v37, v38, v37
; %bb.9347:                             ;   in Loop: Header=BB6_8078 Depth=3
	s_and_not1_saveexec_b32 s13, s13
; %bb.9348:                             ;   in Loop: Header=BB6_8078 Depth=3
	s_delay_alu instid0(VALU_DEP_1)
	v_bfe_u32 v36, v37, 23, 1
; %bb.9349:                             ;   in Loop: Header=BB6_8078 Depth=3
	s_or_b32 exec_lo, exec_lo, s13
	v_lshrrev_b32_e32 v37, 21, v37
	s_delay_alu instid0(VALU_DEP_2) | instskip(SKIP_2) | instid1(VALU_DEP_2)
	v_cmp_gt_i32_e32 vcc_lo, 32, v36
	v_min_i32_e32 v38, 31, v36
	v_lshrrev_b32_e32 v27, 24, v27
	v_dual_cndmask_b32 v37, 3, v37 :: v_dual_lshlrev_b32 v38, 2, v38
	s_delay_alu instid0(VALU_DEP_2) | instskip(NEXT) | instid1(VALU_DEP_2)
	v_and_b32_e32 v27, 0x80, v27
	v_or_b32_e32 v36, v36, v37
	s_delay_alu instid0(VALU_DEP_3) | instskip(NEXT) | instid1(VALU_DEP_2)
	v_and_b32_e32 v38, 0xfc, v38
	v_cmp_ne_u32_e32 vcc_lo, 0, v36
	v_and_b32_e32 v39, 3, v37
	s_delay_alu instid0(VALU_DEP_1) | instskip(NEXT) | instid1(VALU_DEP_1)
	v_or3_b32 v27, v38, v27, v39
	v_cndmask_b32_e32 v90, 0, v27, vcc_lo
.LBB6_9350:                             ;   in Loop: Header=BB6_8078 Depth=3
	s_or_b32 exec_lo, exec_lo, s30
.LBB6_9351:                             ;   in Loop: Header=BB6_8078 Depth=3
	s_delay_alu instid0(SALU_CYCLE_1) | instskip(SKIP_3) | instid1(VALU_DEP_1)
	s_or_b32 exec_lo, exec_lo, s17
	v_lshrrev_b32_e32 v36, 24, v26
	s_mov_b32 s13, 0
	s_mov_b32 s30, exec_lo
                                        ; implicit-def: $sgpr17
	v_cmpx_lt_i16_e32 0x7f, v36
	s_xor_b32 s30, exec_lo, s30
	s_cbranch_execnz .LBB6_10381
; %bb.9352:                             ;   in Loop: Header=BB6_8078 Depth=3
	s_or_saveexec_b32 s30, s30
	v_mov_b32_e32 v27, s17
	s_xor_b32 exec_lo, exec_lo, s30
	s_cbranch_execnz .LBB6_10384
.LBB6_9353:                             ;   in Loop: Header=BB6_8078 Depth=3
	s_or_b32 exec_lo, exec_lo, s30
	s_and_saveexec_b32 s17, s13
	s_cbranch_execz .LBB6_9355
.LBB6_9354:                             ;   in Loop: Header=BB6_8078 Depth=3
	v_bfe_u32 v27, v26, 24, 2
	s_delay_alu instid0(VALU_DEP_1) | instskip(NEXT) | instid1(VALU_DEP_1)
	v_clz_i32_u32_e32 v37, v27
	v_min_u32_e32 v37, 32, v37
	s_delay_alu instid0(VALU_DEP_1) | instskip(SKIP_1) | instid1(VALU_DEP_2)
	v_subrev_nc_u32_e32 v38, 29, v37
	v_sub_nc_u32_e32 v37, 30, v37
	v_lshlrev_b32_e32 v36, v38, v36
	v_bfe_u32 v38, v26, 26, 5
	v_and_b32_e32 v26, 0x80000000, v26
	s_delay_alu instid0(VALU_DEP_2) | instskip(NEXT) | instid1(VALU_DEP_4)
	v_cmp_eq_u32_e32 vcc_lo, 0, v38
	v_dual_cndmask_b32 v37, v38, v37 :: v_dual_and_b32 v36, 3, v36
	s_delay_alu instid0(VALU_DEP_1) | instskip(NEXT) | instid1(VALU_DEP_2)
	v_cndmask_b32_e32 v27, v27, v36, vcc_lo
	v_lshl_add_u32 v36, v37, 23, 0x37800000
	s_delay_alu instid0(VALU_DEP_2) | instskip(NEXT) | instid1(VALU_DEP_1)
	v_lshlrev_b32_e32 v27, 21, v27
	v_or3_b32 v27, v26, v36, v27
.LBB6_9355:                             ;   in Loop: Header=BB6_8078 Depth=3
	s_or_b32 exec_lo, exec_lo, s17
	v_lshrrev_b32_e32 v26, 24, v19
	s_mov_b32 s13, 0
	s_mov_b32 s30, exec_lo
                                        ; implicit-def: $sgpr17
	s_delay_alu instid0(VALU_DEP_1)
	v_cmpx_lt_i16_e32 0x7f, v26
	s_xor_b32 s30, exec_lo, s30
	s_cbranch_execnz .LBB6_10385
; %bb.9356:                             ;   in Loop: Header=BB6_8078 Depth=3
	s_or_saveexec_b32 s30, s30
	v_mov_b32_e32 v36, s17
	s_xor_b32 exec_lo, exec_lo, s30
	s_cbranch_execnz .LBB6_10388
.LBB6_9357:                             ;   in Loop: Header=BB6_8078 Depth=3
	s_or_b32 exec_lo, exec_lo, s30
	s_and_saveexec_b32 s17, s13
	s_cbranch_execz .LBB6_9359
.LBB6_9358:                             ;   in Loop: Header=BB6_8078 Depth=3
	v_bfe_u32 v36, v19, 24, 2
	s_delay_alu instid0(VALU_DEP_1) | instskip(NEXT) | instid1(VALU_DEP_1)
	v_clz_i32_u32_e32 v37, v36
	v_min_u32_e32 v37, 32, v37
	s_delay_alu instid0(VALU_DEP_1) | instskip(SKIP_1) | instid1(VALU_DEP_2)
	v_subrev_nc_u32_e32 v38, 29, v37
	v_sub_nc_u32_e32 v37, 30, v37
	v_lshlrev_b32_e32 v26, v38, v26
	v_bfe_u32 v38, v19, 26, 5
	v_and_b32_e32 v19, 0x80000000, v19
	s_delay_alu instid0(VALU_DEP_2) | instskip(NEXT) | instid1(VALU_DEP_4)
	v_cmp_eq_u32_e32 vcc_lo, 0, v38
	v_dual_cndmask_b32 v37, v38, v37 :: v_dual_and_b32 v26, 3, v26
	s_delay_alu instid0(VALU_DEP_1) | instskip(NEXT) | instid1(VALU_DEP_2)
	v_cndmask_b32_e32 v26, v36, v26, vcc_lo
	v_lshl_add_u32 v36, v37, 23, 0x37800000
	s_delay_alu instid0(VALU_DEP_2) | instskip(NEXT) | instid1(VALU_DEP_1)
	v_lshlrev_b32_e32 v26, 21, v26
	v_or3_b32 v36, v19, v36, v26
.LBB6_9359:                             ;   in Loop: Header=BB6_8078 Depth=3
	s_or_b32 exec_lo, exec_lo, s17
	s_delay_alu instid0(VALU_DEP_1) | instskip(NEXT) | instid1(VALU_DEP_1)
	v_add_f32_e32 v26, v27, v36
	v_and_b32_e32 v19, 0x7f800000, v26
	s_delay_alu instid0(VALU_DEP_1)
	v_cmp_ne_u32_e32 vcc_lo, 0x7f800000, v19
	v_mov_b32_e32 v19, 0x8000
	s_and_saveexec_b32 s17, vcc_lo
	s_cbranch_execz .LBB6_9367
; %bb.9360:                             ;   in Loop: Header=BB6_8078 Depth=3
	v_mov_b32_e32 v19, 0
	s_mov_b32 s30, exec_lo
	v_cmpx_ne_u32_e32 0, v26
	s_cbranch_execz .LBB6_9366
; %bb.9361:                             ;   in Loop: Header=BB6_8078 Depth=3
	v_bfe_u32 v19, v26, 23, 8
	s_delay_alu instid0(VALU_DEP_1) | instskip(SKIP_1) | instid1(VALU_DEP_2)
	v_sub_nc_u32_e32 v36, 0x70, v19
	v_cmp_gt_u32_e32 vcc_lo, 0x71, v19
	v_dual_cndmask_b32 v36, 0, v36 :: v_dual_and_b32 v27, 0x7fffff, v26
	s_delay_alu instid0(VALU_DEP_1) | instskip(SKIP_2) | instid1(VALU_DEP_4)
	v_or_b32_e32 v37, 0x800000, v27
	v_cmp_eq_u32_e32 vcc_lo, 0, v19
	v_add_nc_u32_e32 v19, 0xffffff91, v19
	v_cndmask_b32_e64 v36, v36, 0x6f, vcc_lo
	s_delay_alu instid0(VALU_DEP_4) | instskip(NEXT) | instid1(VALU_DEP_3)
	v_cndmask_b32_e32 v27, v37, v27, vcc_lo
	v_cndmask_b32_e64 v19, v19, 0xffffff92, vcc_lo
	s_delay_alu instid0(VALU_DEP_3) | instskip(NEXT) | instid1(VALU_DEP_3)
	v_lshl_add_u32 v37, 0x200000, v36, -1
	v_lshrrev_b32_e32 v38, v36, v27
	v_lshlrev_b32_e64 v48, v36, 0x100000
	s_delay_alu instid0(VALU_DEP_4) | instskip(NEXT) | instid1(VALU_DEP_4)
	v_add_nc_u32_e32 v36, v36, v19
	v_and_b32_e32 v27, v37, v27
	s_delay_alu instid0(VALU_DEP_4) | instskip(NEXT) | instid1(VALU_DEP_2)
	v_bfe_u32 v39, v38, 21, 1
	v_cmp_eq_u32_e64 s13, v27, v48
	s_delay_alu instid0(VALU_DEP_2) | instskip(NEXT) | instid1(VALU_DEP_1)
	v_add_nc_u32_e32 v37, -1, v39
	v_cndmask_b32_e64 v27, 0, v37, s13
	v_lshrrev_b32_e32 v37, 23, v38
	s_mov_b32 s13, exec_lo
	s_delay_alu instid0(VALU_DEP_2) | instskip(NEXT) | instid1(VALU_DEP_2)
	v_add_nc_u32_e32 v27, v27, v38
	v_xor_b32_e32 v37, 1, v37
	s_delay_alu instid0(VALU_DEP_2) | instskip(NEXT) | instid1(VALU_DEP_1)
	v_and_b32_e32 v19, 0x1fffff, v27
	v_add_nc_u32_e32 v27, v19, v38
                                        ; implicit-def: $vgpr19
	s_delay_alu instid0(VALU_DEP_3)
	v_cmpx_ne_u32_e64 v36, v37
	s_xor_b32 s13, exec_lo, s13
; %bb.9362:                             ;   in Loop: Header=BB6_8078 Depth=3
	s_delay_alu instid0(VALU_DEP_2) | instskip(SKIP_2) | instid1(VALU_DEP_2)
	v_cmp_lt_u32_e32 vcc_lo, 0xffffff, v27
	v_sub_nc_u32_e32 v19, v36, v37
	v_cndmask_b32_e64 v36, 0, 1, vcc_lo
	v_add_co_ci_u32_e32 v19, vcc_lo, 0, v19, vcc_lo
	s_delay_alu instid0(VALU_DEP_2)
	v_lshrrev_b32_e32 v27, v36, v27
; %bb.9363:                             ;   in Loop: Header=BB6_8078 Depth=3
	s_and_not1_saveexec_b32 s13, s13
; %bb.9364:                             ;   in Loop: Header=BB6_8078 Depth=3
	s_delay_alu instid0(VALU_DEP_1)
	v_bfe_u32 v19, v27, 23, 1
; %bb.9365:                             ;   in Loop: Header=BB6_8078 Depth=3
	s_or_b32 exec_lo, exec_lo, s13
	v_lshrrev_b32_e32 v27, 21, v27
	s_delay_alu instid0(VALU_DEP_2) | instskip(SKIP_2) | instid1(VALU_DEP_2)
	v_cmp_gt_i32_e32 vcc_lo, 32, v19
	v_min_i32_e32 v36, 31, v19
	v_lshrrev_b32_e32 v26, 24, v26
	v_dual_cndmask_b32 v27, 3, v27 :: v_dual_lshlrev_b32 v36, 2, v36
	s_delay_alu instid0(VALU_DEP_2) | instskip(NEXT) | instid1(VALU_DEP_2)
	v_and_b32_e32 v26, 0x80, v26
	v_or_b32_e32 v19, v19, v27
	v_and_b32_e32 v37, 3, v27
	s_delay_alu instid0(VALU_DEP_2) | instskip(SKIP_1) | instid1(VALU_DEP_1)
	v_cmp_ne_u32_e32 vcc_lo, 0, v19
	v_and_b32_e32 v36, 0xfc, v36
	v_or3_b32 v26, v26, v36, v37
	s_delay_alu instid0(VALU_DEP_1) | instskip(NEXT) | instid1(VALU_DEP_1)
	v_lshlrev_b32_e32 v26, 8, v26
	v_cndmask_b32_e32 v19, 0, v26, vcc_lo
.LBB6_9366:                             ;   in Loop: Header=BB6_8078 Depth=3
	s_or_b32 exec_lo, exec_lo, s30
.LBB6_9367:                             ;   in Loop: Header=BB6_8078 Depth=3
	s_delay_alu instid0(SALU_CYCLE_1) | instskip(SKIP_3) | instid1(VALU_DEP_1)
	s_or_b32 exec_lo, exec_lo, s17
	v_and_b32_e32 v27, 0xff, v88
	s_mov_b32 s13, 0
	s_mov_b32 s30, exec_lo
                                        ; implicit-def: $sgpr17
	v_cmpx_lt_i16_e32 0x7f, v27
	s_xor_b32 s30, exec_lo, s30
	s_cbranch_execnz .LBB6_10389
; %bb.9368:                             ;   in Loop: Header=BB6_8078 Depth=3
	s_or_saveexec_b32 s30, s30
	v_mov_b32_e32 v26, s17
	s_xor_b32 exec_lo, exec_lo, s30
	s_cbranch_execnz .LBB6_10392
.LBB6_9369:                             ;   in Loop: Header=BB6_8078 Depth=3
	s_or_b32 exec_lo, exec_lo, s30
	s_and_saveexec_b32 s17, s13
	s_cbranch_execz .LBB6_9371
.LBB6_9370:                             ;   in Loop: Header=BB6_8078 Depth=3
	v_bfe_u32 v37, v88, 2, 5
	v_lshlrev_b32_e32 v38, 24, v88
	s_delay_alu instid0(VALU_DEP_2) | instskip(SKIP_1) | instid1(VALU_DEP_1)
	v_cmp_eq_u32_e32 vcc_lo, 0, v37
	v_and_b32_e32 v26, 3, v88
	v_clz_i32_u32_e32 v27, v26
	s_delay_alu instid0(VALU_DEP_1) | instskip(NEXT) | instid1(VALU_DEP_1)
	v_min_u32_e32 v27, 32, v27
	v_subrev_nc_u32_e32 v36, 29, v27
	v_sub_nc_u32_e32 v27, 30, v27
	s_delay_alu instid0(VALU_DEP_1) | instskip(NEXT) | instid1(VALU_DEP_1)
	v_dual_cndmask_b32 v27, v37, v27 :: v_dual_lshlrev_b32 v36, v36, v88
	v_and_b32_e32 v36, 3, v36
	s_delay_alu instid0(VALU_DEP_2) | instskip(NEXT) | instid1(VALU_DEP_2)
	v_lshl_add_u32 v27, v27, 23, 0x37800000
	v_cndmask_b32_e32 v26, v26, v36, vcc_lo
	v_and_b32_e32 v36, 0x80000000, v38
	s_delay_alu instid0(VALU_DEP_2) | instskip(NEXT) | instid1(VALU_DEP_1)
	v_lshlrev_b32_e32 v26, 21, v26
	v_or3_b32 v26, v36, v27, v26
.LBB6_9371:                             ;   in Loop: Header=BB6_8078 Depth=3
	s_or_b32 exec_lo, exec_lo, s17
	s_waitcnt vmcnt(1)
	v_and_b32_e32 v36, 0xff, v12
	s_mov_b32 s13, 0
	s_mov_b32 s30, exec_lo
                                        ; implicit-def: $sgpr17
	s_delay_alu instid0(VALU_DEP_1)
	v_cmpx_lt_i16_e32 0x7f, v36
	s_xor_b32 s30, exec_lo, s30
	s_cbranch_execnz .LBB6_10393
; %bb.9372:                             ;   in Loop: Header=BB6_8078 Depth=3
	s_or_saveexec_b32 s30, s30
	v_mov_b32_e32 v27, s17
	s_xor_b32 exec_lo, exec_lo, s30
	s_cbranch_execnz .LBB6_10396
.LBB6_9373:                             ;   in Loop: Header=BB6_8078 Depth=3
	s_or_b32 exec_lo, exec_lo, s30
	s_and_saveexec_b32 s17, s13
	s_cbranch_execz .LBB6_9375
.LBB6_9374:                             ;   in Loop: Header=BB6_8078 Depth=3
	v_and_b32_e32 v27, 3, v12
	v_bfe_u32 v38, v12, 2, 5
	v_lshlrev_b32_e32 v39, 24, v12
	s_delay_alu instid0(VALU_DEP_3) | instskip(NEXT) | instid1(VALU_DEP_3)
	v_clz_i32_u32_e32 v36, v27
	v_cmp_eq_u32_e32 vcc_lo, 0, v38
	s_delay_alu instid0(VALU_DEP_2) | instskip(NEXT) | instid1(VALU_DEP_1)
	v_min_u32_e32 v36, 32, v36
	v_subrev_nc_u32_e32 v37, 29, v36
	v_sub_nc_u32_e32 v36, 30, v36
	s_delay_alu instid0(VALU_DEP_2) | instskip(NEXT) | instid1(VALU_DEP_1)
	v_lshlrev_b32_e32 v37, v37, v12
	v_dual_cndmask_b32 v36, v38, v36 :: v_dual_and_b32 v37, 3, v37
	s_delay_alu instid0(VALU_DEP_1) | instskip(NEXT) | instid1(VALU_DEP_2)
	v_lshl_add_u32 v36, v36, 23, 0x37800000
	v_cndmask_b32_e32 v27, v27, v37, vcc_lo
	v_and_b32_e32 v37, 0x80000000, v39
	s_delay_alu instid0(VALU_DEP_2) | instskip(NEXT) | instid1(VALU_DEP_1)
	v_lshlrev_b32_e32 v27, 21, v27
	v_or3_b32 v27, v37, v36, v27
.LBB6_9375:                             ;   in Loop: Header=BB6_8078 Depth=3
	s_or_b32 exec_lo, exec_lo, s17
	s_delay_alu instid0(VALU_DEP_1) | instskip(SKIP_2) | instid1(VALU_DEP_2)
	v_add_f32_e32 v26, v26, v27
	v_mov_b32_e32 v88, 0x80
	s_mov_b32 s17, exec_lo
	v_and_b32_e32 v27, 0x7f800000, v26
	s_delay_alu instid0(VALU_DEP_1)
	v_cmpx_ne_u32_e32 0x7f800000, v27
	s_cbranch_execz .LBB6_9383
; %bb.9376:                             ;   in Loop: Header=BB6_8078 Depth=3
	v_mov_b32_e32 v88, 0
	s_mov_b32 s30, exec_lo
	v_cmpx_ne_u32_e32 0, v26
	s_cbranch_execz .LBB6_9382
; %bb.9377:                             ;   in Loop: Header=BB6_8078 Depth=3
	v_bfe_u32 v27, v26, 23, 8
	s_delay_alu instid0(VALU_DEP_1) | instskip(SKIP_1) | instid1(VALU_DEP_2)
	v_sub_nc_u32_e32 v37, 0x70, v27
	v_cmp_gt_u32_e32 vcc_lo, 0x71, v27
	v_dual_cndmask_b32 v37, 0, v37 :: v_dual_and_b32 v36, 0x7fffff, v26
	s_delay_alu instid0(VALU_DEP_1) | instskip(SKIP_2) | instid1(VALU_DEP_4)
	v_or_b32_e32 v38, 0x800000, v36
	v_cmp_eq_u32_e32 vcc_lo, 0, v27
	v_add_nc_u32_e32 v27, 0xffffff91, v27
	v_cndmask_b32_e64 v37, v37, 0x6f, vcc_lo
	s_delay_alu instid0(VALU_DEP_4) | instskip(NEXT) | instid1(VALU_DEP_3)
	v_cndmask_b32_e32 v36, v38, v36, vcc_lo
	v_cndmask_b32_e64 v27, v27, 0xffffff92, vcc_lo
	s_delay_alu instid0(VALU_DEP_3) | instskip(NEXT) | instid1(VALU_DEP_3)
	v_lshl_add_u32 v38, 0x200000, v37, -1
	v_lshrrev_b32_e32 v39, v37, v36
	v_lshlrev_b32_e64 v49, v37, 0x100000
	s_delay_alu instid0(VALU_DEP_4) | instskip(NEXT) | instid1(VALU_DEP_4)
	v_add_nc_u32_e32 v37, v37, v27
	v_and_b32_e32 v36, v38, v36
	s_delay_alu instid0(VALU_DEP_4) | instskip(NEXT) | instid1(VALU_DEP_2)
	v_bfe_u32 v48, v39, 21, 1
	v_cmp_eq_u32_e64 s13, v36, v49
	s_delay_alu instid0(VALU_DEP_2) | instskip(NEXT) | instid1(VALU_DEP_1)
	v_add_nc_u32_e32 v38, -1, v48
	v_cndmask_b32_e64 v36, 0, v38, s13
	v_lshrrev_b32_e32 v38, 23, v39
	s_mov_b32 s13, exec_lo
	s_delay_alu instid0(VALU_DEP_2) | instskip(NEXT) | instid1(VALU_DEP_2)
	v_add_nc_u32_e32 v36, v36, v39
	v_xor_b32_e32 v38, 1, v38
	s_delay_alu instid0(VALU_DEP_2) | instskip(NEXT) | instid1(VALU_DEP_1)
	v_and_b32_e32 v27, 0x1fffff, v36
	v_add_nc_u32_e32 v36, v27, v39
                                        ; implicit-def: $vgpr27
	s_delay_alu instid0(VALU_DEP_3)
	v_cmpx_ne_u32_e64 v37, v38
	s_xor_b32 s13, exec_lo, s13
; %bb.9378:                             ;   in Loop: Header=BB6_8078 Depth=3
	s_delay_alu instid0(VALU_DEP_2) | instskip(SKIP_2) | instid1(VALU_DEP_2)
	v_cmp_lt_u32_e32 vcc_lo, 0xffffff, v36
	v_sub_nc_u32_e32 v27, v37, v38
	v_cndmask_b32_e64 v37, 0, 1, vcc_lo
	v_add_co_ci_u32_e32 v27, vcc_lo, 0, v27, vcc_lo
	s_delay_alu instid0(VALU_DEP_2)
	v_lshrrev_b32_e32 v36, v37, v36
; %bb.9379:                             ;   in Loop: Header=BB6_8078 Depth=3
	s_and_not1_saveexec_b32 s13, s13
; %bb.9380:                             ;   in Loop: Header=BB6_8078 Depth=3
	s_delay_alu instid0(VALU_DEP_1)
	v_bfe_u32 v27, v36, 23, 1
; %bb.9381:                             ;   in Loop: Header=BB6_8078 Depth=3
	s_or_b32 exec_lo, exec_lo, s13
	v_lshrrev_b32_e32 v36, 21, v36
	s_delay_alu instid0(VALU_DEP_2) | instskip(SKIP_2) | instid1(VALU_DEP_4)
	v_cmp_gt_i32_e32 vcc_lo, 32, v27
	v_lshrrev_b32_e32 v26, 24, v26
	v_min_i32_e32 v37, 31, v27
	v_cndmask_b32_e32 v36, 3, v36, vcc_lo
	s_delay_alu instid0(VALU_DEP_3) | instskip(NEXT) | instid1(VALU_DEP_3)
	v_and_b32_e32 v26, 0x80, v26
	v_lshlrev_b32_e32 v37, 2, v37
	s_delay_alu instid0(VALU_DEP_3) | instskip(SKIP_1) | instid1(VALU_DEP_2)
	v_and_b32_e32 v38, 3, v36
	v_or_b32_e32 v27, v27, v36
	v_or3_b32 v26, v37, v26, v38
	s_delay_alu instid0(VALU_DEP_2) | instskip(NEXT) | instid1(VALU_DEP_2)
	v_cmp_ne_u32_e32 vcc_lo, 0, v27
	v_cndmask_b32_e32 v88, 0, v26, vcc_lo
.LBB6_9382:                             ;   in Loop: Header=BB6_8078 Depth=3
	s_or_b32 exec_lo, exec_lo, s30
.LBB6_9383:                             ;   in Loop: Header=BB6_8078 Depth=3
	s_delay_alu instid0(SALU_CYCLE_1) | instskip(SKIP_3) | instid1(VALU_DEP_1)
	s_or_b32 exec_lo, exec_lo, s17
	v_and_b32_e32 v27, 0xff, v78
	s_mov_b32 s13, 0
	s_mov_b32 s30, exec_lo
                                        ; implicit-def: $sgpr17
	v_cmpx_lt_i16_e32 0x7f, v27
	s_xor_b32 s30, exec_lo, s30
	s_cbranch_execnz .LBB6_10397
; %bb.9384:                             ;   in Loop: Header=BB6_8078 Depth=3
	s_or_saveexec_b32 s30, s30
	v_mov_b32_e32 v26, s17
	s_xor_b32 exec_lo, exec_lo, s30
	s_cbranch_execnz .LBB6_10400
.LBB6_9385:                             ;   in Loop: Header=BB6_8078 Depth=3
	s_or_b32 exec_lo, exec_lo, s30
	s_and_saveexec_b32 s17, s13
	s_cbranch_execz .LBB6_9387
.LBB6_9386:                             ;   in Loop: Header=BB6_8078 Depth=3
	v_bfe_u32 v37, v78, 2, 5
	v_lshlrev_b32_e32 v38, 24, v78
	s_delay_alu instid0(VALU_DEP_2) | instskip(SKIP_1) | instid1(VALU_DEP_1)
	v_cmp_eq_u32_e32 vcc_lo, 0, v37
	v_and_b32_e32 v26, 3, v78
	v_clz_i32_u32_e32 v27, v26
	s_delay_alu instid0(VALU_DEP_1) | instskip(NEXT) | instid1(VALU_DEP_1)
	v_min_u32_e32 v27, 32, v27
	v_subrev_nc_u32_e32 v36, 29, v27
	v_sub_nc_u32_e32 v27, 30, v27
	s_delay_alu instid0(VALU_DEP_1) | instskip(NEXT) | instid1(VALU_DEP_1)
	v_dual_cndmask_b32 v27, v37, v27 :: v_dual_lshlrev_b32 v36, v36, v78
	v_and_b32_e32 v36, 3, v36
	s_delay_alu instid0(VALU_DEP_2) | instskip(NEXT) | instid1(VALU_DEP_2)
	v_lshl_add_u32 v27, v27, 23, 0x37800000
	v_cndmask_b32_e32 v26, v26, v36, vcc_lo
	v_and_b32_e32 v36, 0x80000000, v38
	s_delay_alu instid0(VALU_DEP_2) | instskip(NEXT) | instid1(VALU_DEP_1)
	v_lshlrev_b32_e32 v26, 21, v26
	v_or3_b32 v26, v36, v27, v26
.LBB6_9387:                             ;   in Loop: Header=BB6_8078 Depth=3
	s_or_b32 exec_lo, exec_lo, s17
	v_lshrrev_b16 v27, 8, v12
	s_mov_b32 s13, 0
	s_mov_b32 s30, exec_lo
                                        ; implicit-def: $sgpr17
	s_delay_alu instid0(VALU_DEP_1)
	v_cmpx_lt_i16_e32 0x7f, v27
	s_xor_b32 s30, exec_lo, s30
	s_cbranch_execnz .LBB6_10401
; %bb.9388:                             ;   in Loop: Header=BB6_8078 Depth=3
	s_or_saveexec_b32 s30, s30
	v_mov_b32_e32 v36, s17
	s_xor_b32 exec_lo, exec_lo, s30
	s_cbranch_execnz .LBB6_10404
.LBB6_9389:                             ;   in Loop: Header=BB6_8078 Depth=3
	s_or_b32 exec_lo, exec_lo, s30
	s_and_saveexec_b32 s17, s13
	s_cbranch_execz .LBB6_9391
.LBB6_9390:                             ;   in Loop: Header=BB6_8078 Depth=3
	v_and_b32_e32 v36, 0xffff, v27
	v_lshlrev_b32_e32 v27, 24, v27
	s_delay_alu instid0(VALU_DEP_2) | instskip(NEXT) | instid1(VALU_DEP_2)
	v_and_b32_e32 v37, 3, v36
	v_and_b32_e32 v27, 0x80000000, v27
	s_delay_alu instid0(VALU_DEP_2) | instskip(NEXT) | instid1(VALU_DEP_1)
	v_clz_i32_u32_e32 v38, v37
	v_min_u32_e32 v38, 32, v38
	s_delay_alu instid0(VALU_DEP_1) | instskip(SKIP_1) | instid1(VALU_DEP_2)
	v_subrev_nc_u32_e32 v39, 29, v38
	v_sub_nc_u32_e32 v38, 30, v38
	v_lshlrev_b32_e32 v39, v39, v36
	v_bfe_u32 v36, v36, 2, 5
	s_delay_alu instid0(VALU_DEP_2) | instskip(NEXT) | instid1(VALU_DEP_2)
	v_and_b32_e32 v39, 3, v39
	v_cmp_eq_u32_e32 vcc_lo, 0, v36
	s_delay_alu instid0(VALU_DEP_2) | instskip(NEXT) | instid1(VALU_DEP_1)
	v_dual_cndmask_b32 v36, v36, v38 :: v_dual_cndmask_b32 v37, v37, v39
	v_lshl_add_u32 v36, v36, 23, 0x37800000
	s_delay_alu instid0(VALU_DEP_2) | instskip(NEXT) | instid1(VALU_DEP_1)
	v_lshlrev_b32_e32 v37, 21, v37
	v_or3_b32 v36, v27, v36, v37
.LBB6_9391:                             ;   in Loop: Header=BB6_8078 Depth=3
	s_or_b32 exec_lo, exec_lo, s17
	s_delay_alu instid0(VALU_DEP_1) | instskip(SKIP_2) | instid1(VALU_DEP_2)
	v_add_f32_e32 v26, v26, v36
	v_mov_b32_e32 v78, 0x80
	s_mov_b32 s17, exec_lo
	v_and_b32_e32 v27, 0x7f800000, v26
	s_delay_alu instid0(VALU_DEP_1)
	v_cmpx_ne_u32_e32 0x7f800000, v27
	s_cbranch_execz .LBB6_9399
; %bb.9392:                             ;   in Loop: Header=BB6_8078 Depth=3
	v_mov_b32_e32 v78, 0
	s_mov_b32 s30, exec_lo
	v_cmpx_ne_u32_e32 0, v26
	s_cbranch_execz .LBB6_9398
; %bb.9393:                             ;   in Loop: Header=BB6_8078 Depth=3
	v_bfe_u32 v27, v26, 23, 8
	s_delay_alu instid0(VALU_DEP_1) | instskip(SKIP_1) | instid1(VALU_DEP_2)
	v_sub_nc_u32_e32 v37, 0x70, v27
	v_cmp_gt_u32_e32 vcc_lo, 0x71, v27
	v_dual_cndmask_b32 v37, 0, v37 :: v_dual_and_b32 v36, 0x7fffff, v26
	s_delay_alu instid0(VALU_DEP_1) | instskip(SKIP_2) | instid1(VALU_DEP_4)
	v_or_b32_e32 v38, 0x800000, v36
	v_cmp_eq_u32_e32 vcc_lo, 0, v27
	v_add_nc_u32_e32 v27, 0xffffff91, v27
	v_cndmask_b32_e64 v37, v37, 0x6f, vcc_lo
	s_delay_alu instid0(VALU_DEP_4) | instskip(NEXT) | instid1(VALU_DEP_3)
	v_cndmask_b32_e32 v36, v38, v36, vcc_lo
	v_cndmask_b32_e64 v27, v27, 0xffffff92, vcc_lo
	s_delay_alu instid0(VALU_DEP_3) | instskip(NEXT) | instid1(VALU_DEP_3)
	v_lshl_add_u32 v38, 0x200000, v37, -1
	v_lshrrev_b32_e32 v39, v37, v36
	v_lshlrev_b32_e64 v49, v37, 0x100000
	s_delay_alu instid0(VALU_DEP_4) | instskip(NEXT) | instid1(VALU_DEP_4)
	v_add_nc_u32_e32 v37, v37, v27
	v_and_b32_e32 v36, v38, v36
	s_delay_alu instid0(VALU_DEP_4) | instskip(NEXT) | instid1(VALU_DEP_2)
	v_bfe_u32 v48, v39, 21, 1
	v_cmp_eq_u32_e64 s13, v36, v49
	s_delay_alu instid0(VALU_DEP_2) | instskip(NEXT) | instid1(VALU_DEP_1)
	v_add_nc_u32_e32 v38, -1, v48
	v_cndmask_b32_e64 v36, 0, v38, s13
	v_lshrrev_b32_e32 v38, 23, v39
	s_mov_b32 s13, exec_lo
	s_delay_alu instid0(VALU_DEP_2) | instskip(NEXT) | instid1(VALU_DEP_2)
	v_add_nc_u32_e32 v36, v36, v39
	v_xor_b32_e32 v38, 1, v38
	s_delay_alu instid0(VALU_DEP_2) | instskip(NEXT) | instid1(VALU_DEP_1)
	v_and_b32_e32 v27, 0x1fffff, v36
	v_add_nc_u32_e32 v36, v27, v39
                                        ; implicit-def: $vgpr27
	s_delay_alu instid0(VALU_DEP_3)
	v_cmpx_ne_u32_e64 v37, v38
	s_xor_b32 s13, exec_lo, s13
; %bb.9394:                             ;   in Loop: Header=BB6_8078 Depth=3
	s_delay_alu instid0(VALU_DEP_2) | instskip(SKIP_2) | instid1(VALU_DEP_2)
	v_cmp_lt_u32_e32 vcc_lo, 0xffffff, v36
	v_sub_nc_u32_e32 v27, v37, v38
	v_cndmask_b32_e64 v37, 0, 1, vcc_lo
	v_add_co_ci_u32_e32 v27, vcc_lo, 0, v27, vcc_lo
	s_delay_alu instid0(VALU_DEP_2)
	v_lshrrev_b32_e32 v36, v37, v36
; %bb.9395:                             ;   in Loop: Header=BB6_8078 Depth=3
	s_and_not1_saveexec_b32 s13, s13
; %bb.9396:                             ;   in Loop: Header=BB6_8078 Depth=3
	s_delay_alu instid0(VALU_DEP_1)
	v_bfe_u32 v27, v36, 23, 1
; %bb.9397:                             ;   in Loop: Header=BB6_8078 Depth=3
	s_or_b32 exec_lo, exec_lo, s13
	v_lshrrev_b32_e32 v36, 21, v36
	s_delay_alu instid0(VALU_DEP_2) | instskip(SKIP_2) | instid1(VALU_DEP_4)
	v_cmp_gt_i32_e32 vcc_lo, 32, v27
	v_lshrrev_b32_e32 v26, 24, v26
	v_min_i32_e32 v37, 31, v27
	v_cndmask_b32_e32 v36, 3, v36, vcc_lo
	s_delay_alu instid0(VALU_DEP_3) | instskip(NEXT) | instid1(VALU_DEP_3)
	v_and_b32_e32 v26, 0x80, v26
	v_lshlrev_b32_e32 v37, 2, v37
	s_delay_alu instid0(VALU_DEP_3) | instskip(SKIP_1) | instid1(VALU_DEP_2)
	v_and_b32_e32 v38, 3, v36
	v_or_b32_e32 v27, v27, v36
	v_or3_b32 v26, v37, v26, v38
	s_delay_alu instid0(VALU_DEP_2) | instskip(NEXT) | instid1(VALU_DEP_2)
	v_cmp_ne_u32_e32 vcc_lo, 0, v27
	v_cndmask_b32_e32 v78, 0, v26, vcc_lo
.LBB6_9398:                             ;   in Loop: Header=BB6_8078 Depth=3
	s_or_b32 exec_lo, exec_lo, s30
.LBB6_9399:                             ;   in Loop: Header=BB6_8078 Depth=3
	s_delay_alu instid0(SALU_CYCLE_1) | instskip(SKIP_3) | instid1(VALU_DEP_1)
	s_or_b32 exec_lo, exec_lo, s17
	v_and_b32_e32 v27, 0xff, v76
	s_mov_b32 s13, 0
	s_mov_b32 s30, exec_lo
                                        ; implicit-def: $sgpr17
	v_cmpx_lt_i16_e32 0x7f, v27
	s_xor_b32 s30, exec_lo, s30
	s_cbranch_execnz .LBB6_10405
; %bb.9400:                             ;   in Loop: Header=BB6_8078 Depth=3
	s_or_saveexec_b32 s30, s30
	v_mov_b32_e32 v26, s17
	s_xor_b32 exec_lo, exec_lo, s30
	s_cbranch_execnz .LBB6_10408
.LBB6_9401:                             ;   in Loop: Header=BB6_8078 Depth=3
	s_or_b32 exec_lo, exec_lo, s30
	s_and_saveexec_b32 s17, s13
	s_cbranch_execz .LBB6_9403
.LBB6_9402:                             ;   in Loop: Header=BB6_8078 Depth=3
	v_bfe_u32 v37, v76, 2, 5
	v_lshlrev_b32_e32 v38, 24, v76
	s_delay_alu instid0(VALU_DEP_2) | instskip(SKIP_1) | instid1(VALU_DEP_1)
	v_cmp_eq_u32_e32 vcc_lo, 0, v37
	v_and_b32_e32 v26, 3, v76
	v_clz_i32_u32_e32 v27, v26
	s_delay_alu instid0(VALU_DEP_1) | instskip(NEXT) | instid1(VALU_DEP_1)
	v_min_u32_e32 v27, 32, v27
	v_subrev_nc_u32_e32 v36, 29, v27
	v_sub_nc_u32_e32 v27, 30, v27
	s_delay_alu instid0(VALU_DEP_1) | instskip(NEXT) | instid1(VALU_DEP_1)
	v_dual_cndmask_b32 v27, v37, v27 :: v_dual_lshlrev_b32 v36, v36, v76
	v_and_b32_e32 v36, 3, v36
	s_delay_alu instid0(VALU_DEP_2) | instskip(NEXT) | instid1(VALU_DEP_2)
	v_lshl_add_u32 v27, v27, 23, 0x37800000
	v_cndmask_b32_e32 v26, v26, v36, vcc_lo
	v_and_b32_e32 v36, 0x80000000, v38
	s_delay_alu instid0(VALU_DEP_2) | instskip(NEXT) | instid1(VALU_DEP_1)
	v_lshlrev_b32_e32 v26, 21, v26
	v_or3_b32 v26, v36, v27, v26
.LBB6_9403:                             ;   in Loop: Header=BB6_8078 Depth=3
	s_or_b32 exec_lo, exec_lo, s17
	v_lshrrev_b32_e32 v27, 16, v12
	s_mov_b32 s13, 0
	s_mov_b32 s30, exec_lo
                                        ; implicit-def: $sgpr17
	s_delay_alu instid0(VALU_DEP_1) | instskip(NEXT) | instid1(VALU_DEP_1)
	v_and_b32_e32 v37, 0xff, v27
	v_cmpx_lt_i16_e32 0x7f, v37
	s_xor_b32 s30, exec_lo, s30
	s_cbranch_execnz .LBB6_10409
; %bb.9404:                             ;   in Loop: Header=BB6_8078 Depth=3
	s_or_saveexec_b32 s30, s30
	v_mov_b32_e32 v36, s17
	s_xor_b32 exec_lo, exec_lo, s30
	s_cbranch_execnz .LBB6_10412
.LBB6_9405:                             ;   in Loop: Header=BB6_8078 Depth=3
	s_or_b32 exec_lo, exec_lo, s30
	s_and_saveexec_b32 s17, s13
	s_cbranch_execz .LBB6_9407
.LBB6_9406:                             ;   in Loop: Header=BB6_8078 Depth=3
	v_bfe_u32 v36, v12, 16, 2
	v_lshlrev_b32_e32 v39, 8, v12
	s_delay_alu instid0(VALU_DEP_2) | instskip(NEXT) | instid1(VALU_DEP_1)
	v_clz_i32_u32_e32 v37, v36
	v_min_u32_e32 v37, 32, v37
	s_delay_alu instid0(VALU_DEP_1) | instskip(SKIP_1) | instid1(VALU_DEP_2)
	v_subrev_nc_u32_e32 v38, 29, v37
	v_sub_nc_u32_e32 v37, 30, v37
	v_lshlrev_b32_e32 v27, v38, v27
	v_bfe_u32 v38, v12, 18, 5
	s_delay_alu instid0(VALU_DEP_2) | instskip(NEXT) | instid1(VALU_DEP_2)
	v_and_b32_e32 v27, 3, v27
	v_cmp_eq_u32_e32 vcc_lo, 0, v38
	v_cndmask_b32_e32 v37, v38, v37, vcc_lo
	s_delay_alu instid0(VALU_DEP_3) | instskip(SKIP_1) | instid1(VALU_DEP_3)
	v_cndmask_b32_e32 v27, v36, v27, vcc_lo
	v_and_b32_e32 v36, 0x80000000, v39
	v_lshl_add_u32 v37, v37, 23, 0x37800000
	s_delay_alu instid0(VALU_DEP_3) | instskip(NEXT) | instid1(VALU_DEP_1)
	v_lshlrev_b32_e32 v27, 21, v27
	v_or3_b32 v36, v36, v37, v27
.LBB6_9407:                             ;   in Loop: Header=BB6_8078 Depth=3
	s_or_b32 exec_lo, exec_lo, s17
	s_delay_alu instid0(VALU_DEP_1) | instskip(SKIP_2) | instid1(VALU_DEP_2)
	v_add_f32_e32 v26, v26, v36
	v_mov_b32_e32 v76, 0x80
	s_mov_b32 s17, exec_lo
	v_and_b32_e32 v27, 0x7f800000, v26
	s_delay_alu instid0(VALU_DEP_1)
	v_cmpx_ne_u32_e32 0x7f800000, v27
	s_cbranch_execz .LBB6_9415
; %bb.9408:                             ;   in Loop: Header=BB6_8078 Depth=3
	v_mov_b32_e32 v76, 0
	s_mov_b32 s30, exec_lo
	v_cmpx_ne_u32_e32 0, v26
	s_cbranch_execz .LBB6_9414
; %bb.9409:                             ;   in Loop: Header=BB6_8078 Depth=3
	v_bfe_u32 v27, v26, 23, 8
	s_delay_alu instid0(VALU_DEP_1) | instskip(SKIP_1) | instid1(VALU_DEP_2)
	v_sub_nc_u32_e32 v37, 0x70, v27
	v_cmp_gt_u32_e32 vcc_lo, 0x71, v27
	v_dual_cndmask_b32 v37, 0, v37 :: v_dual_and_b32 v36, 0x7fffff, v26
	s_delay_alu instid0(VALU_DEP_1) | instskip(SKIP_2) | instid1(VALU_DEP_4)
	v_or_b32_e32 v38, 0x800000, v36
	v_cmp_eq_u32_e32 vcc_lo, 0, v27
	v_add_nc_u32_e32 v27, 0xffffff91, v27
	v_cndmask_b32_e64 v37, v37, 0x6f, vcc_lo
	s_delay_alu instid0(VALU_DEP_4) | instskip(NEXT) | instid1(VALU_DEP_3)
	v_cndmask_b32_e32 v36, v38, v36, vcc_lo
	v_cndmask_b32_e64 v27, v27, 0xffffff92, vcc_lo
	s_delay_alu instid0(VALU_DEP_3) | instskip(NEXT) | instid1(VALU_DEP_3)
	v_lshl_add_u32 v38, 0x200000, v37, -1
	v_lshrrev_b32_e32 v39, v37, v36
	v_lshlrev_b32_e64 v49, v37, 0x100000
	s_delay_alu instid0(VALU_DEP_4) | instskip(NEXT) | instid1(VALU_DEP_4)
	v_add_nc_u32_e32 v37, v37, v27
	v_and_b32_e32 v36, v38, v36
	s_delay_alu instid0(VALU_DEP_4) | instskip(NEXT) | instid1(VALU_DEP_2)
	v_bfe_u32 v48, v39, 21, 1
	v_cmp_eq_u32_e64 s13, v36, v49
	s_delay_alu instid0(VALU_DEP_2) | instskip(NEXT) | instid1(VALU_DEP_1)
	v_add_nc_u32_e32 v38, -1, v48
	v_cndmask_b32_e64 v36, 0, v38, s13
	v_lshrrev_b32_e32 v38, 23, v39
	s_mov_b32 s13, exec_lo
	s_delay_alu instid0(VALU_DEP_2) | instskip(NEXT) | instid1(VALU_DEP_2)
	v_add_nc_u32_e32 v36, v36, v39
	v_xor_b32_e32 v38, 1, v38
	s_delay_alu instid0(VALU_DEP_2) | instskip(NEXT) | instid1(VALU_DEP_1)
	v_and_b32_e32 v27, 0x1fffff, v36
	v_add_nc_u32_e32 v36, v27, v39
                                        ; implicit-def: $vgpr27
	s_delay_alu instid0(VALU_DEP_3)
	v_cmpx_ne_u32_e64 v37, v38
	s_xor_b32 s13, exec_lo, s13
; %bb.9410:                             ;   in Loop: Header=BB6_8078 Depth=3
	s_delay_alu instid0(VALU_DEP_2) | instskip(SKIP_2) | instid1(VALU_DEP_2)
	v_cmp_lt_u32_e32 vcc_lo, 0xffffff, v36
	v_sub_nc_u32_e32 v27, v37, v38
	v_cndmask_b32_e64 v37, 0, 1, vcc_lo
	v_add_co_ci_u32_e32 v27, vcc_lo, 0, v27, vcc_lo
	s_delay_alu instid0(VALU_DEP_2)
	v_lshrrev_b32_e32 v36, v37, v36
; %bb.9411:                             ;   in Loop: Header=BB6_8078 Depth=3
	s_and_not1_saveexec_b32 s13, s13
; %bb.9412:                             ;   in Loop: Header=BB6_8078 Depth=3
	s_delay_alu instid0(VALU_DEP_1)
	v_bfe_u32 v27, v36, 23, 1
; %bb.9413:                             ;   in Loop: Header=BB6_8078 Depth=3
	s_or_b32 exec_lo, exec_lo, s13
	v_lshrrev_b32_e32 v36, 21, v36
	s_delay_alu instid0(VALU_DEP_2) | instskip(SKIP_2) | instid1(VALU_DEP_4)
	v_cmp_gt_i32_e32 vcc_lo, 32, v27
	v_lshrrev_b32_e32 v26, 24, v26
	v_min_i32_e32 v37, 31, v27
	v_cndmask_b32_e32 v36, 3, v36, vcc_lo
	s_delay_alu instid0(VALU_DEP_3) | instskip(NEXT) | instid1(VALU_DEP_3)
	v_and_b32_e32 v26, 0x80, v26
	v_lshlrev_b32_e32 v37, 2, v37
	s_delay_alu instid0(VALU_DEP_3) | instskip(SKIP_1) | instid1(VALU_DEP_2)
	v_and_b32_e32 v38, 3, v36
	v_or_b32_e32 v27, v27, v36
	v_or3_b32 v26, v37, v26, v38
	s_delay_alu instid0(VALU_DEP_2) | instskip(NEXT) | instid1(VALU_DEP_2)
	v_cmp_ne_u32_e32 vcc_lo, 0, v27
	v_cndmask_b32_e32 v76, 0, v26, vcc_lo
.LBB6_9414:                             ;   in Loop: Header=BB6_8078 Depth=3
	s_or_b32 exec_lo, exec_lo, s30
.LBB6_9415:                             ;   in Loop: Header=BB6_8078 Depth=3
	s_delay_alu instid0(SALU_CYCLE_1) | instskip(SKIP_3) | instid1(VALU_DEP_1)
	s_or_b32 exec_lo, exec_lo, s17
	v_and_b32_e32 v27, 0xff, v74
	s_mov_b32 s13, 0
	s_mov_b32 s30, exec_lo
                                        ; implicit-def: $sgpr17
	v_cmpx_lt_i16_e32 0x7f, v27
	s_xor_b32 s30, exec_lo, s30
	s_cbranch_execnz .LBB6_10413
; %bb.9416:                             ;   in Loop: Header=BB6_8078 Depth=3
	s_or_saveexec_b32 s30, s30
	v_mov_b32_e32 v26, s17
	s_xor_b32 exec_lo, exec_lo, s30
	s_cbranch_execnz .LBB6_10416
.LBB6_9417:                             ;   in Loop: Header=BB6_8078 Depth=3
	s_or_b32 exec_lo, exec_lo, s30
	s_and_saveexec_b32 s17, s13
	s_cbranch_execz .LBB6_9419
.LBB6_9418:                             ;   in Loop: Header=BB6_8078 Depth=3
	v_lshlrev_b32_e32 v26, 8, v74
	s_delay_alu instid0(VALU_DEP_1) | instskip(SKIP_1) | instid1(VALU_DEP_2)
	v_and_b32_e32 v36, 0xff00, v26
	v_bfe_u32 v26, v26, 10, 5
	v_bfe_u32 v37, v36, 8, 2
	s_delay_alu instid0(VALU_DEP_2) | instskip(SKIP_1) | instid1(VALU_DEP_3)
	v_cmp_eq_u32_e32 vcc_lo, 0, v26
	v_lshlrev_b32_e32 v36, 16, v36
	v_clz_i32_u32_e32 v38, v37
	s_delay_alu instid0(VALU_DEP_2) | instskip(NEXT) | instid1(VALU_DEP_2)
	v_and_b32_e32 v36, 0x80000000, v36
	v_min_u32_e32 v38, 32, v38
	s_delay_alu instid0(VALU_DEP_1) | instskip(SKIP_1) | instid1(VALU_DEP_1)
	v_subrev_nc_u32_e32 v39, 29, v38
	v_sub_nc_u32_e32 v38, 30, v38
	v_dual_cndmask_b32 v26, v26, v38 :: v_dual_lshlrev_b32 v27, v39, v27
	s_delay_alu instid0(VALU_DEP_1) | instskip(NEXT) | instid1(VALU_DEP_2)
	v_and_b32_e32 v27, 3, v27
	v_lshl_add_u32 v26, v26, 23, 0x37800000
	s_delay_alu instid0(VALU_DEP_2) | instskip(NEXT) | instid1(VALU_DEP_1)
	v_cndmask_b32_e32 v27, v37, v27, vcc_lo
	v_lshlrev_b32_e32 v27, 21, v27
	s_delay_alu instid0(VALU_DEP_1)
	v_or3_b32 v26, v36, v26, v27
.LBB6_9419:                             ;   in Loop: Header=BB6_8078 Depth=3
	s_or_b32 exec_lo, exec_lo, s17
	v_lshrrev_b32_e32 v27, 24, v12
	s_mov_b32 s13, 0
	s_mov_b32 s30, exec_lo
                                        ; implicit-def: $sgpr17
	s_delay_alu instid0(VALU_DEP_1)
	v_cmpx_lt_i16_e32 0x7f, v27
	s_xor_b32 s30, exec_lo, s30
	s_cbranch_execnz .LBB6_10417
; %bb.9420:                             ;   in Loop: Header=BB6_8078 Depth=3
	s_or_saveexec_b32 s30, s30
	v_mov_b32_e32 v36, s17
	s_xor_b32 exec_lo, exec_lo, s30
	s_cbranch_execnz .LBB6_10420
.LBB6_9421:                             ;   in Loop: Header=BB6_8078 Depth=3
	s_or_b32 exec_lo, exec_lo, s30
	s_and_saveexec_b32 s17, s13
	s_cbranch_execz .LBB6_9423
.LBB6_9422:                             ;   in Loop: Header=BB6_8078 Depth=3
	v_bfe_u32 v36, v12, 24, 2
	s_delay_alu instid0(VALU_DEP_1) | instskip(NEXT) | instid1(VALU_DEP_1)
	v_clz_i32_u32_e32 v37, v36
	v_min_u32_e32 v37, 32, v37
	s_delay_alu instid0(VALU_DEP_1) | instskip(SKIP_1) | instid1(VALU_DEP_2)
	v_subrev_nc_u32_e32 v38, 29, v37
	v_sub_nc_u32_e32 v37, 30, v37
	v_lshlrev_b32_e32 v27, v38, v27
	v_bfe_u32 v38, v12, 26, 5
	v_and_b32_e32 v12, 0x80000000, v12
	s_delay_alu instid0(VALU_DEP_3) | instskip(NEXT) | instid1(VALU_DEP_3)
	v_and_b32_e32 v27, 3, v27
	v_cmp_eq_u32_e32 vcc_lo, 0, v38
	v_cndmask_b32_e32 v37, v38, v37, vcc_lo
	s_delay_alu instid0(VALU_DEP_3) | instskip(NEXT) | instid1(VALU_DEP_2)
	v_cndmask_b32_e32 v27, v36, v27, vcc_lo
	v_lshl_add_u32 v36, v37, 23, 0x37800000
	s_delay_alu instid0(VALU_DEP_2) | instskip(NEXT) | instid1(VALU_DEP_1)
	v_lshlrev_b32_e32 v27, 21, v27
	v_or3_b32 v36, v12, v36, v27
.LBB6_9423:                             ;   in Loop: Header=BB6_8078 Depth=3
	s_or_b32 exec_lo, exec_lo, s17
	s_delay_alu instid0(VALU_DEP_1) | instskip(NEXT) | instid1(VALU_DEP_1)
	v_add_f32_e32 v26, v26, v36
	v_and_b32_e32 v12, 0x7f800000, v26
	s_delay_alu instid0(VALU_DEP_1)
	v_cmp_ne_u32_e32 vcc_lo, 0x7f800000, v12
	v_mov_b32_e32 v12, 0x80
	s_and_saveexec_b32 s17, vcc_lo
	s_cbranch_execz .LBB6_9431
; %bb.9424:                             ;   in Loop: Header=BB6_8078 Depth=3
	v_mov_b32_e32 v12, 0
	s_mov_b32 s30, exec_lo
	v_cmpx_ne_u32_e32 0, v26
	s_cbranch_execz .LBB6_9430
; %bb.9425:                             ;   in Loop: Header=BB6_8078 Depth=3
	v_bfe_u32 v12, v26, 23, 8
	s_delay_alu instid0(VALU_DEP_1) | instskip(SKIP_1) | instid1(VALU_DEP_2)
	v_sub_nc_u32_e32 v36, 0x70, v12
	v_cmp_gt_u32_e32 vcc_lo, 0x71, v12
	v_dual_cndmask_b32 v36, 0, v36 :: v_dual_and_b32 v27, 0x7fffff, v26
	s_delay_alu instid0(VALU_DEP_1) | instskip(SKIP_2) | instid1(VALU_DEP_4)
	v_or_b32_e32 v37, 0x800000, v27
	v_cmp_eq_u32_e32 vcc_lo, 0, v12
	v_add_nc_u32_e32 v12, 0xffffff91, v12
	v_cndmask_b32_e64 v36, v36, 0x6f, vcc_lo
	s_delay_alu instid0(VALU_DEP_4) | instskip(NEXT) | instid1(VALU_DEP_3)
	v_cndmask_b32_e32 v27, v37, v27, vcc_lo
	v_cndmask_b32_e64 v12, v12, 0xffffff92, vcc_lo
	s_delay_alu instid0(VALU_DEP_3) | instskip(NEXT) | instid1(VALU_DEP_3)
	v_lshl_add_u32 v37, 0x200000, v36, -1
	v_lshrrev_b32_e32 v38, v36, v27
	v_lshlrev_b32_e64 v48, v36, 0x100000
	s_delay_alu instid0(VALU_DEP_4) | instskip(NEXT) | instid1(VALU_DEP_4)
	v_add_nc_u32_e32 v36, v36, v12
	v_and_b32_e32 v27, v37, v27
	s_delay_alu instid0(VALU_DEP_4) | instskip(NEXT) | instid1(VALU_DEP_2)
	v_bfe_u32 v39, v38, 21, 1
	v_cmp_eq_u32_e64 s13, v27, v48
	s_delay_alu instid0(VALU_DEP_2) | instskip(NEXT) | instid1(VALU_DEP_1)
	v_add_nc_u32_e32 v37, -1, v39
	v_cndmask_b32_e64 v27, 0, v37, s13
	v_lshrrev_b32_e32 v37, 23, v38
	s_mov_b32 s13, exec_lo
	s_delay_alu instid0(VALU_DEP_2) | instskip(NEXT) | instid1(VALU_DEP_2)
	v_add_nc_u32_e32 v27, v27, v38
	v_xor_b32_e32 v37, 1, v37
	s_delay_alu instid0(VALU_DEP_2) | instskip(NEXT) | instid1(VALU_DEP_1)
	v_and_b32_e32 v12, 0x1fffff, v27
	v_add_nc_u32_e32 v27, v12, v38
                                        ; implicit-def: $vgpr12
	s_delay_alu instid0(VALU_DEP_3)
	v_cmpx_ne_u32_e64 v36, v37
	s_xor_b32 s13, exec_lo, s13
; %bb.9426:                             ;   in Loop: Header=BB6_8078 Depth=3
	s_delay_alu instid0(VALU_DEP_2) | instskip(SKIP_2) | instid1(VALU_DEP_2)
	v_cmp_lt_u32_e32 vcc_lo, 0xffffff, v27
	v_sub_nc_u32_e32 v12, v36, v37
	v_cndmask_b32_e64 v36, 0, 1, vcc_lo
	v_add_co_ci_u32_e32 v12, vcc_lo, 0, v12, vcc_lo
	s_delay_alu instid0(VALU_DEP_2)
	v_lshrrev_b32_e32 v27, v36, v27
; %bb.9427:                             ;   in Loop: Header=BB6_8078 Depth=3
	s_and_not1_saveexec_b32 s13, s13
; %bb.9428:                             ;   in Loop: Header=BB6_8078 Depth=3
	s_delay_alu instid0(VALU_DEP_1)
	v_bfe_u32 v12, v27, 23, 1
; %bb.9429:                             ;   in Loop: Header=BB6_8078 Depth=3
	s_or_b32 exec_lo, exec_lo, s13
	v_lshrrev_b32_e32 v27, 21, v27
	s_delay_alu instid0(VALU_DEP_2) | instskip(SKIP_2) | instid1(VALU_DEP_2)
	v_cmp_gt_i32_e32 vcc_lo, 32, v12
	v_lshrrev_b32_e32 v26, 24, v26
	v_min_i32_e32 v36, 31, v12
	v_dual_cndmask_b32 v27, 3, v27 :: v_dual_and_b32 v26, 0x80, v26
	s_delay_alu instid0(VALU_DEP_2) | instskip(NEXT) | instid1(VALU_DEP_2)
	v_lshlrev_b32_e32 v36, 2, v36
	v_or_b32_e32 v12, v12, v27
	s_delay_alu instid0(VALU_DEP_1) | instskip(SKIP_1) | instid1(VALU_DEP_1)
	v_cmp_ne_u32_e32 vcc_lo, 0, v12
	v_and_b32_e32 v37, 3, v27
	v_or3_b32 v26, v36, v26, v37
	s_delay_alu instid0(VALU_DEP_1)
	v_cndmask_b32_e32 v12, 0, v26, vcc_lo
.LBB6_9430:                             ;   in Loop: Header=BB6_8078 Depth=3
	s_or_b32 exec_lo, exec_lo, s30
.LBB6_9431:                             ;   in Loop: Header=BB6_8078 Depth=3
	s_delay_alu instid0(SALU_CYCLE_1) | instskip(SKIP_3) | instid1(VALU_DEP_1)
	s_or_b32 exec_lo, exec_lo, s17
	v_or_b32_e32 v26, v79, v73
	s_mov_b32 s13, 0
	s_mov_b32 s30, exec_lo
                                        ; implicit-def: $sgpr17
	v_and_b32_e32 v36, 0xff, v26
	s_delay_alu instid0(VALU_DEP_1)
	v_cmpx_lt_i16_e32 0x7f, v36
	s_xor_b32 s30, exec_lo, s30
	s_cbranch_execnz .LBB6_10421
; %bb.9432:                             ;   in Loop: Header=BB6_8078 Depth=3
	s_or_saveexec_b32 s30, s30
	v_mov_b32_e32 v27, s17
	s_xor_b32 exec_lo, exec_lo, s30
	s_cbranch_execnz .LBB6_10424
.LBB6_9433:                             ;   in Loop: Header=BB6_8078 Depth=3
	s_or_b32 exec_lo, exec_lo, s30
	s_and_saveexec_b32 s17, s13
	s_cbranch_execz .LBB6_9435
.LBB6_9434:                             ;   in Loop: Header=BB6_8078 Depth=3
	v_bfe_u32 v38, v26, 2, 5
	v_lshlrev_b32_e32 v39, 24, v26
	s_delay_alu instid0(VALU_DEP_2) | instskip(SKIP_1) | instid1(VALU_DEP_1)
	v_cmp_eq_u32_e32 vcc_lo, 0, v38
	v_and_b32_e32 v27, 3, v26
	v_clz_i32_u32_e32 v36, v27
	s_delay_alu instid0(VALU_DEP_1) | instskip(NEXT) | instid1(VALU_DEP_1)
	v_min_u32_e32 v36, 32, v36
	v_subrev_nc_u32_e32 v37, 29, v36
	v_sub_nc_u32_e32 v36, 30, v36
	s_delay_alu instid0(VALU_DEP_1) | instskip(NEXT) | instid1(VALU_DEP_1)
	v_dual_cndmask_b32 v36, v38, v36 :: v_dual_lshlrev_b32 v37, v37, v26
	v_and_b32_e32 v37, 3, v37
	s_delay_alu instid0(VALU_DEP_2) | instskip(NEXT) | instid1(VALU_DEP_2)
	v_lshl_add_u32 v36, v36, 23, 0x37800000
	v_cndmask_b32_e32 v27, v27, v37, vcc_lo
	v_and_b32_e32 v37, 0x80000000, v39
	s_delay_alu instid0(VALU_DEP_2) | instskip(NEXT) | instid1(VALU_DEP_1)
	v_lshlrev_b32_e32 v27, 21, v27
	v_or3_b32 v27, v37, v36, v27
.LBB6_9435:                             ;   in Loop: Header=BB6_8078 Depth=3
	s_or_b32 exec_lo, exec_lo, s17
	v_and_b32_e32 v37, 0xff, v13
	s_mov_b32 s13, 0
	s_mov_b32 s30, exec_lo
                                        ; implicit-def: $sgpr17
	s_delay_alu instid0(VALU_DEP_1)
	v_cmpx_lt_i16_e32 0x7f, v37
	s_xor_b32 s30, exec_lo, s30
	s_cbranch_execnz .LBB6_10425
; %bb.9436:                             ;   in Loop: Header=BB6_8078 Depth=3
	s_or_saveexec_b32 s30, s30
	v_mov_b32_e32 v36, s17
	s_xor_b32 exec_lo, exec_lo, s30
	s_cbranch_execnz .LBB6_10428
.LBB6_9437:                             ;   in Loop: Header=BB6_8078 Depth=3
	s_or_b32 exec_lo, exec_lo, s30
	s_and_saveexec_b32 s17, s13
	s_cbranch_execz .LBB6_9439
.LBB6_9438:                             ;   in Loop: Header=BB6_8078 Depth=3
	v_and_b32_e32 v36, 3, v13
	v_bfe_u32 v39, v13, 2, 5
	v_lshlrev_b32_e32 v48, 24, v13
	s_delay_alu instid0(VALU_DEP_3) | instskip(NEXT) | instid1(VALU_DEP_3)
	v_clz_i32_u32_e32 v37, v36
	v_cmp_eq_u32_e32 vcc_lo, 0, v39
	s_delay_alu instid0(VALU_DEP_2) | instskip(NEXT) | instid1(VALU_DEP_1)
	v_min_u32_e32 v37, 32, v37
	v_subrev_nc_u32_e32 v38, 29, v37
	v_sub_nc_u32_e32 v37, 30, v37
	s_delay_alu instid0(VALU_DEP_2) | instskip(NEXT) | instid1(VALU_DEP_1)
	v_lshlrev_b32_e32 v38, v38, v13
	v_dual_cndmask_b32 v37, v39, v37 :: v_dual_and_b32 v38, 3, v38
	s_delay_alu instid0(VALU_DEP_1) | instskip(NEXT) | instid1(VALU_DEP_2)
	v_lshl_add_u32 v37, v37, 23, 0x37800000
	v_cndmask_b32_e32 v36, v36, v38, vcc_lo
	v_and_b32_e32 v38, 0x80000000, v48
	s_delay_alu instid0(VALU_DEP_2) | instskip(NEXT) | instid1(VALU_DEP_1)
	v_lshlrev_b32_e32 v36, 21, v36
	v_or3_b32 v36, v38, v37, v36
.LBB6_9439:                             ;   in Loop: Header=BB6_8078 Depth=3
	s_or_b32 exec_lo, exec_lo, s17
	s_delay_alu instid0(VALU_DEP_1) | instskip(SKIP_2) | instid1(VALU_DEP_2)
	v_add_f32_e32 v27, v27, v36
	v_mov_b32_e32 v73, 0x80
	s_mov_b32 s17, exec_lo
	v_and_b32_e32 v36, 0x7f800000, v27
	s_delay_alu instid0(VALU_DEP_1)
	v_cmpx_ne_u32_e32 0x7f800000, v36
	s_cbranch_execz .LBB6_9447
; %bb.9440:                             ;   in Loop: Header=BB6_8078 Depth=3
	v_mov_b32_e32 v73, 0
	s_mov_b32 s30, exec_lo
	v_cmpx_ne_u32_e32 0, v27
	s_cbranch_execz .LBB6_9446
; %bb.9441:                             ;   in Loop: Header=BB6_8078 Depth=3
	v_bfe_u32 v36, v27, 23, 8
	s_delay_alu instid0(VALU_DEP_1) | instskip(SKIP_1) | instid1(VALU_DEP_2)
	v_sub_nc_u32_e32 v38, 0x70, v36
	v_cmp_gt_u32_e32 vcc_lo, 0x71, v36
	v_dual_cndmask_b32 v38, 0, v38 :: v_dual_and_b32 v37, 0x7fffff, v27
	s_delay_alu instid0(VALU_DEP_1) | instskip(SKIP_2) | instid1(VALU_DEP_4)
	v_or_b32_e32 v39, 0x800000, v37
	v_cmp_eq_u32_e32 vcc_lo, 0, v36
	v_add_nc_u32_e32 v36, 0xffffff91, v36
	v_cndmask_b32_e64 v38, v38, 0x6f, vcc_lo
	s_delay_alu instid0(VALU_DEP_4) | instskip(NEXT) | instid1(VALU_DEP_3)
	v_cndmask_b32_e32 v37, v39, v37, vcc_lo
	v_cndmask_b32_e64 v36, v36, 0xffffff92, vcc_lo
	s_delay_alu instid0(VALU_DEP_3) | instskip(NEXT) | instid1(VALU_DEP_3)
	v_lshl_add_u32 v39, 0x200000, v38, -1
	v_lshrrev_b32_e32 v48, v38, v37
	v_lshlrev_b32_e64 v50, v38, 0x100000
	s_delay_alu instid0(VALU_DEP_4) | instskip(NEXT) | instid1(VALU_DEP_4)
	v_add_nc_u32_e32 v38, v38, v36
	v_and_b32_e32 v37, v39, v37
	s_delay_alu instid0(VALU_DEP_4) | instskip(NEXT) | instid1(VALU_DEP_2)
	v_bfe_u32 v49, v48, 21, 1
	v_cmp_eq_u32_e64 s13, v37, v50
	s_delay_alu instid0(VALU_DEP_2) | instskip(NEXT) | instid1(VALU_DEP_1)
	v_add_nc_u32_e32 v39, -1, v49
	v_cndmask_b32_e64 v37, 0, v39, s13
	v_lshrrev_b32_e32 v39, 23, v48
	s_mov_b32 s13, exec_lo
	s_delay_alu instid0(VALU_DEP_2) | instskip(NEXT) | instid1(VALU_DEP_2)
	v_add_nc_u32_e32 v37, v37, v48
	v_xor_b32_e32 v39, 1, v39
	s_delay_alu instid0(VALU_DEP_2) | instskip(NEXT) | instid1(VALU_DEP_1)
	v_and_b32_e32 v36, 0x1fffff, v37
	v_add_nc_u32_e32 v37, v36, v48
                                        ; implicit-def: $vgpr36
	s_delay_alu instid0(VALU_DEP_3)
	v_cmpx_ne_u32_e64 v38, v39
	s_xor_b32 s13, exec_lo, s13
; %bb.9442:                             ;   in Loop: Header=BB6_8078 Depth=3
	s_delay_alu instid0(VALU_DEP_2) | instskip(SKIP_2) | instid1(VALU_DEP_2)
	v_cmp_lt_u32_e32 vcc_lo, 0xffffff, v37
	v_sub_nc_u32_e32 v36, v38, v39
	v_cndmask_b32_e64 v38, 0, 1, vcc_lo
	v_add_co_ci_u32_e32 v36, vcc_lo, 0, v36, vcc_lo
	s_delay_alu instid0(VALU_DEP_2)
	v_lshrrev_b32_e32 v37, v38, v37
; %bb.9443:                             ;   in Loop: Header=BB6_8078 Depth=3
	s_and_not1_saveexec_b32 s13, s13
; %bb.9444:                             ;   in Loop: Header=BB6_8078 Depth=3
	s_delay_alu instid0(VALU_DEP_1)
	v_bfe_u32 v36, v37, 23, 1
; %bb.9445:                             ;   in Loop: Header=BB6_8078 Depth=3
	s_or_b32 exec_lo, exec_lo, s13
	v_lshrrev_b32_e32 v37, 21, v37
	s_delay_alu instid0(VALU_DEP_2) | instskip(SKIP_2) | instid1(VALU_DEP_4)
	v_cmp_gt_i32_e32 vcc_lo, 32, v36
	v_lshrrev_b32_e32 v27, 24, v27
	v_min_i32_e32 v38, 31, v36
	v_cndmask_b32_e32 v37, 3, v37, vcc_lo
	s_delay_alu instid0(VALU_DEP_3) | instskip(NEXT) | instid1(VALU_DEP_3)
	v_and_b32_e32 v27, 0x80, v27
	v_lshlrev_b32_e32 v38, 2, v38
	s_delay_alu instid0(VALU_DEP_3) | instskip(SKIP_1) | instid1(VALU_DEP_2)
	v_and_b32_e32 v39, 3, v37
	v_or_b32_e32 v36, v36, v37
	v_or3_b32 v27, v38, v27, v39
	s_delay_alu instid0(VALU_DEP_2) | instskip(NEXT) | instid1(VALU_DEP_2)
	v_cmp_ne_u32_e32 vcc_lo, 0, v36
	v_cndmask_b32_e32 v73, 0, v27, vcc_lo
.LBB6_9446:                             ;   in Loop: Header=BB6_8078 Depth=3
	s_or_b32 exec_lo, exec_lo, s30
.LBB6_9447:                             ;   in Loop: Header=BB6_8078 Depth=3
	s_delay_alu instid0(SALU_CYCLE_1) | instskip(SKIP_3) | instid1(VALU_DEP_1)
	s_or_b32 exec_lo, exec_lo, s17
	v_lshrrev_b16 v36, 8, v26
	s_mov_b32 s13, 0
	s_mov_b32 s30, exec_lo
                                        ; implicit-def: $sgpr17
	v_cmpx_lt_i16_e32 0x7f, v36
	s_xor_b32 s30, exec_lo, s30
	s_cbranch_execnz .LBB6_10429
; %bb.9448:                             ;   in Loop: Header=BB6_8078 Depth=3
	s_or_saveexec_b32 s30, s30
	v_mov_b32_e32 v27, s17
	s_xor_b32 exec_lo, exec_lo, s30
	s_cbranch_execnz .LBB6_10432
.LBB6_9449:                             ;   in Loop: Header=BB6_8078 Depth=3
	s_or_b32 exec_lo, exec_lo, s30
	s_and_saveexec_b32 s17, s13
	s_cbranch_execz .LBB6_9451
.LBB6_9450:                             ;   in Loop: Header=BB6_8078 Depth=3
	v_and_b32_e32 v27, 0xffff, v36
	s_delay_alu instid0(VALU_DEP_1) | instskip(NEXT) | instid1(VALU_DEP_1)
	v_and_b32_e32 v37, 3, v27
	v_clz_i32_u32_e32 v38, v37
	s_delay_alu instid0(VALU_DEP_1) | instskip(NEXT) | instid1(VALU_DEP_1)
	v_min_u32_e32 v38, 32, v38
	v_subrev_nc_u32_e32 v39, 29, v38
	v_sub_nc_u32_e32 v38, 30, v38
	s_delay_alu instid0(VALU_DEP_2) | instskip(SKIP_1) | instid1(VALU_DEP_2)
	v_lshlrev_b32_e32 v39, v39, v27
	v_bfe_u32 v27, v27, 2, 5
	v_and_b32_e32 v39, 3, v39
	s_delay_alu instid0(VALU_DEP_2) | instskip(SKIP_1) | instid1(VALU_DEP_1)
	v_cmp_eq_u32_e32 vcc_lo, 0, v27
	v_dual_cndmask_b32 v27, v27, v38 :: v_dual_lshlrev_b32 v36, 24, v36
	v_dual_cndmask_b32 v37, v37, v39 :: v_dual_and_b32 v36, 0x80000000, v36
	s_delay_alu instid0(VALU_DEP_2) | instskip(NEXT) | instid1(VALU_DEP_2)
	v_lshl_add_u32 v27, v27, 23, 0x37800000
	v_lshlrev_b32_e32 v37, 21, v37
	s_delay_alu instid0(VALU_DEP_1)
	v_or3_b32 v27, v36, v27, v37
.LBB6_9451:                             ;   in Loop: Header=BB6_8078 Depth=3
	s_or_b32 exec_lo, exec_lo, s17
	v_lshrrev_b16 v36, 8, v13
	s_mov_b32 s13, 0
	s_mov_b32 s30, exec_lo
                                        ; implicit-def: $sgpr17
	s_delay_alu instid0(VALU_DEP_1)
	v_cmpx_lt_i16_e32 0x7f, v36
	s_xor_b32 s30, exec_lo, s30
	s_cbranch_execnz .LBB6_10433
; %bb.9452:                             ;   in Loop: Header=BB6_8078 Depth=3
	s_or_saveexec_b32 s30, s30
	v_mov_b32_e32 v37, s17
	s_xor_b32 exec_lo, exec_lo, s30
	s_cbranch_execnz .LBB6_10436
.LBB6_9453:                             ;   in Loop: Header=BB6_8078 Depth=3
	s_or_b32 exec_lo, exec_lo, s30
	s_and_saveexec_b32 s17, s13
	s_cbranch_execz .LBB6_9455
.LBB6_9454:                             ;   in Loop: Header=BB6_8078 Depth=3
	v_and_b32_e32 v37, 0xffff, v36
	v_lshlrev_b32_e32 v36, 24, v36
	s_delay_alu instid0(VALU_DEP_2) | instskip(NEXT) | instid1(VALU_DEP_2)
	v_and_b32_e32 v38, 3, v37
	v_and_b32_e32 v36, 0x80000000, v36
	s_delay_alu instid0(VALU_DEP_2) | instskip(NEXT) | instid1(VALU_DEP_1)
	v_clz_i32_u32_e32 v39, v38
	v_min_u32_e32 v39, 32, v39
	s_delay_alu instid0(VALU_DEP_1) | instskip(SKIP_1) | instid1(VALU_DEP_2)
	v_subrev_nc_u32_e32 v48, 29, v39
	v_sub_nc_u32_e32 v39, 30, v39
	v_lshlrev_b32_e32 v48, v48, v37
	v_bfe_u32 v37, v37, 2, 5
	s_delay_alu instid0(VALU_DEP_2) | instskip(NEXT) | instid1(VALU_DEP_2)
	v_and_b32_e32 v48, 3, v48
	v_cmp_eq_u32_e32 vcc_lo, 0, v37
	s_delay_alu instid0(VALU_DEP_2) | instskip(NEXT) | instid1(VALU_DEP_1)
	v_dual_cndmask_b32 v37, v37, v39 :: v_dual_cndmask_b32 v38, v38, v48
	v_lshl_add_u32 v37, v37, 23, 0x37800000
	s_delay_alu instid0(VALU_DEP_2) | instskip(NEXT) | instid1(VALU_DEP_1)
	v_lshlrev_b32_e32 v38, 21, v38
	v_or3_b32 v37, v36, v37, v38
.LBB6_9455:                             ;   in Loop: Header=BB6_8078 Depth=3
	s_or_b32 exec_lo, exec_lo, s17
	s_delay_alu instid0(VALU_DEP_1) | instskip(SKIP_1) | instid1(VALU_DEP_1)
	v_dual_add_f32 v27, v27, v37 :: v_dual_mov_b32 v74, 0x8000
	s_mov_b32 s17, exec_lo
	v_and_b32_e32 v36, 0x7f800000, v27
	s_delay_alu instid0(VALU_DEP_1)
	v_cmpx_ne_u32_e32 0x7f800000, v36
	s_cbranch_execz .LBB6_9463
; %bb.9456:                             ;   in Loop: Header=BB6_8078 Depth=3
	v_mov_b32_e32 v74, 0
	s_mov_b32 s30, exec_lo
	v_cmpx_ne_u32_e32 0, v27
	s_cbranch_execz .LBB6_9462
; %bb.9457:                             ;   in Loop: Header=BB6_8078 Depth=3
	v_bfe_u32 v36, v27, 23, 8
	s_delay_alu instid0(VALU_DEP_1) | instskip(SKIP_1) | instid1(VALU_DEP_2)
	v_sub_nc_u32_e32 v38, 0x70, v36
	v_cmp_gt_u32_e32 vcc_lo, 0x71, v36
	v_dual_cndmask_b32 v38, 0, v38 :: v_dual_and_b32 v37, 0x7fffff, v27
	s_delay_alu instid0(VALU_DEP_1) | instskip(SKIP_2) | instid1(VALU_DEP_4)
	v_or_b32_e32 v39, 0x800000, v37
	v_cmp_eq_u32_e32 vcc_lo, 0, v36
	v_add_nc_u32_e32 v36, 0xffffff91, v36
	v_cndmask_b32_e64 v38, v38, 0x6f, vcc_lo
	s_delay_alu instid0(VALU_DEP_4) | instskip(NEXT) | instid1(VALU_DEP_3)
	v_cndmask_b32_e32 v37, v39, v37, vcc_lo
	v_cndmask_b32_e64 v36, v36, 0xffffff92, vcc_lo
	s_delay_alu instid0(VALU_DEP_3) | instskip(NEXT) | instid1(VALU_DEP_3)
	v_lshl_add_u32 v39, 0x200000, v38, -1
	v_lshrrev_b32_e32 v48, v38, v37
	v_lshlrev_b32_e64 v50, v38, 0x100000
	s_delay_alu instid0(VALU_DEP_4) | instskip(NEXT) | instid1(VALU_DEP_4)
	v_add_nc_u32_e32 v38, v38, v36
	v_and_b32_e32 v37, v39, v37
	s_delay_alu instid0(VALU_DEP_4) | instskip(NEXT) | instid1(VALU_DEP_2)
	v_bfe_u32 v49, v48, 21, 1
	v_cmp_eq_u32_e64 s13, v37, v50
	s_delay_alu instid0(VALU_DEP_2) | instskip(NEXT) | instid1(VALU_DEP_1)
	v_add_nc_u32_e32 v39, -1, v49
	v_cndmask_b32_e64 v37, 0, v39, s13
	v_lshrrev_b32_e32 v39, 23, v48
	s_mov_b32 s13, exec_lo
	s_delay_alu instid0(VALU_DEP_2) | instskip(NEXT) | instid1(VALU_DEP_2)
	v_add_nc_u32_e32 v37, v37, v48
	v_xor_b32_e32 v39, 1, v39
	s_delay_alu instid0(VALU_DEP_2) | instskip(NEXT) | instid1(VALU_DEP_1)
	v_and_b32_e32 v36, 0x1fffff, v37
	v_add_nc_u32_e32 v37, v36, v48
                                        ; implicit-def: $vgpr36
	s_delay_alu instid0(VALU_DEP_3)
	v_cmpx_ne_u32_e64 v38, v39
	s_xor_b32 s13, exec_lo, s13
; %bb.9458:                             ;   in Loop: Header=BB6_8078 Depth=3
	s_delay_alu instid0(VALU_DEP_2) | instskip(SKIP_2) | instid1(VALU_DEP_2)
	v_cmp_lt_u32_e32 vcc_lo, 0xffffff, v37
	v_sub_nc_u32_e32 v36, v38, v39
	v_cndmask_b32_e64 v38, 0, 1, vcc_lo
	v_add_co_ci_u32_e32 v36, vcc_lo, 0, v36, vcc_lo
	s_delay_alu instid0(VALU_DEP_2)
	v_lshrrev_b32_e32 v37, v38, v37
; %bb.9459:                             ;   in Loop: Header=BB6_8078 Depth=3
	s_and_not1_saveexec_b32 s13, s13
; %bb.9460:                             ;   in Loop: Header=BB6_8078 Depth=3
	s_delay_alu instid0(VALU_DEP_1)
	v_bfe_u32 v36, v37, 23, 1
; %bb.9461:                             ;   in Loop: Header=BB6_8078 Depth=3
	s_or_b32 exec_lo, exec_lo, s13
	v_lshrrev_b32_e32 v37, 21, v37
	s_delay_alu instid0(VALU_DEP_2) | instskip(SKIP_2) | instid1(VALU_DEP_2)
	v_cmp_gt_i32_e32 vcc_lo, 32, v36
	v_min_i32_e32 v38, 31, v36
	v_lshrrev_b32_e32 v27, 24, v27
	v_dual_cndmask_b32 v37, 3, v37 :: v_dual_lshlrev_b32 v38, 2, v38
	s_delay_alu instid0(VALU_DEP_2) | instskip(NEXT) | instid1(VALU_DEP_2)
	v_and_b32_e32 v27, 0x80, v27
	v_or_b32_e32 v36, v36, v37
	s_delay_alu instid0(VALU_DEP_3) | instskip(NEXT) | instid1(VALU_DEP_2)
	v_and_b32_e32 v38, 0xfc, v38
	v_cmp_ne_u32_e32 vcc_lo, 0, v36
	v_and_b32_e32 v39, 3, v37
	s_delay_alu instid0(VALU_DEP_1) | instskip(NEXT) | instid1(VALU_DEP_1)
	v_or3_b32 v27, v27, v38, v39
	v_lshlrev_b32_e32 v27, 8, v27
	s_delay_alu instid0(VALU_DEP_1)
	v_cndmask_b32_e32 v74, 0, v27, vcc_lo
.LBB6_9462:                             ;   in Loop: Header=BB6_8078 Depth=3
	s_or_b32 exec_lo, exec_lo, s30
.LBB6_9463:                             ;   in Loop: Header=BB6_8078 Depth=3
	s_delay_alu instid0(SALU_CYCLE_1) | instskip(SKIP_3) | instid1(VALU_DEP_1)
	s_or_b32 exec_lo, exec_lo, s17
	v_or_b32_e32 v36, v75, v63
	s_mov_b32 s13, 0
	s_mov_b32 s30, exec_lo
                                        ; implicit-def: $sgpr17
	v_and_b32_e32 v37, 0xff, v36
	s_delay_alu instid0(VALU_DEP_1)
	v_cmpx_lt_i16_e32 0x7f, v37
	s_xor_b32 s30, exec_lo, s30
	s_cbranch_execnz .LBB6_10437
; %bb.9464:                             ;   in Loop: Header=BB6_8078 Depth=3
	s_or_saveexec_b32 s30, s30
	v_mov_b32_e32 v27, s17
	s_xor_b32 exec_lo, exec_lo, s30
	s_cbranch_execnz .LBB6_10440
.LBB6_9465:                             ;   in Loop: Header=BB6_8078 Depth=3
	s_or_b32 exec_lo, exec_lo, s30
	v_lshl_or_b32 v26, v36, 16, v26
	s_and_saveexec_b32 s17, s13
	s_cbranch_execz .LBB6_9467
.LBB6_9466:                             ;   in Loop: Header=BB6_8078 Depth=3
	s_delay_alu instid0(VALU_DEP_1) | instskip(SKIP_2) | instid1(VALU_DEP_3)
	v_bfe_u32 v27, v26, 16, 2
	v_lshrrev_b32_e32 v37, 16, v26
	v_lshlrev_b32_e32 v39, 8, v26
	v_clz_i32_u32_e32 v36, v27
	s_delay_alu instid0(VALU_DEP_1) | instskip(NEXT) | instid1(VALU_DEP_1)
	v_min_u32_e32 v36, 32, v36
	v_subrev_nc_u32_e32 v38, 29, v36
	v_sub_nc_u32_e32 v36, 30, v36
	s_delay_alu instid0(VALU_DEP_2) | instskip(SKIP_1) | instid1(VALU_DEP_1)
	v_lshlrev_b32_e32 v37, v38, v37
	v_bfe_u32 v38, v26, 18, 5
	v_cmp_eq_u32_e32 vcc_lo, 0, v38
	s_delay_alu instid0(VALU_DEP_3) | instskip(NEXT) | instid1(VALU_DEP_1)
	v_dual_cndmask_b32 v36, v38, v36 :: v_dual_and_b32 v37, 3, v37
	v_cndmask_b32_e32 v27, v27, v37, vcc_lo
	v_and_b32_e32 v37, 0x80000000, v39
	s_delay_alu instid0(VALU_DEP_3) | instskip(NEXT) | instid1(VALU_DEP_3)
	v_lshl_add_u32 v36, v36, 23, 0x37800000
	v_lshlrev_b32_e32 v27, 21, v27
	s_delay_alu instid0(VALU_DEP_1)
	v_or3_b32 v27, v37, v36, v27
.LBB6_9467:                             ;   in Loop: Header=BB6_8078 Depth=3
	s_or_b32 exec_lo, exec_lo, s17
	v_lshrrev_b32_e32 v36, 16, v13
	s_mov_b32 s13, 0
	s_mov_b32 s30, exec_lo
                                        ; implicit-def: $sgpr17
	s_delay_alu instid0(VALU_DEP_1) | instskip(NEXT) | instid1(VALU_DEP_1)
	v_and_b32_e32 v38, 0xff, v36
	v_cmpx_lt_i16_e32 0x7f, v38
	s_xor_b32 s30, exec_lo, s30
	s_cbranch_execnz .LBB6_10441
; %bb.9468:                             ;   in Loop: Header=BB6_8078 Depth=3
	s_or_saveexec_b32 s30, s30
	v_mov_b32_e32 v37, s17
	s_xor_b32 exec_lo, exec_lo, s30
	s_cbranch_execnz .LBB6_10444
.LBB6_9469:                             ;   in Loop: Header=BB6_8078 Depth=3
	s_or_b32 exec_lo, exec_lo, s30
	s_and_saveexec_b32 s17, s13
	s_cbranch_execz .LBB6_9471
.LBB6_9470:                             ;   in Loop: Header=BB6_8078 Depth=3
	v_bfe_u32 v37, v13, 16, 2
	v_lshlrev_b32_e32 v48, 8, v13
	s_delay_alu instid0(VALU_DEP_2) | instskip(NEXT) | instid1(VALU_DEP_1)
	v_clz_i32_u32_e32 v38, v37
	v_min_u32_e32 v38, 32, v38
	s_delay_alu instid0(VALU_DEP_1) | instskip(SKIP_1) | instid1(VALU_DEP_2)
	v_subrev_nc_u32_e32 v39, 29, v38
	v_sub_nc_u32_e32 v38, 30, v38
	v_lshlrev_b32_e32 v36, v39, v36
	v_bfe_u32 v39, v13, 18, 5
	s_delay_alu instid0(VALU_DEP_2) | instskip(NEXT) | instid1(VALU_DEP_2)
	v_and_b32_e32 v36, 3, v36
	v_cmp_eq_u32_e32 vcc_lo, 0, v39
	v_cndmask_b32_e32 v38, v39, v38, vcc_lo
	s_delay_alu instid0(VALU_DEP_3) | instskip(SKIP_1) | instid1(VALU_DEP_3)
	v_cndmask_b32_e32 v36, v37, v36, vcc_lo
	v_and_b32_e32 v37, 0x80000000, v48
	v_lshl_add_u32 v38, v38, 23, 0x37800000
	s_delay_alu instid0(VALU_DEP_3) | instskip(NEXT) | instid1(VALU_DEP_1)
	v_lshlrev_b32_e32 v36, 21, v36
	v_or3_b32 v37, v37, v38, v36
.LBB6_9471:                             ;   in Loop: Header=BB6_8078 Depth=3
	s_or_b32 exec_lo, exec_lo, s17
	s_delay_alu instid0(VALU_DEP_1) | instskip(SKIP_2) | instid1(VALU_DEP_2)
	v_add_f32_e32 v27, v27, v37
	v_mov_b32_e32 v63, 0x80
	s_mov_b32 s17, exec_lo
	v_and_b32_e32 v36, 0x7f800000, v27
	s_delay_alu instid0(VALU_DEP_1)
	v_cmpx_ne_u32_e32 0x7f800000, v36
	s_cbranch_execz .LBB6_9479
; %bb.9472:                             ;   in Loop: Header=BB6_8078 Depth=3
	v_mov_b32_e32 v63, 0
	s_mov_b32 s30, exec_lo
	v_cmpx_ne_u32_e32 0, v27
	s_cbranch_execz .LBB6_9478
; %bb.9473:                             ;   in Loop: Header=BB6_8078 Depth=3
	v_bfe_u32 v36, v27, 23, 8
	s_delay_alu instid0(VALU_DEP_1) | instskip(SKIP_1) | instid1(VALU_DEP_2)
	v_sub_nc_u32_e32 v38, 0x70, v36
	v_cmp_gt_u32_e32 vcc_lo, 0x71, v36
	v_dual_cndmask_b32 v38, 0, v38 :: v_dual_and_b32 v37, 0x7fffff, v27
	s_delay_alu instid0(VALU_DEP_1) | instskip(SKIP_2) | instid1(VALU_DEP_4)
	v_or_b32_e32 v39, 0x800000, v37
	v_cmp_eq_u32_e32 vcc_lo, 0, v36
	v_add_nc_u32_e32 v36, 0xffffff91, v36
	v_cndmask_b32_e64 v38, v38, 0x6f, vcc_lo
	s_delay_alu instid0(VALU_DEP_4) | instskip(NEXT) | instid1(VALU_DEP_3)
	v_cndmask_b32_e32 v37, v39, v37, vcc_lo
	v_cndmask_b32_e64 v36, v36, 0xffffff92, vcc_lo
	s_delay_alu instid0(VALU_DEP_3) | instskip(NEXT) | instid1(VALU_DEP_3)
	v_lshl_add_u32 v39, 0x200000, v38, -1
	v_lshrrev_b32_e32 v48, v38, v37
	v_lshlrev_b32_e64 v50, v38, 0x100000
	s_delay_alu instid0(VALU_DEP_4) | instskip(NEXT) | instid1(VALU_DEP_4)
	v_add_nc_u32_e32 v38, v38, v36
	v_and_b32_e32 v37, v39, v37
	s_delay_alu instid0(VALU_DEP_4) | instskip(NEXT) | instid1(VALU_DEP_2)
	v_bfe_u32 v49, v48, 21, 1
	v_cmp_eq_u32_e64 s13, v37, v50
	s_delay_alu instid0(VALU_DEP_2) | instskip(NEXT) | instid1(VALU_DEP_1)
	v_add_nc_u32_e32 v39, -1, v49
	v_cndmask_b32_e64 v37, 0, v39, s13
	v_lshrrev_b32_e32 v39, 23, v48
	s_mov_b32 s13, exec_lo
	s_delay_alu instid0(VALU_DEP_2) | instskip(NEXT) | instid1(VALU_DEP_2)
	v_add_nc_u32_e32 v37, v37, v48
	v_xor_b32_e32 v39, 1, v39
	s_delay_alu instid0(VALU_DEP_2) | instskip(NEXT) | instid1(VALU_DEP_1)
	v_and_b32_e32 v36, 0x1fffff, v37
	v_add_nc_u32_e32 v37, v36, v48
                                        ; implicit-def: $vgpr36
	s_delay_alu instid0(VALU_DEP_3)
	v_cmpx_ne_u32_e64 v38, v39
	s_xor_b32 s13, exec_lo, s13
; %bb.9474:                             ;   in Loop: Header=BB6_8078 Depth=3
	s_delay_alu instid0(VALU_DEP_2) | instskip(SKIP_2) | instid1(VALU_DEP_2)
	v_cmp_lt_u32_e32 vcc_lo, 0xffffff, v37
	v_sub_nc_u32_e32 v36, v38, v39
	v_cndmask_b32_e64 v38, 0, 1, vcc_lo
	v_add_co_ci_u32_e32 v36, vcc_lo, 0, v36, vcc_lo
	s_delay_alu instid0(VALU_DEP_2)
	v_lshrrev_b32_e32 v37, v38, v37
; %bb.9475:                             ;   in Loop: Header=BB6_8078 Depth=3
	s_and_not1_saveexec_b32 s13, s13
; %bb.9476:                             ;   in Loop: Header=BB6_8078 Depth=3
	s_delay_alu instid0(VALU_DEP_1)
	v_bfe_u32 v36, v37, 23, 1
; %bb.9477:                             ;   in Loop: Header=BB6_8078 Depth=3
	s_or_b32 exec_lo, exec_lo, s13
	v_lshrrev_b32_e32 v37, 21, v37
	s_delay_alu instid0(VALU_DEP_2) | instskip(SKIP_2) | instid1(VALU_DEP_2)
	v_cmp_gt_i32_e32 vcc_lo, 32, v36
	v_min_i32_e32 v38, 31, v36
	v_lshrrev_b32_e32 v27, 24, v27
	v_dual_cndmask_b32 v37, 3, v37 :: v_dual_lshlrev_b32 v38, 2, v38
	s_delay_alu instid0(VALU_DEP_2) | instskip(NEXT) | instid1(VALU_DEP_2)
	v_and_b32_e32 v27, 0x80, v27
	v_or_b32_e32 v36, v36, v37
	v_and_b32_e32 v39, 3, v37
	s_delay_alu instid0(VALU_DEP_2) | instskip(SKIP_1) | instid1(VALU_DEP_1)
	v_cmp_ne_u32_e32 vcc_lo, 0, v36
	v_and_b32_e32 v38, 0xfc, v38
	v_or3_b32 v27, v38, v27, v39
	s_delay_alu instid0(VALU_DEP_1)
	v_cndmask_b32_e32 v63, 0, v27, vcc_lo
.LBB6_9478:                             ;   in Loop: Header=BB6_8078 Depth=3
	s_or_b32 exec_lo, exec_lo, s30
.LBB6_9479:                             ;   in Loop: Header=BB6_8078 Depth=3
	s_delay_alu instid0(SALU_CYCLE_1) | instskip(SKIP_3) | instid1(VALU_DEP_1)
	s_or_b32 exec_lo, exec_lo, s17
	v_lshrrev_b32_e32 v36, 24, v26
	s_mov_b32 s13, 0
	s_mov_b32 s30, exec_lo
                                        ; implicit-def: $sgpr17
	v_cmpx_lt_i16_e32 0x7f, v36
	s_xor_b32 s30, exec_lo, s30
	s_cbranch_execnz .LBB6_10445
; %bb.9480:                             ;   in Loop: Header=BB6_8078 Depth=3
	s_or_saveexec_b32 s30, s30
	v_mov_b32_e32 v27, s17
	s_xor_b32 exec_lo, exec_lo, s30
	s_cbranch_execnz .LBB6_10448
.LBB6_9481:                             ;   in Loop: Header=BB6_8078 Depth=3
	s_or_b32 exec_lo, exec_lo, s30
	s_and_saveexec_b32 s17, s13
	s_cbranch_execz .LBB6_9483
.LBB6_9482:                             ;   in Loop: Header=BB6_8078 Depth=3
	v_bfe_u32 v27, v26, 24, 2
	s_delay_alu instid0(VALU_DEP_1) | instskip(NEXT) | instid1(VALU_DEP_1)
	v_clz_i32_u32_e32 v37, v27
	v_min_u32_e32 v37, 32, v37
	s_delay_alu instid0(VALU_DEP_1) | instskip(SKIP_1) | instid1(VALU_DEP_2)
	v_subrev_nc_u32_e32 v38, 29, v37
	v_sub_nc_u32_e32 v37, 30, v37
	v_lshlrev_b32_e32 v36, v38, v36
	v_bfe_u32 v38, v26, 26, 5
	v_and_b32_e32 v26, 0x80000000, v26
	s_delay_alu instid0(VALU_DEP_2) | instskip(NEXT) | instid1(VALU_DEP_4)
	v_cmp_eq_u32_e32 vcc_lo, 0, v38
	v_dual_cndmask_b32 v37, v38, v37 :: v_dual_and_b32 v36, 3, v36
	s_delay_alu instid0(VALU_DEP_1) | instskip(NEXT) | instid1(VALU_DEP_2)
	v_cndmask_b32_e32 v27, v27, v36, vcc_lo
	v_lshl_add_u32 v36, v37, 23, 0x37800000
	s_delay_alu instid0(VALU_DEP_2) | instskip(NEXT) | instid1(VALU_DEP_1)
	v_lshlrev_b32_e32 v27, 21, v27
	v_or3_b32 v27, v26, v36, v27
.LBB6_9483:                             ;   in Loop: Header=BB6_8078 Depth=3
	s_or_b32 exec_lo, exec_lo, s17
	v_lshrrev_b32_e32 v26, 24, v13
	s_mov_b32 s13, 0
	s_mov_b32 s30, exec_lo
                                        ; implicit-def: $sgpr17
	s_delay_alu instid0(VALU_DEP_1)
	v_cmpx_lt_i16_e32 0x7f, v26
	s_xor_b32 s30, exec_lo, s30
	s_cbranch_execnz .LBB6_10449
; %bb.9484:                             ;   in Loop: Header=BB6_8078 Depth=3
	s_or_saveexec_b32 s30, s30
	v_mov_b32_e32 v36, s17
	s_xor_b32 exec_lo, exec_lo, s30
	s_cbranch_execnz .LBB6_10452
.LBB6_9485:                             ;   in Loop: Header=BB6_8078 Depth=3
	s_or_b32 exec_lo, exec_lo, s30
	s_and_saveexec_b32 s17, s13
	s_cbranch_execz .LBB6_9487
.LBB6_9486:                             ;   in Loop: Header=BB6_8078 Depth=3
	v_bfe_u32 v36, v13, 24, 2
	s_delay_alu instid0(VALU_DEP_1) | instskip(NEXT) | instid1(VALU_DEP_1)
	v_clz_i32_u32_e32 v37, v36
	v_min_u32_e32 v37, 32, v37
	s_delay_alu instid0(VALU_DEP_1) | instskip(SKIP_1) | instid1(VALU_DEP_2)
	v_subrev_nc_u32_e32 v38, 29, v37
	v_sub_nc_u32_e32 v37, 30, v37
	v_lshlrev_b32_e32 v26, v38, v26
	v_bfe_u32 v38, v13, 26, 5
	v_and_b32_e32 v13, 0x80000000, v13
	s_delay_alu instid0(VALU_DEP_2) | instskip(NEXT) | instid1(VALU_DEP_4)
	v_cmp_eq_u32_e32 vcc_lo, 0, v38
	v_dual_cndmask_b32 v37, v38, v37 :: v_dual_and_b32 v26, 3, v26
	s_delay_alu instid0(VALU_DEP_1) | instskip(NEXT) | instid1(VALU_DEP_2)
	v_cndmask_b32_e32 v26, v36, v26, vcc_lo
	v_lshl_add_u32 v36, v37, 23, 0x37800000
	s_delay_alu instid0(VALU_DEP_2) | instskip(NEXT) | instid1(VALU_DEP_1)
	v_lshlrev_b32_e32 v26, 21, v26
	v_or3_b32 v36, v13, v36, v26
.LBB6_9487:                             ;   in Loop: Header=BB6_8078 Depth=3
	s_or_b32 exec_lo, exec_lo, s17
	s_delay_alu instid0(VALU_DEP_1) | instskip(NEXT) | instid1(VALU_DEP_1)
	v_add_f32_e32 v26, v27, v36
	v_and_b32_e32 v13, 0x7f800000, v26
	s_delay_alu instid0(VALU_DEP_1)
	v_cmp_ne_u32_e32 vcc_lo, 0x7f800000, v13
	v_mov_b32_e32 v13, 0x8000
	s_and_saveexec_b32 s17, vcc_lo
	s_cbranch_execz .LBB6_9495
; %bb.9488:                             ;   in Loop: Header=BB6_8078 Depth=3
	v_mov_b32_e32 v13, 0
	s_mov_b32 s30, exec_lo
	v_cmpx_ne_u32_e32 0, v26
	s_cbranch_execz .LBB6_9494
; %bb.9489:                             ;   in Loop: Header=BB6_8078 Depth=3
	v_bfe_u32 v13, v26, 23, 8
	s_delay_alu instid0(VALU_DEP_1) | instskip(SKIP_1) | instid1(VALU_DEP_2)
	v_sub_nc_u32_e32 v36, 0x70, v13
	v_cmp_gt_u32_e32 vcc_lo, 0x71, v13
	v_dual_cndmask_b32 v36, 0, v36 :: v_dual_and_b32 v27, 0x7fffff, v26
	s_delay_alu instid0(VALU_DEP_1) | instskip(SKIP_2) | instid1(VALU_DEP_4)
	v_or_b32_e32 v37, 0x800000, v27
	v_cmp_eq_u32_e32 vcc_lo, 0, v13
	v_add_nc_u32_e32 v13, 0xffffff91, v13
	v_cndmask_b32_e64 v36, v36, 0x6f, vcc_lo
	s_delay_alu instid0(VALU_DEP_2) | instskip(SKIP_1) | instid1(VALU_DEP_3)
	v_cndmask_b32_e64 v13, v13, 0xffffff92, vcc_lo
	v_cndmask_b32_e32 v27, v37, v27, vcc_lo
	v_lshl_add_u32 v37, 0x200000, v36, -1
	v_lshlrev_b32_e64 v48, v36, 0x100000
	s_delay_alu instid0(VALU_DEP_3) | instskip(SKIP_1) | instid1(VALU_DEP_4)
	v_lshrrev_b32_e32 v38, v36, v27
	v_add_nc_u32_e32 v36, v36, v13
	v_and_b32_e32 v27, v37, v27
	s_delay_alu instid0(VALU_DEP_3) | instskip(NEXT) | instid1(VALU_DEP_2)
	v_bfe_u32 v39, v38, 21, 1
	v_cmp_eq_u32_e64 s13, v27, v48
	s_delay_alu instid0(VALU_DEP_2) | instskip(NEXT) | instid1(VALU_DEP_1)
	v_add_nc_u32_e32 v37, -1, v39
	v_cndmask_b32_e64 v27, 0, v37, s13
	v_lshrrev_b32_e32 v37, 23, v38
	s_mov_b32 s13, exec_lo
	s_delay_alu instid0(VALU_DEP_2) | instskip(NEXT) | instid1(VALU_DEP_2)
	v_add_nc_u32_e32 v27, v27, v38
	v_xor_b32_e32 v37, 1, v37
	s_delay_alu instid0(VALU_DEP_2) | instskip(NEXT) | instid1(VALU_DEP_1)
	v_and_b32_e32 v13, 0x1fffff, v27
	v_add_nc_u32_e32 v27, v13, v38
                                        ; implicit-def: $vgpr13
	s_delay_alu instid0(VALU_DEP_3)
	v_cmpx_ne_u32_e64 v36, v37
	s_xor_b32 s13, exec_lo, s13
; %bb.9490:                             ;   in Loop: Header=BB6_8078 Depth=3
	s_delay_alu instid0(VALU_DEP_2) | instskip(SKIP_2) | instid1(VALU_DEP_2)
	v_cmp_lt_u32_e32 vcc_lo, 0xffffff, v27
	v_sub_nc_u32_e32 v13, v36, v37
	v_cndmask_b32_e64 v36, 0, 1, vcc_lo
	v_add_co_ci_u32_e32 v13, vcc_lo, 0, v13, vcc_lo
	s_delay_alu instid0(VALU_DEP_2)
	v_lshrrev_b32_e32 v27, v36, v27
; %bb.9491:                             ;   in Loop: Header=BB6_8078 Depth=3
	s_and_not1_saveexec_b32 s13, s13
; %bb.9492:                             ;   in Loop: Header=BB6_8078 Depth=3
	s_delay_alu instid0(VALU_DEP_1)
	v_bfe_u32 v13, v27, 23, 1
; %bb.9493:                             ;   in Loop: Header=BB6_8078 Depth=3
	s_or_b32 exec_lo, exec_lo, s13
	v_lshrrev_b32_e32 v27, 21, v27
	s_delay_alu instid0(VALU_DEP_2) | instskip(SKIP_2) | instid1(VALU_DEP_2)
	v_cmp_gt_i32_e32 vcc_lo, 32, v13
	v_min_i32_e32 v36, 31, v13
	v_lshrrev_b32_e32 v26, 24, v26
	v_dual_cndmask_b32 v27, 3, v27 :: v_dual_lshlrev_b32 v36, 2, v36
	s_delay_alu instid0(VALU_DEP_2) | instskip(NEXT) | instid1(VALU_DEP_2)
	v_and_b32_e32 v26, 0x80, v26
	v_or_b32_e32 v13, v13, v27
	v_and_b32_e32 v37, 3, v27
	s_delay_alu instid0(VALU_DEP_2) | instskip(SKIP_1) | instid1(VALU_DEP_1)
	v_cmp_ne_u32_e32 vcc_lo, 0, v13
	v_and_b32_e32 v36, 0xfc, v36
	v_or3_b32 v26, v26, v36, v37
	s_delay_alu instid0(VALU_DEP_1) | instskip(NEXT) | instid1(VALU_DEP_1)
	v_lshlrev_b32_e32 v26, 8, v26
	v_cndmask_b32_e32 v13, 0, v26, vcc_lo
.LBB6_9494:                             ;   in Loop: Header=BB6_8078 Depth=3
	s_or_b32 exec_lo, exec_lo, s30
.LBB6_9495:                             ;   in Loop: Header=BB6_8078 Depth=3
	s_delay_alu instid0(SALU_CYCLE_1) | instskip(SKIP_3) | instid1(VALU_DEP_1)
	s_or_b32 exec_lo, exec_lo, s17
	v_and_b32_e32 v27, 0xff, v62
	s_mov_b32 s13, 0
	s_mov_b32 s30, exec_lo
                                        ; implicit-def: $sgpr17
	v_cmpx_lt_i16_e32 0x7f, v27
	s_xor_b32 s30, exec_lo, s30
	s_cbranch_execnz .LBB6_10453
; %bb.9496:                             ;   in Loop: Header=BB6_8078 Depth=3
	s_or_saveexec_b32 s30, s30
	v_mov_b32_e32 v26, s17
	s_xor_b32 exec_lo, exec_lo, s30
	s_cbranch_execnz .LBB6_10456
.LBB6_9497:                             ;   in Loop: Header=BB6_8078 Depth=3
	s_or_b32 exec_lo, exec_lo, s30
	s_and_saveexec_b32 s17, s13
	s_cbranch_execz .LBB6_9499
.LBB6_9498:                             ;   in Loop: Header=BB6_8078 Depth=3
	v_bfe_u32 v37, v62, 2, 5
	v_lshlrev_b32_e32 v38, 24, v62
	s_delay_alu instid0(VALU_DEP_2) | instskip(SKIP_1) | instid1(VALU_DEP_1)
	v_cmp_eq_u32_e32 vcc_lo, 0, v37
	v_and_b32_e32 v26, 3, v62
	v_clz_i32_u32_e32 v27, v26
	s_delay_alu instid0(VALU_DEP_1) | instskip(NEXT) | instid1(VALU_DEP_1)
	v_min_u32_e32 v27, 32, v27
	v_subrev_nc_u32_e32 v36, 29, v27
	v_sub_nc_u32_e32 v27, 30, v27
	s_delay_alu instid0(VALU_DEP_1) | instskip(NEXT) | instid1(VALU_DEP_1)
	v_dual_cndmask_b32 v27, v37, v27 :: v_dual_lshlrev_b32 v36, v36, v62
	v_and_b32_e32 v36, 3, v36
	s_delay_alu instid0(VALU_DEP_2) | instskip(NEXT) | instid1(VALU_DEP_2)
	v_lshl_add_u32 v27, v27, 23, 0x37800000
	v_cndmask_b32_e32 v26, v26, v36, vcc_lo
	v_and_b32_e32 v36, 0x80000000, v38
	s_delay_alu instid0(VALU_DEP_2) | instskip(NEXT) | instid1(VALU_DEP_1)
	v_lshlrev_b32_e32 v26, 21, v26
	v_or3_b32 v26, v36, v27, v26
.LBB6_9499:                             ;   in Loop: Header=BB6_8078 Depth=3
	s_or_b32 exec_lo, exec_lo, s17
	v_and_b32_e32 v36, 0xff, v14
	s_mov_b32 s13, 0
	s_mov_b32 s30, exec_lo
                                        ; implicit-def: $sgpr17
	s_delay_alu instid0(VALU_DEP_1)
	v_cmpx_lt_i16_e32 0x7f, v36
	s_xor_b32 s30, exec_lo, s30
	s_cbranch_execnz .LBB6_10457
; %bb.9500:                             ;   in Loop: Header=BB6_8078 Depth=3
	s_or_saveexec_b32 s30, s30
	v_mov_b32_e32 v27, s17
	s_xor_b32 exec_lo, exec_lo, s30
	s_cbranch_execnz .LBB6_10460
.LBB6_9501:                             ;   in Loop: Header=BB6_8078 Depth=3
	s_or_b32 exec_lo, exec_lo, s30
	s_and_saveexec_b32 s17, s13
	s_cbranch_execz .LBB6_9503
.LBB6_9502:                             ;   in Loop: Header=BB6_8078 Depth=3
	v_bfe_u32 v38, v14, 2, 5
	v_lshlrev_b32_e32 v39, 24, v14
	s_delay_alu instid0(VALU_DEP_2) | instskip(SKIP_1) | instid1(VALU_DEP_1)
	v_cmp_eq_u32_e32 vcc_lo, 0, v38
	v_and_b32_e32 v27, 3, v14
	v_clz_i32_u32_e32 v36, v27
	s_delay_alu instid0(VALU_DEP_1) | instskip(NEXT) | instid1(VALU_DEP_1)
	v_min_u32_e32 v36, 32, v36
	v_subrev_nc_u32_e32 v37, 29, v36
	v_sub_nc_u32_e32 v36, 30, v36
	s_delay_alu instid0(VALU_DEP_1) | instskip(NEXT) | instid1(VALU_DEP_1)
	v_dual_cndmask_b32 v36, v38, v36 :: v_dual_lshlrev_b32 v37, v37, v14
	v_and_b32_e32 v37, 3, v37
	s_delay_alu instid0(VALU_DEP_2) | instskip(NEXT) | instid1(VALU_DEP_2)
	v_lshl_add_u32 v36, v36, 23, 0x37800000
	v_cndmask_b32_e32 v27, v27, v37, vcc_lo
	v_and_b32_e32 v37, 0x80000000, v39
	s_delay_alu instid0(VALU_DEP_2) | instskip(NEXT) | instid1(VALU_DEP_1)
	v_lshlrev_b32_e32 v27, 21, v27
	v_or3_b32 v27, v37, v36, v27
.LBB6_9503:                             ;   in Loop: Header=BB6_8078 Depth=3
	s_or_b32 exec_lo, exec_lo, s17
	s_delay_alu instid0(VALU_DEP_1) | instskip(SKIP_2) | instid1(VALU_DEP_2)
	v_add_f32_e32 v26, v26, v27
	v_mov_b32_e32 v62, 0x80
	s_mov_b32 s17, exec_lo
	v_and_b32_e32 v27, 0x7f800000, v26
	s_delay_alu instid0(VALU_DEP_1)
	v_cmpx_ne_u32_e32 0x7f800000, v27
	s_cbranch_execz .LBB6_9511
; %bb.9504:                             ;   in Loop: Header=BB6_8078 Depth=3
	v_mov_b32_e32 v62, 0
	s_mov_b32 s30, exec_lo
	v_cmpx_ne_u32_e32 0, v26
	s_cbranch_execz .LBB6_9510
; %bb.9505:                             ;   in Loop: Header=BB6_8078 Depth=3
	v_bfe_u32 v27, v26, 23, 8
	s_delay_alu instid0(VALU_DEP_1) | instskip(SKIP_1) | instid1(VALU_DEP_2)
	v_sub_nc_u32_e32 v37, 0x70, v27
	v_cmp_gt_u32_e32 vcc_lo, 0x71, v27
	v_dual_cndmask_b32 v37, 0, v37 :: v_dual_and_b32 v36, 0x7fffff, v26
	s_delay_alu instid0(VALU_DEP_1) | instskip(SKIP_2) | instid1(VALU_DEP_4)
	v_or_b32_e32 v38, 0x800000, v36
	v_cmp_eq_u32_e32 vcc_lo, 0, v27
	v_add_nc_u32_e32 v27, 0xffffff91, v27
	v_cndmask_b32_e64 v37, v37, 0x6f, vcc_lo
	s_delay_alu instid0(VALU_DEP_4) | instskip(NEXT) | instid1(VALU_DEP_3)
	v_cndmask_b32_e32 v36, v38, v36, vcc_lo
	v_cndmask_b32_e64 v27, v27, 0xffffff92, vcc_lo
	s_delay_alu instid0(VALU_DEP_3) | instskip(NEXT) | instid1(VALU_DEP_3)
	v_lshl_add_u32 v38, 0x200000, v37, -1
	v_lshrrev_b32_e32 v39, v37, v36
	v_lshlrev_b32_e64 v49, v37, 0x100000
	s_delay_alu instid0(VALU_DEP_4) | instskip(NEXT) | instid1(VALU_DEP_4)
	v_add_nc_u32_e32 v37, v37, v27
	v_and_b32_e32 v36, v38, v36
	s_delay_alu instid0(VALU_DEP_4) | instskip(NEXT) | instid1(VALU_DEP_2)
	v_bfe_u32 v48, v39, 21, 1
	v_cmp_eq_u32_e64 s13, v36, v49
	s_delay_alu instid0(VALU_DEP_2) | instskip(NEXT) | instid1(VALU_DEP_1)
	v_add_nc_u32_e32 v38, -1, v48
	v_cndmask_b32_e64 v36, 0, v38, s13
	v_lshrrev_b32_e32 v38, 23, v39
	s_mov_b32 s13, exec_lo
	s_delay_alu instid0(VALU_DEP_2) | instskip(NEXT) | instid1(VALU_DEP_2)
	v_add_nc_u32_e32 v36, v36, v39
	v_xor_b32_e32 v38, 1, v38
	s_delay_alu instid0(VALU_DEP_2) | instskip(NEXT) | instid1(VALU_DEP_1)
	v_and_b32_e32 v27, 0x1fffff, v36
	v_add_nc_u32_e32 v36, v27, v39
                                        ; implicit-def: $vgpr27
	s_delay_alu instid0(VALU_DEP_3)
	v_cmpx_ne_u32_e64 v37, v38
	s_xor_b32 s13, exec_lo, s13
; %bb.9506:                             ;   in Loop: Header=BB6_8078 Depth=3
	s_delay_alu instid0(VALU_DEP_2) | instskip(SKIP_2) | instid1(VALU_DEP_2)
	v_cmp_lt_u32_e32 vcc_lo, 0xffffff, v36
	v_sub_nc_u32_e32 v27, v37, v38
	v_cndmask_b32_e64 v37, 0, 1, vcc_lo
	v_add_co_ci_u32_e32 v27, vcc_lo, 0, v27, vcc_lo
	s_delay_alu instid0(VALU_DEP_2)
	v_lshrrev_b32_e32 v36, v37, v36
; %bb.9507:                             ;   in Loop: Header=BB6_8078 Depth=3
	s_and_not1_saveexec_b32 s13, s13
; %bb.9508:                             ;   in Loop: Header=BB6_8078 Depth=3
	s_delay_alu instid0(VALU_DEP_1)
	v_bfe_u32 v27, v36, 23, 1
; %bb.9509:                             ;   in Loop: Header=BB6_8078 Depth=3
	s_or_b32 exec_lo, exec_lo, s13
	v_lshrrev_b32_e32 v36, 21, v36
	s_delay_alu instid0(VALU_DEP_2) | instskip(SKIP_2) | instid1(VALU_DEP_4)
	v_cmp_gt_i32_e32 vcc_lo, 32, v27
	v_lshrrev_b32_e32 v26, 24, v26
	v_min_i32_e32 v37, 31, v27
	v_cndmask_b32_e32 v36, 3, v36, vcc_lo
	s_delay_alu instid0(VALU_DEP_3) | instskip(NEXT) | instid1(VALU_DEP_3)
	v_and_b32_e32 v26, 0x80, v26
	v_lshlrev_b32_e32 v37, 2, v37
	s_delay_alu instid0(VALU_DEP_3) | instskip(SKIP_1) | instid1(VALU_DEP_2)
	v_and_b32_e32 v38, 3, v36
	v_or_b32_e32 v27, v27, v36
	v_or3_b32 v26, v37, v26, v38
	s_delay_alu instid0(VALU_DEP_2) | instskip(NEXT) | instid1(VALU_DEP_2)
	v_cmp_ne_u32_e32 vcc_lo, 0, v27
	v_cndmask_b32_e32 v62, 0, v26, vcc_lo
.LBB6_9510:                             ;   in Loop: Header=BB6_8078 Depth=3
	s_or_b32 exec_lo, exec_lo, s30
.LBB6_9511:                             ;   in Loop: Header=BB6_8078 Depth=3
	s_delay_alu instid0(SALU_CYCLE_1) | instskip(SKIP_3) | instid1(VALU_DEP_1)
	s_or_b32 exec_lo, exec_lo, s17
	v_and_b32_e32 v27, 0xff, v60
	s_mov_b32 s13, 0
	s_mov_b32 s30, exec_lo
                                        ; implicit-def: $sgpr17
	v_cmpx_lt_i16_e32 0x7f, v27
	s_xor_b32 s30, exec_lo, s30
	s_cbranch_execnz .LBB6_10461
; %bb.9512:                             ;   in Loop: Header=BB6_8078 Depth=3
	s_or_saveexec_b32 s30, s30
	v_mov_b32_e32 v26, s17
	s_xor_b32 exec_lo, exec_lo, s30
	s_cbranch_execnz .LBB6_10464
.LBB6_9513:                             ;   in Loop: Header=BB6_8078 Depth=3
	s_or_b32 exec_lo, exec_lo, s30
	s_and_saveexec_b32 s17, s13
	s_cbranch_execz .LBB6_9515
.LBB6_9514:                             ;   in Loop: Header=BB6_8078 Depth=3
	v_bfe_u32 v37, v60, 2, 5
	v_lshlrev_b32_e32 v38, 24, v60
	s_delay_alu instid0(VALU_DEP_2) | instskip(SKIP_1) | instid1(VALU_DEP_1)
	v_cmp_eq_u32_e32 vcc_lo, 0, v37
	v_and_b32_e32 v26, 3, v60
	v_clz_i32_u32_e32 v27, v26
	s_delay_alu instid0(VALU_DEP_1) | instskip(NEXT) | instid1(VALU_DEP_1)
	v_min_u32_e32 v27, 32, v27
	v_subrev_nc_u32_e32 v36, 29, v27
	v_sub_nc_u32_e32 v27, 30, v27
	s_delay_alu instid0(VALU_DEP_1) | instskip(NEXT) | instid1(VALU_DEP_1)
	v_dual_cndmask_b32 v27, v37, v27 :: v_dual_lshlrev_b32 v36, v36, v60
	v_and_b32_e32 v36, 3, v36
	s_delay_alu instid0(VALU_DEP_2) | instskip(NEXT) | instid1(VALU_DEP_2)
	v_lshl_add_u32 v27, v27, 23, 0x37800000
	v_cndmask_b32_e32 v26, v26, v36, vcc_lo
	v_and_b32_e32 v36, 0x80000000, v38
	s_delay_alu instid0(VALU_DEP_2) | instskip(NEXT) | instid1(VALU_DEP_1)
	v_lshlrev_b32_e32 v26, 21, v26
	v_or3_b32 v26, v36, v27, v26
.LBB6_9515:                             ;   in Loop: Header=BB6_8078 Depth=3
	s_or_b32 exec_lo, exec_lo, s17
	v_lshrrev_b16 v27, 8, v14
	s_mov_b32 s13, 0
	s_mov_b32 s30, exec_lo
                                        ; implicit-def: $sgpr17
	s_delay_alu instid0(VALU_DEP_1)
	v_cmpx_lt_i16_e32 0x7f, v27
	s_xor_b32 s30, exec_lo, s30
	s_cbranch_execnz .LBB6_10465
; %bb.9516:                             ;   in Loop: Header=BB6_8078 Depth=3
	s_or_saveexec_b32 s30, s30
	v_mov_b32_e32 v36, s17
	s_xor_b32 exec_lo, exec_lo, s30
	s_cbranch_execnz .LBB6_10468
.LBB6_9517:                             ;   in Loop: Header=BB6_8078 Depth=3
	s_or_b32 exec_lo, exec_lo, s30
	s_and_saveexec_b32 s17, s13
	s_cbranch_execz .LBB6_9519
.LBB6_9518:                             ;   in Loop: Header=BB6_8078 Depth=3
	v_and_b32_e32 v36, 0xffff, v27
	v_lshlrev_b32_e32 v27, 24, v27
	s_delay_alu instid0(VALU_DEP_2) | instskip(NEXT) | instid1(VALU_DEP_2)
	v_and_b32_e32 v37, 3, v36
	v_and_b32_e32 v27, 0x80000000, v27
	s_delay_alu instid0(VALU_DEP_2) | instskip(NEXT) | instid1(VALU_DEP_1)
	v_clz_i32_u32_e32 v38, v37
	v_min_u32_e32 v38, 32, v38
	s_delay_alu instid0(VALU_DEP_1) | instskip(SKIP_1) | instid1(VALU_DEP_2)
	v_subrev_nc_u32_e32 v39, 29, v38
	v_sub_nc_u32_e32 v38, 30, v38
	v_lshlrev_b32_e32 v39, v39, v36
	v_bfe_u32 v36, v36, 2, 5
	s_delay_alu instid0(VALU_DEP_2) | instskip(NEXT) | instid1(VALU_DEP_2)
	v_and_b32_e32 v39, 3, v39
	v_cmp_eq_u32_e32 vcc_lo, 0, v36
	s_delay_alu instid0(VALU_DEP_2) | instskip(NEXT) | instid1(VALU_DEP_1)
	v_dual_cndmask_b32 v36, v36, v38 :: v_dual_cndmask_b32 v37, v37, v39
	v_lshl_add_u32 v36, v36, 23, 0x37800000
	s_delay_alu instid0(VALU_DEP_2) | instskip(NEXT) | instid1(VALU_DEP_1)
	v_lshlrev_b32_e32 v37, 21, v37
	v_or3_b32 v36, v27, v36, v37
.LBB6_9519:                             ;   in Loop: Header=BB6_8078 Depth=3
	s_or_b32 exec_lo, exec_lo, s17
	s_delay_alu instid0(VALU_DEP_1) | instskip(SKIP_2) | instid1(VALU_DEP_2)
	v_add_f32_e32 v26, v26, v36
	v_mov_b32_e32 v60, 0x80
	s_mov_b32 s17, exec_lo
	v_and_b32_e32 v27, 0x7f800000, v26
	s_delay_alu instid0(VALU_DEP_1)
	v_cmpx_ne_u32_e32 0x7f800000, v27
	s_cbranch_execz .LBB6_9527
; %bb.9520:                             ;   in Loop: Header=BB6_8078 Depth=3
	v_mov_b32_e32 v60, 0
	s_mov_b32 s30, exec_lo
	v_cmpx_ne_u32_e32 0, v26
	s_cbranch_execz .LBB6_9526
; %bb.9521:                             ;   in Loop: Header=BB6_8078 Depth=3
	v_bfe_u32 v27, v26, 23, 8
	s_delay_alu instid0(VALU_DEP_1) | instskip(SKIP_1) | instid1(VALU_DEP_2)
	v_sub_nc_u32_e32 v37, 0x70, v27
	v_cmp_gt_u32_e32 vcc_lo, 0x71, v27
	v_dual_cndmask_b32 v37, 0, v37 :: v_dual_and_b32 v36, 0x7fffff, v26
	s_delay_alu instid0(VALU_DEP_1) | instskip(SKIP_2) | instid1(VALU_DEP_4)
	v_or_b32_e32 v38, 0x800000, v36
	v_cmp_eq_u32_e32 vcc_lo, 0, v27
	v_add_nc_u32_e32 v27, 0xffffff91, v27
	v_cndmask_b32_e64 v37, v37, 0x6f, vcc_lo
	s_delay_alu instid0(VALU_DEP_4) | instskip(NEXT) | instid1(VALU_DEP_3)
	v_cndmask_b32_e32 v36, v38, v36, vcc_lo
	v_cndmask_b32_e64 v27, v27, 0xffffff92, vcc_lo
	s_delay_alu instid0(VALU_DEP_3) | instskip(NEXT) | instid1(VALU_DEP_3)
	v_lshl_add_u32 v38, 0x200000, v37, -1
	v_lshrrev_b32_e32 v39, v37, v36
	v_lshlrev_b32_e64 v49, v37, 0x100000
	s_delay_alu instid0(VALU_DEP_4) | instskip(NEXT) | instid1(VALU_DEP_4)
	v_add_nc_u32_e32 v37, v37, v27
	v_and_b32_e32 v36, v38, v36
	s_delay_alu instid0(VALU_DEP_4) | instskip(NEXT) | instid1(VALU_DEP_2)
	v_bfe_u32 v48, v39, 21, 1
	v_cmp_eq_u32_e64 s13, v36, v49
	s_delay_alu instid0(VALU_DEP_2) | instskip(NEXT) | instid1(VALU_DEP_1)
	v_add_nc_u32_e32 v38, -1, v48
	v_cndmask_b32_e64 v36, 0, v38, s13
	v_lshrrev_b32_e32 v38, 23, v39
	s_mov_b32 s13, exec_lo
	s_delay_alu instid0(VALU_DEP_2) | instskip(NEXT) | instid1(VALU_DEP_2)
	v_add_nc_u32_e32 v36, v36, v39
	v_xor_b32_e32 v38, 1, v38
	s_delay_alu instid0(VALU_DEP_2) | instskip(NEXT) | instid1(VALU_DEP_1)
	v_and_b32_e32 v27, 0x1fffff, v36
	v_add_nc_u32_e32 v36, v27, v39
                                        ; implicit-def: $vgpr27
	s_delay_alu instid0(VALU_DEP_3)
	v_cmpx_ne_u32_e64 v37, v38
	s_xor_b32 s13, exec_lo, s13
; %bb.9522:                             ;   in Loop: Header=BB6_8078 Depth=3
	s_delay_alu instid0(VALU_DEP_2) | instskip(SKIP_2) | instid1(VALU_DEP_2)
	v_cmp_lt_u32_e32 vcc_lo, 0xffffff, v36
	v_sub_nc_u32_e32 v27, v37, v38
	v_cndmask_b32_e64 v37, 0, 1, vcc_lo
	v_add_co_ci_u32_e32 v27, vcc_lo, 0, v27, vcc_lo
	s_delay_alu instid0(VALU_DEP_2)
	v_lshrrev_b32_e32 v36, v37, v36
; %bb.9523:                             ;   in Loop: Header=BB6_8078 Depth=3
	s_and_not1_saveexec_b32 s13, s13
; %bb.9524:                             ;   in Loop: Header=BB6_8078 Depth=3
	s_delay_alu instid0(VALU_DEP_1)
	v_bfe_u32 v27, v36, 23, 1
; %bb.9525:                             ;   in Loop: Header=BB6_8078 Depth=3
	s_or_b32 exec_lo, exec_lo, s13
	v_lshrrev_b32_e32 v36, 21, v36
	s_delay_alu instid0(VALU_DEP_2) | instskip(SKIP_2) | instid1(VALU_DEP_4)
	v_cmp_gt_i32_e32 vcc_lo, 32, v27
	v_lshrrev_b32_e32 v26, 24, v26
	v_min_i32_e32 v37, 31, v27
	v_cndmask_b32_e32 v36, 3, v36, vcc_lo
	s_delay_alu instid0(VALU_DEP_3) | instskip(NEXT) | instid1(VALU_DEP_3)
	v_and_b32_e32 v26, 0x80, v26
	v_lshlrev_b32_e32 v37, 2, v37
	s_delay_alu instid0(VALU_DEP_3) | instskip(SKIP_1) | instid1(VALU_DEP_2)
	v_and_b32_e32 v38, 3, v36
	v_or_b32_e32 v27, v27, v36
	v_or3_b32 v26, v37, v26, v38
	s_delay_alu instid0(VALU_DEP_2) | instskip(NEXT) | instid1(VALU_DEP_2)
	v_cmp_ne_u32_e32 vcc_lo, 0, v27
	v_cndmask_b32_e32 v60, 0, v26, vcc_lo
.LBB6_9526:                             ;   in Loop: Header=BB6_8078 Depth=3
	s_or_b32 exec_lo, exec_lo, s30
.LBB6_9527:                             ;   in Loop: Header=BB6_8078 Depth=3
	s_delay_alu instid0(SALU_CYCLE_1) | instskip(SKIP_3) | instid1(VALU_DEP_1)
	s_or_b32 exec_lo, exec_lo, s17
	v_and_b32_e32 v27, 0xff, v59
	s_mov_b32 s13, 0
	s_mov_b32 s30, exec_lo
                                        ; implicit-def: $sgpr17
	v_cmpx_lt_i16_e32 0x7f, v27
	s_xor_b32 s30, exec_lo, s30
	s_cbranch_execnz .LBB6_10469
; %bb.9528:                             ;   in Loop: Header=BB6_8078 Depth=3
	s_or_saveexec_b32 s30, s30
	v_mov_b32_e32 v26, s17
	s_xor_b32 exec_lo, exec_lo, s30
	s_cbranch_execnz .LBB6_10472
.LBB6_9529:                             ;   in Loop: Header=BB6_8078 Depth=3
	s_or_b32 exec_lo, exec_lo, s30
	s_and_saveexec_b32 s17, s13
	s_cbranch_execz .LBB6_9531
.LBB6_9530:                             ;   in Loop: Header=BB6_8078 Depth=3
	v_and_b32_e32 v26, 3, v59
	v_bfe_u32 v37, v59, 2, 5
	v_lshlrev_b32_e32 v38, 24, v59
	s_delay_alu instid0(VALU_DEP_3) | instskip(NEXT) | instid1(VALU_DEP_3)
	v_clz_i32_u32_e32 v27, v26
	v_cmp_eq_u32_e32 vcc_lo, 0, v37
	s_delay_alu instid0(VALU_DEP_2) | instskip(NEXT) | instid1(VALU_DEP_1)
	v_min_u32_e32 v27, 32, v27
	v_subrev_nc_u32_e32 v36, 29, v27
	v_sub_nc_u32_e32 v27, 30, v27
	s_delay_alu instid0(VALU_DEP_2) | instskip(NEXT) | instid1(VALU_DEP_1)
	v_lshlrev_b32_e32 v36, v36, v59
	v_dual_cndmask_b32 v27, v37, v27 :: v_dual_and_b32 v36, 3, v36
	s_delay_alu instid0(VALU_DEP_1) | instskip(NEXT) | instid1(VALU_DEP_2)
	v_lshl_add_u32 v27, v27, 23, 0x37800000
	v_cndmask_b32_e32 v26, v26, v36, vcc_lo
	v_and_b32_e32 v36, 0x80000000, v38
	s_delay_alu instid0(VALU_DEP_2) | instskip(NEXT) | instid1(VALU_DEP_1)
	v_lshlrev_b32_e32 v26, 21, v26
	v_or3_b32 v26, v36, v27, v26
.LBB6_9531:                             ;   in Loop: Header=BB6_8078 Depth=3
	s_or_b32 exec_lo, exec_lo, s17
	v_lshrrev_b32_e32 v27, 16, v14
	s_mov_b32 s13, 0
	s_mov_b32 s30, exec_lo
                                        ; implicit-def: $sgpr17
	s_delay_alu instid0(VALU_DEP_1) | instskip(NEXT) | instid1(VALU_DEP_1)
	v_and_b32_e32 v37, 0xff, v27
	v_cmpx_lt_i16_e32 0x7f, v37
	s_xor_b32 s30, exec_lo, s30
	s_cbranch_execnz .LBB6_10473
; %bb.9532:                             ;   in Loop: Header=BB6_8078 Depth=3
	s_or_saveexec_b32 s30, s30
	v_mov_b32_e32 v36, s17
	s_xor_b32 exec_lo, exec_lo, s30
	s_cbranch_execnz .LBB6_10476
.LBB6_9533:                             ;   in Loop: Header=BB6_8078 Depth=3
	s_or_b32 exec_lo, exec_lo, s30
	s_and_saveexec_b32 s17, s13
	s_cbranch_execz .LBB6_9535
.LBB6_9534:                             ;   in Loop: Header=BB6_8078 Depth=3
	v_bfe_u32 v36, v14, 16, 2
	v_lshlrev_b32_e32 v39, 8, v14
	s_delay_alu instid0(VALU_DEP_2) | instskip(NEXT) | instid1(VALU_DEP_1)
	v_clz_i32_u32_e32 v37, v36
	v_min_u32_e32 v37, 32, v37
	s_delay_alu instid0(VALU_DEP_1) | instskip(SKIP_1) | instid1(VALU_DEP_2)
	v_subrev_nc_u32_e32 v38, 29, v37
	v_sub_nc_u32_e32 v37, 30, v37
	v_lshlrev_b32_e32 v27, v38, v27
	v_bfe_u32 v38, v14, 18, 5
	s_delay_alu instid0(VALU_DEP_2) | instskip(NEXT) | instid1(VALU_DEP_2)
	v_and_b32_e32 v27, 3, v27
	v_cmp_eq_u32_e32 vcc_lo, 0, v38
	v_cndmask_b32_e32 v37, v38, v37, vcc_lo
	s_delay_alu instid0(VALU_DEP_3) | instskip(SKIP_1) | instid1(VALU_DEP_3)
	v_cndmask_b32_e32 v27, v36, v27, vcc_lo
	v_and_b32_e32 v36, 0x80000000, v39
	v_lshl_add_u32 v37, v37, 23, 0x37800000
	s_delay_alu instid0(VALU_DEP_3) | instskip(NEXT) | instid1(VALU_DEP_1)
	v_lshlrev_b32_e32 v27, 21, v27
	v_or3_b32 v36, v36, v37, v27
.LBB6_9535:                             ;   in Loop: Header=BB6_8078 Depth=3
	s_or_b32 exec_lo, exec_lo, s17
	s_delay_alu instid0(VALU_DEP_1) | instskip(SKIP_1) | instid1(VALU_DEP_1)
	v_dual_add_f32 v26, v26, v36 :: v_dual_mov_b32 v59, 0x80
	s_mov_b32 s17, exec_lo
	v_and_b32_e32 v27, 0x7f800000, v26
	s_delay_alu instid0(VALU_DEP_1)
	v_cmpx_ne_u32_e32 0x7f800000, v27
	s_cbranch_execz .LBB6_9543
; %bb.9536:                             ;   in Loop: Header=BB6_8078 Depth=3
	v_mov_b32_e32 v59, 0
	s_mov_b32 s30, exec_lo
	v_cmpx_ne_u32_e32 0, v26
	s_cbranch_execz .LBB6_9542
; %bb.9537:                             ;   in Loop: Header=BB6_8078 Depth=3
	v_bfe_u32 v27, v26, 23, 8
	s_delay_alu instid0(VALU_DEP_1) | instskip(SKIP_1) | instid1(VALU_DEP_2)
	v_sub_nc_u32_e32 v37, 0x70, v27
	v_cmp_gt_u32_e32 vcc_lo, 0x71, v27
	v_dual_cndmask_b32 v37, 0, v37 :: v_dual_and_b32 v36, 0x7fffff, v26
	s_delay_alu instid0(VALU_DEP_1) | instskip(SKIP_2) | instid1(VALU_DEP_4)
	v_or_b32_e32 v38, 0x800000, v36
	v_cmp_eq_u32_e32 vcc_lo, 0, v27
	v_add_nc_u32_e32 v27, 0xffffff91, v27
	v_cndmask_b32_e64 v37, v37, 0x6f, vcc_lo
	s_delay_alu instid0(VALU_DEP_4) | instskip(NEXT) | instid1(VALU_DEP_3)
	v_cndmask_b32_e32 v36, v38, v36, vcc_lo
	v_cndmask_b32_e64 v27, v27, 0xffffff92, vcc_lo
	s_delay_alu instid0(VALU_DEP_3) | instskip(NEXT) | instid1(VALU_DEP_3)
	v_lshl_add_u32 v38, 0x200000, v37, -1
	v_lshrrev_b32_e32 v39, v37, v36
	v_lshlrev_b32_e64 v49, v37, 0x100000
	s_delay_alu instid0(VALU_DEP_4) | instskip(NEXT) | instid1(VALU_DEP_4)
	v_add_nc_u32_e32 v37, v37, v27
	v_and_b32_e32 v36, v38, v36
	s_delay_alu instid0(VALU_DEP_4) | instskip(NEXT) | instid1(VALU_DEP_2)
	v_bfe_u32 v48, v39, 21, 1
	v_cmp_eq_u32_e64 s13, v36, v49
	s_delay_alu instid0(VALU_DEP_2) | instskip(NEXT) | instid1(VALU_DEP_1)
	v_add_nc_u32_e32 v38, -1, v48
	v_cndmask_b32_e64 v36, 0, v38, s13
	v_lshrrev_b32_e32 v38, 23, v39
	s_mov_b32 s13, exec_lo
	s_delay_alu instid0(VALU_DEP_2) | instskip(NEXT) | instid1(VALU_DEP_2)
	v_add_nc_u32_e32 v36, v36, v39
	v_xor_b32_e32 v38, 1, v38
	s_delay_alu instid0(VALU_DEP_2) | instskip(NEXT) | instid1(VALU_DEP_1)
	v_and_b32_e32 v27, 0x1fffff, v36
	v_add_nc_u32_e32 v36, v27, v39
                                        ; implicit-def: $vgpr27
	s_delay_alu instid0(VALU_DEP_3)
	v_cmpx_ne_u32_e64 v37, v38
	s_xor_b32 s13, exec_lo, s13
; %bb.9538:                             ;   in Loop: Header=BB6_8078 Depth=3
	s_delay_alu instid0(VALU_DEP_2) | instskip(SKIP_2) | instid1(VALU_DEP_2)
	v_cmp_lt_u32_e32 vcc_lo, 0xffffff, v36
	v_sub_nc_u32_e32 v27, v37, v38
	v_cndmask_b32_e64 v37, 0, 1, vcc_lo
	v_add_co_ci_u32_e32 v27, vcc_lo, 0, v27, vcc_lo
	s_delay_alu instid0(VALU_DEP_2)
	v_lshrrev_b32_e32 v36, v37, v36
; %bb.9539:                             ;   in Loop: Header=BB6_8078 Depth=3
	s_and_not1_saveexec_b32 s13, s13
; %bb.9540:                             ;   in Loop: Header=BB6_8078 Depth=3
	s_delay_alu instid0(VALU_DEP_1)
	v_bfe_u32 v27, v36, 23, 1
; %bb.9541:                             ;   in Loop: Header=BB6_8078 Depth=3
	s_or_b32 exec_lo, exec_lo, s13
	v_lshrrev_b32_e32 v36, 21, v36
	s_delay_alu instid0(VALU_DEP_2) | instskip(SKIP_2) | instid1(VALU_DEP_2)
	v_cmp_gt_i32_e32 vcc_lo, 32, v27
	v_min_i32_e32 v37, 31, v27
	v_lshrrev_b32_e32 v26, 24, v26
	v_dual_cndmask_b32 v36, 3, v36 :: v_dual_lshlrev_b32 v37, 2, v37
	s_delay_alu instid0(VALU_DEP_2) | instskip(NEXT) | instid1(VALU_DEP_2)
	v_and_b32_e32 v26, 0x80, v26
	v_or_b32_e32 v27, v27, v36
	s_delay_alu instid0(VALU_DEP_1) | instskip(SKIP_1) | instid1(VALU_DEP_1)
	v_cmp_ne_u32_e32 vcc_lo, 0, v27
	v_and_b32_e32 v38, 3, v36
	v_or3_b32 v26, v37, v26, v38
	s_delay_alu instid0(VALU_DEP_1)
	v_cndmask_b32_e32 v59, 0, v26, vcc_lo
.LBB6_9542:                             ;   in Loop: Header=BB6_8078 Depth=3
	s_or_b32 exec_lo, exec_lo, s30
.LBB6_9543:                             ;   in Loop: Header=BB6_8078 Depth=3
	s_delay_alu instid0(SALU_CYCLE_1) | instskip(SKIP_3) | instid1(VALU_DEP_1)
	s_or_b32 exec_lo, exec_lo, s17
	v_and_b32_e32 v27, 0xff, v56
	s_mov_b32 s13, 0
	s_mov_b32 s30, exec_lo
                                        ; implicit-def: $sgpr17
	v_cmpx_lt_i16_e32 0x7f, v27
	s_xor_b32 s30, exec_lo, s30
	s_cbranch_execnz .LBB6_10477
; %bb.9544:                             ;   in Loop: Header=BB6_8078 Depth=3
	s_or_saveexec_b32 s30, s30
	v_mov_b32_e32 v26, s17
	s_xor_b32 exec_lo, exec_lo, s30
	s_cbranch_execnz .LBB6_10480
.LBB6_9545:                             ;   in Loop: Header=BB6_8078 Depth=3
	s_or_b32 exec_lo, exec_lo, s30
	s_and_saveexec_b32 s17, s13
	s_cbranch_execz .LBB6_9547
.LBB6_9546:                             ;   in Loop: Header=BB6_8078 Depth=3
	v_lshlrev_b32_e32 v26, 8, v56
	s_delay_alu instid0(VALU_DEP_1) | instskip(SKIP_1) | instid1(VALU_DEP_2)
	v_and_b32_e32 v36, 0xff00, v26
	v_bfe_u32 v26, v26, 10, 5
	v_bfe_u32 v37, v36, 8, 2
	s_delay_alu instid0(VALU_DEP_2) | instskip(SKIP_1) | instid1(VALU_DEP_3)
	v_cmp_eq_u32_e32 vcc_lo, 0, v26
	v_lshlrev_b32_e32 v36, 16, v36
	v_clz_i32_u32_e32 v38, v37
	s_delay_alu instid0(VALU_DEP_2) | instskip(NEXT) | instid1(VALU_DEP_2)
	v_and_b32_e32 v36, 0x80000000, v36
	v_min_u32_e32 v38, 32, v38
	s_delay_alu instid0(VALU_DEP_1) | instskip(SKIP_1) | instid1(VALU_DEP_1)
	v_subrev_nc_u32_e32 v39, 29, v38
	v_sub_nc_u32_e32 v38, 30, v38
	v_dual_cndmask_b32 v26, v26, v38 :: v_dual_lshlrev_b32 v27, v39, v27
	s_delay_alu instid0(VALU_DEP_1) | instskip(NEXT) | instid1(VALU_DEP_2)
	v_and_b32_e32 v27, 3, v27
	v_lshl_add_u32 v26, v26, 23, 0x37800000
	s_delay_alu instid0(VALU_DEP_2) | instskip(NEXT) | instid1(VALU_DEP_1)
	v_cndmask_b32_e32 v27, v37, v27, vcc_lo
	v_lshlrev_b32_e32 v27, 21, v27
	s_delay_alu instid0(VALU_DEP_1)
	v_or3_b32 v26, v36, v26, v27
.LBB6_9547:                             ;   in Loop: Header=BB6_8078 Depth=3
	s_or_b32 exec_lo, exec_lo, s17
	v_lshrrev_b32_e32 v27, 24, v14
	s_mov_b32 s13, 0
	s_mov_b32 s30, exec_lo
                                        ; implicit-def: $sgpr17
	s_delay_alu instid0(VALU_DEP_1)
	v_cmpx_lt_i16_e32 0x7f, v27
	s_xor_b32 s30, exec_lo, s30
	s_cbranch_execnz .LBB6_10481
; %bb.9548:                             ;   in Loop: Header=BB6_8078 Depth=3
	s_or_saveexec_b32 s30, s30
	v_mov_b32_e32 v36, s17
	s_xor_b32 exec_lo, exec_lo, s30
	s_cbranch_execnz .LBB6_10484
.LBB6_9549:                             ;   in Loop: Header=BB6_8078 Depth=3
	s_or_b32 exec_lo, exec_lo, s30
	s_and_saveexec_b32 s17, s13
	s_cbranch_execz .LBB6_9551
.LBB6_9550:                             ;   in Loop: Header=BB6_8078 Depth=3
	v_bfe_u32 v36, v14, 24, 2
	s_delay_alu instid0(VALU_DEP_1) | instskip(NEXT) | instid1(VALU_DEP_1)
	v_clz_i32_u32_e32 v37, v36
	v_min_u32_e32 v37, 32, v37
	s_delay_alu instid0(VALU_DEP_1) | instskip(SKIP_1) | instid1(VALU_DEP_2)
	v_subrev_nc_u32_e32 v38, 29, v37
	v_sub_nc_u32_e32 v37, 30, v37
	v_lshlrev_b32_e32 v27, v38, v27
	v_bfe_u32 v38, v14, 26, 5
	v_and_b32_e32 v14, 0x80000000, v14
	s_delay_alu instid0(VALU_DEP_3) | instskip(NEXT) | instid1(VALU_DEP_3)
	v_and_b32_e32 v27, 3, v27
	v_cmp_eq_u32_e32 vcc_lo, 0, v38
	v_cndmask_b32_e32 v37, v38, v37, vcc_lo
	s_delay_alu instid0(VALU_DEP_3) | instskip(NEXT) | instid1(VALU_DEP_2)
	v_cndmask_b32_e32 v27, v36, v27, vcc_lo
	v_lshl_add_u32 v36, v37, 23, 0x37800000
	s_delay_alu instid0(VALU_DEP_2) | instskip(NEXT) | instid1(VALU_DEP_1)
	v_lshlrev_b32_e32 v27, 21, v27
	v_or3_b32 v36, v14, v36, v27
.LBB6_9551:                             ;   in Loop: Header=BB6_8078 Depth=3
	s_or_b32 exec_lo, exec_lo, s17
	s_delay_alu instid0(VALU_DEP_1) | instskip(NEXT) | instid1(VALU_DEP_1)
	v_add_f32_e32 v26, v26, v36
	v_and_b32_e32 v14, 0x7f800000, v26
	s_delay_alu instid0(VALU_DEP_1)
	v_cmp_ne_u32_e32 vcc_lo, 0x7f800000, v14
	v_mov_b32_e32 v14, 0x80
	s_and_saveexec_b32 s17, vcc_lo
	s_cbranch_execz .LBB6_9559
; %bb.9552:                             ;   in Loop: Header=BB6_8078 Depth=3
	v_mov_b32_e32 v14, 0
	s_mov_b32 s30, exec_lo
	v_cmpx_ne_u32_e32 0, v26
	s_cbranch_execz .LBB6_9558
; %bb.9553:                             ;   in Loop: Header=BB6_8078 Depth=3
	v_bfe_u32 v14, v26, 23, 8
	s_delay_alu instid0(VALU_DEP_1) | instskip(SKIP_1) | instid1(VALU_DEP_2)
	v_sub_nc_u32_e32 v36, 0x70, v14
	v_cmp_gt_u32_e32 vcc_lo, 0x71, v14
	v_dual_cndmask_b32 v36, 0, v36 :: v_dual_and_b32 v27, 0x7fffff, v26
	s_delay_alu instid0(VALU_DEP_1) | instskip(SKIP_2) | instid1(VALU_DEP_4)
	v_or_b32_e32 v37, 0x800000, v27
	v_cmp_eq_u32_e32 vcc_lo, 0, v14
	v_add_nc_u32_e32 v14, 0xffffff91, v14
	v_cndmask_b32_e64 v36, v36, 0x6f, vcc_lo
	s_delay_alu instid0(VALU_DEP_4) | instskip(NEXT) | instid1(VALU_DEP_3)
	v_cndmask_b32_e32 v27, v37, v27, vcc_lo
	v_cndmask_b32_e64 v14, v14, 0xffffff92, vcc_lo
	s_delay_alu instid0(VALU_DEP_3) | instskip(NEXT) | instid1(VALU_DEP_3)
	v_lshl_add_u32 v37, 0x200000, v36, -1
	v_lshrrev_b32_e32 v38, v36, v27
	v_lshlrev_b32_e64 v48, v36, 0x100000
	s_delay_alu instid0(VALU_DEP_4) | instskip(NEXT) | instid1(VALU_DEP_4)
	v_add_nc_u32_e32 v36, v36, v14
	v_and_b32_e32 v27, v37, v27
	s_delay_alu instid0(VALU_DEP_4) | instskip(NEXT) | instid1(VALU_DEP_2)
	v_bfe_u32 v39, v38, 21, 1
	v_cmp_eq_u32_e64 s13, v27, v48
	s_delay_alu instid0(VALU_DEP_2) | instskip(NEXT) | instid1(VALU_DEP_1)
	v_add_nc_u32_e32 v37, -1, v39
	v_cndmask_b32_e64 v27, 0, v37, s13
	v_lshrrev_b32_e32 v37, 23, v38
	s_mov_b32 s13, exec_lo
	s_delay_alu instid0(VALU_DEP_2) | instskip(NEXT) | instid1(VALU_DEP_2)
	v_add_nc_u32_e32 v27, v27, v38
	v_xor_b32_e32 v37, 1, v37
	s_delay_alu instid0(VALU_DEP_2) | instskip(NEXT) | instid1(VALU_DEP_1)
	v_and_b32_e32 v14, 0x1fffff, v27
	v_add_nc_u32_e32 v27, v14, v38
                                        ; implicit-def: $vgpr14
	s_delay_alu instid0(VALU_DEP_3)
	v_cmpx_ne_u32_e64 v36, v37
	s_xor_b32 s13, exec_lo, s13
; %bb.9554:                             ;   in Loop: Header=BB6_8078 Depth=3
	s_delay_alu instid0(VALU_DEP_2) | instskip(SKIP_2) | instid1(VALU_DEP_2)
	v_cmp_lt_u32_e32 vcc_lo, 0xffffff, v27
	v_sub_nc_u32_e32 v14, v36, v37
	v_cndmask_b32_e64 v36, 0, 1, vcc_lo
	v_add_co_ci_u32_e32 v14, vcc_lo, 0, v14, vcc_lo
	s_delay_alu instid0(VALU_DEP_2)
	v_lshrrev_b32_e32 v27, v36, v27
; %bb.9555:                             ;   in Loop: Header=BB6_8078 Depth=3
	s_and_not1_saveexec_b32 s13, s13
; %bb.9556:                             ;   in Loop: Header=BB6_8078 Depth=3
	s_delay_alu instid0(VALU_DEP_1)
	v_bfe_u32 v14, v27, 23, 1
; %bb.9557:                             ;   in Loop: Header=BB6_8078 Depth=3
	s_or_b32 exec_lo, exec_lo, s13
	v_lshrrev_b32_e32 v27, 21, v27
	s_delay_alu instid0(VALU_DEP_2) | instskip(SKIP_2) | instid1(VALU_DEP_2)
	v_cmp_gt_i32_e32 vcc_lo, 32, v14
	v_lshrrev_b32_e32 v26, 24, v26
	v_min_i32_e32 v36, 31, v14
	v_dual_cndmask_b32 v27, 3, v27 :: v_dual_and_b32 v26, 0x80, v26
	s_delay_alu instid0(VALU_DEP_2) | instskip(NEXT) | instid1(VALU_DEP_2)
	v_lshlrev_b32_e32 v36, 2, v36
	v_or_b32_e32 v14, v14, v27
	s_delay_alu instid0(VALU_DEP_1) | instskip(SKIP_1) | instid1(VALU_DEP_1)
	v_cmp_ne_u32_e32 vcc_lo, 0, v14
	v_and_b32_e32 v37, 3, v27
	v_or3_b32 v26, v36, v26, v37
	s_delay_alu instid0(VALU_DEP_1)
	v_cndmask_b32_e32 v14, 0, v26, vcc_lo
.LBB6_9558:                             ;   in Loop: Header=BB6_8078 Depth=3
	s_or_b32 exec_lo, exec_lo, s30
.LBB6_9559:                             ;   in Loop: Header=BB6_8078 Depth=3
	s_delay_alu instid0(SALU_CYCLE_1) | instskip(SKIP_3) | instid1(VALU_DEP_1)
	s_or_b32 exec_lo, exec_lo, s17
	v_or_b32_e32 v26, v61, v47
	s_mov_b32 s13, 0
	s_mov_b32 s30, exec_lo
                                        ; implicit-def: $sgpr17
	v_and_b32_e32 v36, 0xff, v26
	s_delay_alu instid0(VALU_DEP_1)
	v_cmpx_lt_i16_e32 0x7f, v36
	s_xor_b32 s30, exec_lo, s30
	s_cbranch_execnz .LBB6_10485
; %bb.9560:                             ;   in Loop: Header=BB6_8078 Depth=3
	s_or_saveexec_b32 s30, s30
	v_mov_b32_e32 v27, s17
	s_xor_b32 exec_lo, exec_lo, s30
	s_cbranch_execnz .LBB6_10488
.LBB6_9561:                             ;   in Loop: Header=BB6_8078 Depth=3
	s_or_b32 exec_lo, exec_lo, s30
	s_and_saveexec_b32 s17, s13
	s_cbranch_execz .LBB6_9563
.LBB6_9562:                             ;   in Loop: Header=BB6_8078 Depth=3
	v_bfe_u32 v38, v26, 2, 5
	v_lshlrev_b32_e32 v39, 24, v26
	s_delay_alu instid0(VALU_DEP_2) | instskip(SKIP_1) | instid1(VALU_DEP_1)
	v_cmp_eq_u32_e32 vcc_lo, 0, v38
	v_and_b32_e32 v27, 3, v26
	v_clz_i32_u32_e32 v36, v27
	s_delay_alu instid0(VALU_DEP_1) | instskip(NEXT) | instid1(VALU_DEP_1)
	v_min_u32_e32 v36, 32, v36
	v_subrev_nc_u32_e32 v37, 29, v36
	v_sub_nc_u32_e32 v36, 30, v36
	s_delay_alu instid0(VALU_DEP_1) | instskip(NEXT) | instid1(VALU_DEP_1)
	v_dual_cndmask_b32 v36, v38, v36 :: v_dual_lshlrev_b32 v37, v37, v26
	v_and_b32_e32 v37, 3, v37
	s_delay_alu instid0(VALU_DEP_2) | instskip(NEXT) | instid1(VALU_DEP_2)
	v_lshl_add_u32 v36, v36, 23, 0x37800000
	v_cndmask_b32_e32 v27, v27, v37, vcc_lo
	v_and_b32_e32 v37, 0x80000000, v39
	s_delay_alu instid0(VALU_DEP_2) | instskip(NEXT) | instid1(VALU_DEP_1)
	v_lshlrev_b32_e32 v27, 21, v27
	v_or3_b32 v27, v37, v36, v27
.LBB6_9563:                             ;   in Loop: Header=BB6_8078 Depth=3
	s_or_b32 exec_lo, exec_lo, s17
	v_and_b32_e32 v37, 0xff, v15
	s_mov_b32 s13, 0
	s_mov_b32 s30, exec_lo
                                        ; implicit-def: $sgpr17
	s_delay_alu instid0(VALU_DEP_1)
	v_cmpx_lt_i16_e32 0x7f, v37
	s_xor_b32 s30, exec_lo, s30
	s_cbranch_execnz .LBB6_10489
; %bb.9564:                             ;   in Loop: Header=BB6_8078 Depth=3
	s_or_saveexec_b32 s30, s30
	v_mov_b32_e32 v36, s17
	s_xor_b32 exec_lo, exec_lo, s30
	s_cbranch_execnz .LBB6_10492
.LBB6_9565:                             ;   in Loop: Header=BB6_8078 Depth=3
	s_or_b32 exec_lo, exec_lo, s30
	s_and_saveexec_b32 s17, s13
	s_cbranch_execz .LBB6_9567
.LBB6_9566:                             ;   in Loop: Header=BB6_8078 Depth=3
	v_bfe_u32 v39, v15, 2, 5
	v_lshlrev_b32_e32 v48, 24, v15
	s_delay_alu instid0(VALU_DEP_2) | instskip(SKIP_1) | instid1(VALU_DEP_1)
	v_cmp_eq_u32_e32 vcc_lo, 0, v39
	v_and_b32_e32 v36, 3, v15
	v_clz_i32_u32_e32 v37, v36
	s_delay_alu instid0(VALU_DEP_1) | instskip(NEXT) | instid1(VALU_DEP_1)
	v_min_u32_e32 v37, 32, v37
	v_subrev_nc_u32_e32 v38, 29, v37
	v_sub_nc_u32_e32 v37, 30, v37
	s_delay_alu instid0(VALU_DEP_1) | instskip(NEXT) | instid1(VALU_DEP_1)
	v_dual_cndmask_b32 v37, v39, v37 :: v_dual_lshlrev_b32 v38, v38, v15
	v_and_b32_e32 v38, 3, v38
	s_delay_alu instid0(VALU_DEP_2) | instskip(NEXT) | instid1(VALU_DEP_2)
	v_lshl_add_u32 v37, v37, 23, 0x37800000
	v_cndmask_b32_e32 v36, v36, v38, vcc_lo
	v_and_b32_e32 v38, 0x80000000, v48
	s_delay_alu instid0(VALU_DEP_2) | instskip(NEXT) | instid1(VALU_DEP_1)
	v_lshlrev_b32_e32 v36, 21, v36
	v_or3_b32 v36, v38, v37, v36
.LBB6_9567:                             ;   in Loop: Header=BB6_8078 Depth=3
	s_or_b32 exec_lo, exec_lo, s17
	s_delay_alu instid0(VALU_DEP_1) | instskip(SKIP_1) | instid1(VALU_DEP_1)
	v_dual_add_f32 v27, v27, v36 :: v_dual_mov_b32 v96, 0x80
	s_mov_b32 s17, exec_lo
	v_and_b32_e32 v36, 0x7f800000, v27
	s_delay_alu instid0(VALU_DEP_1)
	v_cmpx_ne_u32_e32 0x7f800000, v36
	s_cbranch_execz .LBB6_9575
; %bb.9568:                             ;   in Loop: Header=BB6_8078 Depth=3
	v_mov_b32_e32 v96, 0
	s_mov_b32 s30, exec_lo
	v_cmpx_ne_u32_e32 0, v27
	s_cbranch_execz .LBB6_9574
; %bb.9569:                             ;   in Loop: Header=BB6_8078 Depth=3
	v_bfe_u32 v36, v27, 23, 8
	s_delay_alu instid0(VALU_DEP_1) | instskip(SKIP_1) | instid1(VALU_DEP_2)
	v_sub_nc_u32_e32 v38, 0x70, v36
	v_cmp_gt_u32_e32 vcc_lo, 0x71, v36
	v_dual_cndmask_b32 v38, 0, v38 :: v_dual_and_b32 v37, 0x7fffff, v27
	s_delay_alu instid0(VALU_DEP_1) | instskip(SKIP_2) | instid1(VALU_DEP_4)
	v_or_b32_e32 v39, 0x800000, v37
	v_cmp_eq_u32_e32 vcc_lo, 0, v36
	v_add_nc_u32_e32 v36, 0xffffff91, v36
	v_cndmask_b32_e64 v38, v38, 0x6f, vcc_lo
	s_delay_alu instid0(VALU_DEP_4) | instskip(NEXT) | instid1(VALU_DEP_3)
	v_cndmask_b32_e32 v37, v39, v37, vcc_lo
	v_cndmask_b32_e64 v36, v36, 0xffffff92, vcc_lo
	s_delay_alu instid0(VALU_DEP_3) | instskip(NEXT) | instid1(VALU_DEP_3)
	v_lshl_add_u32 v39, 0x200000, v38, -1
	v_lshrrev_b32_e32 v48, v38, v37
	v_lshlrev_b32_e64 v50, v38, 0x100000
	s_delay_alu instid0(VALU_DEP_4) | instskip(NEXT) | instid1(VALU_DEP_4)
	v_add_nc_u32_e32 v38, v38, v36
	v_and_b32_e32 v37, v39, v37
	s_delay_alu instid0(VALU_DEP_4) | instskip(NEXT) | instid1(VALU_DEP_2)
	v_bfe_u32 v49, v48, 21, 1
	v_cmp_eq_u32_e64 s13, v37, v50
	s_delay_alu instid0(VALU_DEP_2) | instskip(NEXT) | instid1(VALU_DEP_1)
	v_add_nc_u32_e32 v39, -1, v49
	v_cndmask_b32_e64 v37, 0, v39, s13
	v_lshrrev_b32_e32 v39, 23, v48
	s_mov_b32 s13, exec_lo
	s_delay_alu instid0(VALU_DEP_2) | instskip(NEXT) | instid1(VALU_DEP_2)
	v_add_nc_u32_e32 v37, v37, v48
	v_xor_b32_e32 v39, 1, v39
	s_delay_alu instid0(VALU_DEP_2) | instskip(NEXT) | instid1(VALU_DEP_1)
	v_and_b32_e32 v36, 0x1fffff, v37
	v_add_nc_u32_e32 v37, v36, v48
                                        ; implicit-def: $vgpr36
	s_delay_alu instid0(VALU_DEP_3)
	v_cmpx_ne_u32_e64 v38, v39
	s_xor_b32 s13, exec_lo, s13
; %bb.9570:                             ;   in Loop: Header=BB6_8078 Depth=3
	s_delay_alu instid0(VALU_DEP_2) | instskip(SKIP_2) | instid1(VALU_DEP_2)
	v_cmp_lt_u32_e32 vcc_lo, 0xffffff, v37
	v_sub_nc_u32_e32 v36, v38, v39
	v_cndmask_b32_e64 v38, 0, 1, vcc_lo
	v_add_co_ci_u32_e32 v36, vcc_lo, 0, v36, vcc_lo
	s_delay_alu instid0(VALU_DEP_2)
	v_lshrrev_b32_e32 v37, v38, v37
; %bb.9571:                             ;   in Loop: Header=BB6_8078 Depth=3
	s_and_not1_saveexec_b32 s13, s13
; %bb.9572:                             ;   in Loop: Header=BB6_8078 Depth=3
	s_delay_alu instid0(VALU_DEP_1)
	v_bfe_u32 v36, v37, 23, 1
; %bb.9573:                             ;   in Loop: Header=BB6_8078 Depth=3
	s_or_b32 exec_lo, exec_lo, s13
	v_lshrrev_b32_e32 v37, 21, v37
	s_delay_alu instid0(VALU_DEP_2) | instskip(SKIP_2) | instid1(VALU_DEP_2)
	v_cmp_gt_i32_e32 vcc_lo, 32, v36
	v_min_i32_e32 v38, 31, v36
	v_lshrrev_b32_e32 v27, 24, v27
	v_dual_cndmask_b32 v37, 3, v37 :: v_dual_lshlrev_b32 v38, 2, v38
	s_delay_alu instid0(VALU_DEP_2) | instskip(NEXT) | instid1(VALU_DEP_2)
	v_and_b32_e32 v27, 0x80, v27
	v_or_b32_e32 v36, v36, v37
	s_delay_alu instid0(VALU_DEP_1) | instskip(SKIP_1) | instid1(VALU_DEP_1)
	v_cmp_ne_u32_e32 vcc_lo, 0, v36
	v_and_b32_e32 v39, 3, v37
	v_or3_b32 v27, v38, v27, v39
	s_delay_alu instid0(VALU_DEP_1)
	v_cndmask_b32_e32 v96, 0, v27, vcc_lo
.LBB6_9574:                             ;   in Loop: Header=BB6_8078 Depth=3
	s_or_b32 exec_lo, exec_lo, s30
.LBB6_9575:                             ;   in Loop: Header=BB6_8078 Depth=3
	s_delay_alu instid0(SALU_CYCLE_1) | instskip(SKIP_3) | instid1(VALU_DEP_1)
	s_or_b32 exec_lo, exec_lo, s17
	v_lshrrev_b16 v36, 8, v26
	s_mov_b32 s13, 0
	s_mov_b32 s30, exec_lo
                                        ; implicit-def: $sgpr17
	v_cmpx_lt_i16_e32 0x7f, v36
	s_xor_b32 s30, exec_lo, s30
	s_cbranch_execnz .LBB6_10493
; %bb.9576:                             ;   in Loop: Header=BB6_8078 Depth=3
	s_or_saveexec_b32 s30, s30
	v_mov_b32_e32 v27, s17
	s_xor_b32 exec_lo, exec_lo, s30
	s_cbranch_execnz .LBB6_10496
.LBB6_9577:                             ;   in Loop: Header=BB6_8078 Depth=3
	s_or_b32 exec_lo, exec_lo, s30
	s_and_saveexec_b32 s17, s13
	s_cbranch_execz .LBB6_9579
.LBB6_9578:                             ;   in Loop: Header=BB6_8078 Depth=3
	v_and_b32_e32 v27, 0xffff, v36
	s_delay_alu instid0(VALU_DEP_1) | instskip(NEXT) | instid1(VALU_DEP_1)
	v_and_b32_e32 v37, 3, v27
	v_clz_i32_u32_e32 v38, v37
	s_delay_alu instid0(VALU_DEP_1) | instskip(NEXT) | instid1(VALU_DEP_1)
	v_min_u32_e32 v38, 32, v38
	v_subrev_nc_u32_e32 v39, 29, v38
	v_sub_nc_u32_e32 v38, 30, v38
	s_delay_alu instid0(VALU_DEP_2) | instskip(SKIP_1) | instid1(VALU_DEP_2)
	v_lshlrev_b32_e32 v39, v39, v27
	v_bfe_u32 v27, v27, 2, 5
	v_and_b32_e32 v39, 3, v39
	s_delay_alu instid0(VALU_DEP_2) | instskip(SKIP_1) | instid1(VALU_DEP_1)
	v_cmp_eq_u32_e32 vcc_lo, 0, v27
	v_dual_cndmask_b32 v27, v27, v38 :: v_dual_lshlrev_b32 v36, 24, v36
	v_dual_cndmask_b32 v37, v37, v39 :: v_dual_and_b32 v36, 0x80000000, v36
	s_delay_alu instid0(VALU_DEP_2) | instskip(NEXT) | instid1(VALU_DEP_2)
	v_lshl_add_u32 v27, v27, 23, 0x37800000
	v_lshlrev_b32_e32 v37, 21, v37
	s_delay_alu instid0(VALU_DEP_1)
	v_or3_b32 v27, v36, v27, v37
.LBB6_9579:                             ;   in Loop: Header=BB6_8078 Depth=3
	s_or_b32 exec_lo, exec_lo, s17
	v_lshrrev_b16 v36, 8, v15
	s_mov_b32 s13, 0
	s_mov_b32 s30, exec_lo
                                        ; implicit-def: $sgpr17
	s_delay_alu instid0(VALU_DEP_1)
	v_cmpx_lt_i16_e32 0x7f, v36
	s_xor_b32 s30, exec_lo, s30
	s_cbranch_execnz .LBB6_10497
; %bb.9580:                             ;   in Loop: Header=BB6_8078 Depth=3
	s_or_saveexec_b32 s30, s30
	v_mov_b32_e32 v37, s17
	s_xor_b32 exec_lo, exec_lo, s30
	s_cbranch_execnz .LBB6_10500
.LBB6_9581:                             ;   in Loop: Header=BB6_8078 Depth=3
	s_or_b32 exec_lo, exec_lo, s30
	s_and_saveexec_b32 s17, s13
	s_cbranch_execz .LBB6_9583
.LBB6_9582:                             ;   in Loop: Header=BB6_8078 Depth=3
	v_and_b32_e32 v37, 0xffff, v36
	v_lshlrev_b32_e32 v36, 24, v36
	s_delay_alu instid0(VALU_DEP_2) | instskip(NEXT) | instid1(VALU_DEP_2)
	v_and_b32_e32 v38, 3, v37
	v_and_b32_e32 v36, 0x80000000, v36
	s_delay_alu instid0(VALU_DEP_2) | instskip(NEXT) | instid1(VALU_DEP_1)
	v_clz_i32_u32_e32 v39, v38
	v_min_u32_e32 v39, 32, v39
	s_delay_alu instid0(VALU_DEP_1) | instskip(SKIP_1) | instid1(VALU_DEP_2)
	v_subrev_nc_u32_e32 v48, 29, v39
	v_sub_nc_u32_e32 v39, 30, v39
	v_lshlrev_b32_e32 v48, v48, v37
	v_bfe_u32 v37, v37, 2, 5
	s_delay_alu instid0(VALU_DEP_2) | instskip(NEXT) | instid1(VALU_DEP_2)
	v_and_b32_e32 v48, 3, v48
	v_cmp_eq_u32_e32 vcc_lo, 0, v37
	s_delay_alu instid0(VALU_DEP_2) | instskip(NEXT) | instid1(VALU_DEP_1)
	v_dual_cndmask_b32 v37, v37, v39 :: v_dual_cndmask_b32 v38, v38, v48
	v_lshl_add_u32 v37, v37, 23, 0x37800000
	s_delay_alu instid0(VALU_DEP_2) | instskip(NEXT) | instid1(VALU_DEP_1)
	v_lshlrev_b32_e32 v38, 21, v38
	v_or3_b32 v37, v36, v37, v38
.LBB6_9583:                             ;   in Loop: Header=BB6_8078 Depth=3
	s_or_b32 exec_lo, exec_lo, s17
	s_delay_alu instid0(VALU_DEP_1) | instskip(SKIP_2) | instid1(VALU_DEP_2)
	v_add_f32_e32 v27, v27, v37
	v_mov_b32_e32 v133, 0x8000
	s_mov_b32 s17, exec_lo
	v_and_b32_e32 v36, 0x7f800000, v27
	s_delay_alu instid0(VALU_DEP_1)
	v_cmpx_ne_u32_e32 0x7f800000, v36
	s_cbranch_execz .LBB6_9591
; %bb.9584:                             ;   in Loop: Header=BB6_8078 Depth=3
	v_mov_b32_e32 v133, 0
	s_mov_b32 s30, exec_lo
	v_cmpx_ne_u32_e32 0, v27
	s_cbranch_execz .LBB6_9590
; %bb.9585:                             ;   in Loop: Header=BB6_8078 Depth=3
	v_bfe_u32 v36, v27, 23, 8
	s_delay_alu instid0(VALU_DEP_1) | instskip(SKIP_1) | instid1(VALU_DEP_2)
	v_sub_nc_u32_e32 v38, 0x70, v36
	v_cmp_gt_u32_e32 vcc_lo, 0x71, v36
	v_dual_cndmask_b32 v38, 0, v38 :: v_dual_and_b32 v37, 0x7fffff, v27
	s_delay_alu instid0(VALU_DEP_1) | instskip(SKIP_2) | instid1(VALU_DEP_4)
	v_or_b32_e32 v39, 0x800000, v37
	v_cmp_eq_u32_e32 vcc_lo, 0, v36
	v_add_nc_u32_e32 v36, 0xffffff91, v36
	v_cndmask_b32_e64 v38, v38, 0x6f, vcc_lo
	s_delay_alu instid0(VALU_DEP_4) | instskip(NEXT) | instid1(VALU_DEP_3)
	v_cndmask_b32_e32 v37, v39, v37, vcc_lo
	v_cndmask_b32_e64 v36, v36, 0xffffff92, vcc_lo
	s_delay_alu instid0(VALU_DEP_3) | instskip(NEXT) | instid1(VALU_DEP_3)
	v_lshl_add_u32 v39, 0x200000, v38, -1
	v_lshrrev_b32_e32 v48, v38, v37
	v_lshlrev_b32_e64 v50, v38, 0x100000
	s_delay_alu instid0(VALU_DEP_4) | instskip(NEXT) | instid1(VALU_DEP_4)
	v_add_nc_u32_e32 v38, v38, v36
	v_and_b32_e32 v37, v39, v37
	s_delay_alu instid0(VALU_DEP_4) | instskip(NEXT) | instid1(VALU_DEP_2)
	v_bfe_u32 v49, v48, 21, 1
	v_cmp_eq_u32_e64 s13, v37, v50
	s_delay_alu instid0(VALU_DEP_2) | instskip(NEXT) | instid1(VALU_DEP_1)
	v_add_nc_u32_e32 v39, -1, v49
	v_cndmask_b32_e64 v37, 0, v39, s13
	v_lshrrev_b32_e32 v39, 23, v48
	s_mov_b32 s13, exec_lo
	s_delay_alu instid0(VALU_DEP_2) | instskip(NEXT) | instid1(VALU_DEP_2)
	v_add_nc_u32_e32 v37, v37, v48
	v_xor_b32_e32 v39, 1, v39
	s_delay_alu instid0(VALU_DEP_2) | instskip(NEXT) | instid1(VALU_DEP_1)
	v_and_b32_e32 v36, 0x1fffff, v37
	v_add_nc_u32_e32 v37, v36, v48
                                        ; implicit-def: $vgpr36
	s_delay_alu instid0(VALU_DEP_3)
	v_cmpx_ne_u32_e64 v38, v39
	s_xor_b32 s13, exec_lo, s13
; %bb.9586:                             ;   in Loop: Header=BB6_8078 Depth=3
	s_delay_alu instid0(VALU_DEP_2) | instskip(SKIP_2) | instid1(VALU_DEP_2)
	v_cmp_lt_u32_e32 vcc_lo, 0xffffff, v37
	v_sub_nc_u32_e32 v36, v38, v39
	v_cndmask_b32_e64 v38, 0, 1, vcc_lo
	v_add_co_ci_u32_e32 v36, vcc_lo, 0, v36, vcc_lo
	s_delay_alu instid0(VALU_DEP_2)
	v_lshrrev_b32_e32 v37, v38, v37
; %bb.9587:                             ;   in Loop: Header=BB6_8078 Depth=3
	s_and_not1_saveexec_b32 s13, s13
; %bb.9588:                             ;   in Loop: Header=BB6_8078 Depth=3
	s_delay_alu instid0(VALU_DEP_1)
	v_bfe_u32 v36, v37, 23, 1
; %bb.9589:                             ;   in Loop: Header=BB6_8078 Depth=3
	s_or_b32 exec_lo, exec_lo, s13
	v_lshrrev_b32_e32 v37, 21, v37
	s_delay_alu instid0(VALU_DEP_2) | instskip(SKIP_2) | instid1(VALU_DEP_2)
	v_cmp_gt_i32_e32 vcc_lo, 32, v36
	v_min_i32_e32 v38, 31, v36
	v_lshrrev_b32_e32 v27, 24, v27
	v_dual_cndmask_b32 v37, 3, v37 :: v_dual_lshlrev_b32 v38, 2, v38
	s_delay_alu instid0(VALU_DEP_2) | instskip(NEXT) | instid1(VALU_DEP_2)
	v_and_b32_e32 v27, 0x80, v27
	v_or_b32_e32 v36, v36, v37
	v_and_b32_e32 v39, 3, v37
	s_delay_alu instid0(VALU_DEP_2) | instskip(SKIP_1) | instid1(VALU_DEP_1)
	v_cmp_ne_u32_e32 vcc_lo, 0, v36
	v_and_b32_e32 v38, 0xfc, v38
	v_or3_b32 v27, v27, v38, v39
	s_delay_alu instid0(VALU_DEP_1) | instskip(NEXT) | instid1(VALU_DEP_1)
	v_lshlrev_b32_e32 v27, 8, v27
	v_cndmask_b32_e32 v133, 0, v27, vcc_lo
.LBB6_9590:                             ;   in Loop: Header=BB6_8078 Depth=3
	s_or_b32 exec_lo, exec_lo, s30
.LBB6_9591:                             ;   in Loop: Header=BB6_8078 Depth=3
	s_delay_alu instid0(SALU_CYCLE_1) | instskip(SKIP_3) | instid1(VALU_DEP_1)
	s_or_b32 exec_lo, exec_lo, s17
	v_or_b32_e32 v36, v57, v55
	s_mov_b32 s13, 0
	s_mov_b32 s30, exec_lo
                                        ; implicit-def: $sgpr17
	v_and_b32_e32 v37, 0xff, v36
	s_delay_alu instid0(VALU_DEP_1)
	v_cmpx_lt_i16_e32 0x7f, v37
	s_xor_b32 s30, exec_lo, s30
	s_cbranch_execnz .LBB6_10501
; %bb.9592:                             ;   in Loop: Header=BB6_8078 Depth=3
	s_or_saveexec_b32 s30, s30
	v_mov_b32_e32 v27, s17
	s_xor_b32 exec_lo, exec_lo, s30
	s_cbranch_execnz .LBB6_10504
.LBB6_9593:                             ;   in Loop: Header=BB6_8078 Depth=3
	s_or_b32 exec_lo, exec_lo, s30
	v_lshl_or_b32 v26, v36, 16, v26
	s_and_saveexec_b32 s17, s13
	s_cbranch_execz .LBB6_9595
.LBB6_9594:                             ;   in Loop: Header=BB6_8078 Depth=3
	s_delay_alu instid0(VALU_DEP_1) | instskip(SKIP_2) | instid1(VALU_DEP_3)
	v_bfe_u32 v27, v26, 16, 2
	v_lshrrev_b32_e32 v37, 16, v26
	v_lshlrev_b32_e32 v39, 8, v26
	v_clz_i32_u32_e32 v36, v27
	s_delay_alu instid0(VALU_DEP_1) | instskip(NEXT) | instid1(VALU_DEP_1)
	v_min_u32_e32 v36, 32, v36
	v_subrev_nc_u32_e32 v38, 29, v36
	v_sub_nc_u32_e32 v36, 30, v36
	s_delay_alu instid0(VALU_DEP_2) | instskip(SKIP_1) | instid1(VALU_DEP_1)
	v_lshlrev_b32_e32 v37, v38, v37
	v_bfe_u32 v38, v26, 18, 5
	v_cmp_eq_u32_e32 vcc_lo, 0, v38
	s_delay_alu instid0(VALU_DEP_3) | instskip(NEXT) | instid1(VALU_DEP_1)
	v_dual_cndmask_b32 v36, v38, v36 :: v_dual_and_b32 v37, 3, v37
	v_cndmask_b32_e32 v27, v27, v37, vcc_lo
	v_and_b32_e32 v37, 0x80000000, v39
	s_delay_alu instid0(VALU_DEP_3) | instskip(NEXT) | instid1(VALU_DEP_3)
	v_lshl_add_u32 v36, v36, 23, 0x37800000
	v_lshlrev_b32_e32 v27, 21, v27
	s_delay_alu instid0(VALU_DEP_1)
	v_or3_b32 v27, v37, v36, v27
.LBB6_9595:                             ;   in Loop: Header=BB6_8078 Depth=3
	s_or_b32 exec_lo, exec_lo, s17
	v_lshrrev_b32_e32 v36, 16, v15
	s_mov_b32 s13, 0
	s_mov_b32 s30, exec_lo
                                        ; implicit-def: $sgpr17
	s_delay_alu instid0(VALU_DEP_1) | instskip(NEXT) | instid1(VALU_DEP_1)
	v_and_b32_e32 v38, 0xff, v36
	v_cmpx_lt_i16_e32 0x7f, v38
	s_xor_b32 s30, exec_lo, s30
	s_cbranch_execnz .LBB6_10505
; %bb.9596:                             ;   in Loop: Header=BB6_8078 Depth=3
	s_or_saveexec_b32 s30, s30
	v_mov_b32_e32 v37, s17
	s_xor_b32 exec_lo, exec_lo, s30
	s_cbranch_execnz .LBB6_10508
.LBB6_9597:                             ;   in Loop: Header=BB6_8078 Depth=3
	s_or_b32 exec_lo, exec_lo, s30
	s_and_saveexec_b32 s17, s13
	s_cbranch_execz .LBB6_9599
.LBB6_9598:                             ;   in Loop: Header=BB6_8078 Depth=3
	v_bfe_u32 v37, v15, 16, 2
	v_lshlrev_b32_e32 v48, 8, v15
	s_delay_alu instid0(VALU_DEP_2) | instskip(NEXT) | instid1(VALU_DEP_1)
	v_clz_i32_u32_e32 v38, v37
	v_min_u32_e32 v38, 32, v38
	s_delay_alu instid0(VALU_DEP_1) | instskip(SKIP_1) | instid1(VALU_DEP_2)
	v_subrev_nc_u32_e32 v39, 29, v38
	v_sub_nc_u32_e32 v38, 30, v38
	v_lshlrev_b32_e32 v36, v39, v36
	v_bfe_u32 v39, v15, 18, 5
	s_delay_alu instid0(VALU_DEP_2) | instskip(NEXT) | instid1(VALU_DEP_2)
	v_and_b32_e32 v36, 3, v36
	v_cmp_eq_u32_e32 vcc_lo, 0, v39
	v_cndmask_b32_e32 v38, v39, v38, vcc_lo
	s_delay_alu instid0(VALU_DEP_3) | instskip(SKIP_1) | instid1(VALU_DEP_3)
	v_cndmask_b32_e32 v36, v37, v36, vcc_lo
	v_and_b32_e32 v37, 0x80000000, v48
	v_lshl_add_u32 v38, v38, 23, 0x37800000
	s_delay_alu instid0(VALU_DEP_3) | instskip(NEXT) | instid1(VALU_DEP_1)
	v_lshlrev_b32_e32 v36, 21, v36
	v_or3_b32 v37, v37, v38, v36
.LBB6_9599:                             ;   in Loop: Header=BB6_8078 Depth=3
	s_or_b32 exec_lo, exec_lo, s17
	s_delay_alu instid0(VALU_DEP_1) | instskip(SKIP_2) | instid1(VALU_DEP_2)
	v_add_f32_e32 v27, v27, v37
	v_mov_b32_e32 v103, 0x80
	s_mov_b32 s17, exec_lo
	v_and_b32_e32 v36, 0x7f800000, v27
	s_delay_alu instid0(VALU_DEP_1)
	v_cmpx_ne_u32_e32 0x7f800000, v36
	s_cbranch_execz .LBB6_9607
; %bb.9600:                             ;   in Loop: Header=BB6_8078 Depth=3
	v_mov_b32_e32 v103, 0
	s_mov_b32 s30, exec_lo
	v_cmpx_ne_u32_e32 0, v27
	s_cbranch_execz .LBB6_9606
; %bb.9601:                             ;   in Loop: Header=BB6_8078 Depth=3
	v_bfe_u32 v36, v27, 23, 8
	s_delay_alu instid0(VALU_DEP_1) | instskip(SKIP_1) | instid1(VALU_DEP_2)
	v_sub_nc_u32_e32 v38, 0x70, v36
	v_cmp_gt_u32_e32 vcc_lo, 0x71, v36
	v_dual_cndmask_b32 v38, 0, v38 :: v_dual_and_b32 v37, 0x7fffff, v27
	s_delay_alu instid0(VALU_DEP_1) | instskip(SKIP_2) | instid1(VALU_DEP_4)
	v_or_b32_e32 v39, 0x800000, v37
	v_cmp_eq_u32_e32 vcc_lo, 0, v36
	v_add_nc_u32_e32 v36, 0xffffff91, v36
	v_cndmask_b32_e64 v38, v38, 0x6f, vcc_lo
	s_delay_alu instid0(VALU_DEP_4) | instskip(NEXT) | instid1(VALU_DEP_3)
	v_cndmask_b32_e32 v37, v39, v37, vcc_lo
	v_cndmask_b32_e64 v36, v36, 0xffffff92, vcc_lo
	s_delay_alu instid0(VALU_DEP_3) | instskip(NEXT) | instid1(VALU_DEP_3)
	v_lshl_add_u32 v39, 0x200000, v38, -1
	v_lshrrev_b32_e32 v48, v38, v37
	v_lshlrev_b32_e64 v50, v38, 0x100000
	s_delay_alu instid0(VALU_DEP_4) | instskip(NEXT) | instid1(VALU_DEP_4)
	v_add_nc_u32_e32 v38, v38, v36
	v_and_b32_e32 v37, v39, v37
	s_delay_alu instid0(VALU_DEP_4) | instskip(NEXT) | instid1(VALU_DEP_2)
	v_bfe_u32 v49, v48, 21, 1
	v_cmp_eq_u32_e64 s13, v37, v50
	s_delay_alu instid0(VALU_DEP_2) | instskip(NEXT) | instid1(VALU_DEP_1)
	v_add_nc_u32_e32 v39, -1, v49
	v_cndmask_b32_e64 v37, 0, v39, s13
	v_lshrrev_b32_e32 v39, 23, v48
	s_mov_b32 s13, exec_lo
	s_delay_alu instid0(VALU_DEP_2) | instskip(NEXT) | instid1(VALU_DEP_2)
	v_add_nc_u32_e32 v37, v37, v48
	v_xor_b32_e32 v39, 1, v39
	s_delay_alu instid0(VALU_DEP_2) | instskip(NEXT) | instid1(VALU_DEP_1)
	v_and_b32_e32 v36, 0x1fffff, v37
	v_add_nc_u32_e32 v37, v36, v48
                                        ; implicit-def: $vgpr36
	s_delay_alu instid0(VALU_DEP_3)
	v_cmpx_ne_u32_e64 v38, v39
	s_xor_b32 s13, exec_lo, s13
; %bb.9602:                             ;   in Loop: Header=BB6_8078 Depth=3
	s_delay_alu instid0(VALU_DEP_2) | instskip(SKIP_2) | instid1(VALU_DEP_2)
	v_cmp_lt_u32_e32 vcc_lo, 0xffffff, v37
	v_sub_nc_u32_e32 v36, v38, v39
	v_cndmask_b32_e64 v38, 0, 1, vcc_lo
	v_add_co_ci_u32_e32 v36, vcc_lo, 0, v36, vcc_lo
	s_delay_alu instid0(VALU_DEP_2)
	v_lshrrev_b32_e32 v37, v38, v37
; %bb.9603:                             ;   in Loop: Header=BB6_8078 Depth=3
	s_and_not1_saveexec_b32 s13, s13
; %bb.9604:                             ;   in Loop: Header=BB6_8078 Depth=3
	s_delay_alu instid0(VALU_DEP_1)
	v_bfe_u32 v36, v37, 23, 1
; %bb.9605:                             ;   in Loop: Header=BB6_8078 Depth=3
	s_or_b32 exec_lo, exec_lo, s13
	v_lshrrev_b32_e32 v37, 21, v37
	s_delay_alu instid0(VALU_DEP_2) | instskip(SKIP_2) | instid1(VALU_DEP_2)
	v_cmp_gt_i32_e32 vcc_lo, 32, v36
	v_min_i32_e32 v38, 31, v36
	v_lshrrev_b32_e32 v27, 24, v27
	v_dual_cndmask_b32 v37, 3, v37 :: v_dual_lshlrev_b32 v38, 2, v38
	s_delay_alu instid0(VALU_DEP_2) | instskip(NEXT) | instid1(VALU_DEP_2)
	v_and_b32_e32 v27, 0x80, v27
	v_or_b32_e32 v36, v36, v37
	v_and_b32_e32 v39, 3, v37
	s_delay_alu instid0(VALU_DEP_2) | instskip(SKIP_1) | instid1(VALU_DEP_1)
	v_cmp_ne_u32_e32 vcc_lo, 0, v36
	v_and_b32_e32 v38, 0xfc, v38
	v_or3_b32 v27, v38, v27, v39
	s_delay_alu instid0(VALU_DEP_1)
	v_cndmask_b32_e32 v103, 0, v27, vcc_lo
.LBB6_9606:                             ;   in Loop: Header=BB6_8078 Depth=3
	s_or_b32 exec_lo, exec_lo, s30
.LBB6_9607:                             ;   in Loop: Header=BB6_8078 Depth=3
	s_delay_alu instid0(SALU_CYCLE_1) | instskip(SKIP_3) | instid1(VALU_DEP_1)
	s_or_b32 exec_lo, exec_lo, s17
	v_lshrrev_b32_e32 v36, 24, v26
	s_mov_b32 s13, 0
	s_mov_b32 s30, exec_lo
                                        ; implicit-def: $sgpr17
	v_cmpx_lt_i16_e32 0x7f, v36
	s_xor_b32 s30, exec_lo, s30
	s_cbranch_execnz .LBB6_10509
; %bb.9608:                             ;   in Loop: Header=BB6_8078 Depth=3
	s_or_saveexec_b32 s30, s30
	v_mov_b32_e32 v27, s17
	s_xor_b32 exec_lo, exec_lo, s30
	s_cbranch_execnz .LBB6_10512
.LBB6_9609:                             ;   in Loop: Header=BB6_8078 Depth=3
	s_or_b32 exec_lo, exec_lo, s30
	s_and_saveexec_b32 s17, s13
	s_cbranch_execz .LBB6_9611
.LBB6_9610:                             ;   in Loop: Header=BB6_8078 Depth=3
	v_bfe_u32 v27, v26, 24, 2
	s_delay_alu instid0(VALU_DEP_1) | instskip(NEXT) | instid1(VALU_DEP_1)
	v_clz_i32_u32_e32 v37, v27
	v_min_u32_e32 v37, 32, v37
	s_delay_alu instid0(VALU_DEP_1) | instskip(SKIP_1) | instid1(VALU_DEP_2)
	v_subrev_nc_u32_e32 v38, 29, v37
	v_sub_nc_u32_e32 v37, 30, v37
	v_lshlrev_b32_e32 v36, v38, v36
	v_bfe_u32 v38, v26, 26, 5
	v_and_b32_e32 v26, 0x80000000, v26
	s_delay_alu instid0(VALU_DEP_2) | instskip(NEXT) | instid1(VALU_DEP_4)
	v_cmp_eq_u32_e32 vcc_lo, 0, v38
	v_dual_cndmask_b32 v37, v38, v37 :: v_dual_and_b32 v36, 3, v36
	s_delay_alu instid0(VALU_DEP_1) | instskip(NEXT) | instid1(VALU_DEP_2)
	v_cndmask_b32_e32 v27, v27, v36, vcc_lo
	v_lshl_add_u32 v36, v37, 23, 0x37800000
	s_delay_alu instid0(VALU_DEP_2) | instskip(NEXT) | instid1(VALU_DEP_1)
	v_lshlrev_b32_e32 v27, 21, v27
	v_or3_b32 v27, v26, v36, v27
.LBB6_9611:                             ;   in Loop: Header=BB6_8078 Depth=3
	s_or_b32 exec_lo, exec_lo, s17
	v_lshrrev_b32_e32 v26, 24, v15
	s_mov_b32 s13, 0
	s_mov_b32 s30, exec_lo
                                        ; implicit-def: $sgpr17
	s_delay_alu instid0(VALU_DEP_1)
	v_cmpx_lt_i16_e32 0x7f, v26
	s_xor_b32 s30, exec_lo, s30
	s_cbranch_execnz .LBB6_10513
; %bb.9612:                             ;   in Loop: Header=BB6_8078 Depth=3
	s_or_saveexec_b32 s30, s30
	v_mov_b32_e32 v36, s17
	s_xor_b32 exec_lo, exec_lo, s30
	s_cbranch_execnz .LBB6_10516
.LBB6_9613:                             ;   in Loop: Header=BB6_8078 Depth=3
	s_or_b32 exec_lo, exec_lo, s30
	s_and_saveexec_b32 s17, s13
	s_cbranch_execz .LBB6_9615
.LBB6_9614:                             ;   in Loop: Header=BB6_8078 Depth=3
	v_bfe_u32 v36, v15, 24, 2
	s_delay_alu instid0(VALU_DEP_1) | instskip(NEXT) | instid1(VALU_DEP_1)
	v_clz_i32_u32_e32 v37, v36
	v_min_u32_e32 v37, 32, v37
	s_delay_alu instid0(VALU_DEP_1) | instskip(SKIP_1) | instid1(VALU_DEP_2)
	v_subrev_nc_u32_e32 v38, 29, v37
	v_sub_nc_u32_e32 v37, 30, v37
	v_lshlrev_b32_e32 v26, v38, v26
	v_bfe_u32 v38, v15, 26, 5
	v_and_b32_e32 v15, 0x80000000, v15
	s_delay_alu instid0(VALU_DEP_2) | instskip(NEXT) | instid1(VALU_DEP_4)
	v_cmp_eq_u32_e32 vcc_lo, 0, v38
	v_dual_cndmask_b32 v37, v38, v37 :: v_dual_and_b32 v26, 3, v26
	s_delay_alu instid0(VALU_DEP_1) | instskip(NEXT) | instid1(VALU_DEP_2)
	v_cndmask_b32_e32 v26, v36, v26, vcc_lo
	v_lshl_add_u32 v36, v37, 23, 0x37800000
	s_delay_alu instid0(VALU_DEP_2) | instskip(NEXT) | instid1(VALU_DEP_1)
	v_lshlrev_b32_e32 v26, 21, v26
	v_or3_b32 v36, v15, v36, v26
.LBB6_9615:                             ;   in Loop: Header=BB6_8078 Depth=3
	s_or_b32 exec_lo, exec_lo, s17
	s_delay_alu instid0(VALU_DEP_1) | instskip(NEXT) | instid1(VALU_DEP_1)
	v_add_f32_e32 v26, v27, v36
	v_and_b32_e32 v15, 0x7f800000, v26
	s_delay_alu instid0(VALU_DEP_1)
	v_cmp_ne_u32_e32 vcc_lo, 0x7f800000, v15
	v_mov_b32_e32 v15, 0x8000
	s_and_saveexec_b32 s17, vcc_lo
	s_cbranch_execz .LBB6_9623
; %bb.9616:                             ;   in Loop: Header=BB6_8078 Depth=3
	v_mov_b32_e32 v15, 0
	s_mov_b32 s30, exec_lo
	v_cmpx_ne_u32_e32 0, v26
	s_cbranch_execz .LBB6_9622
; %bb.9617:                             ;   in Loop: Header=BB6_8078 Depth=3
	v_bfe_u32 v15, v26, 23, 8
	s_delay_alu instid0(VALU_DEP_1) | instskip(SKIP_1) | instid1(VALU_DEP_2)
	v_sub_nc_u32_e32 v36, 0x70, v15
	v_cmp_gt_u32_e32 vcc_lo, 0x71, v15
	v_dual_cndmask_b32 v36, 0, v36 :: v_dual_and_b32 v27, 0x7fffff, v26
	s_delay_alu instid0(VALU_DEP_1) | instskip(SKIP_2) | instid1(VALU_DEP_4)
	v_or_b32_e32 v37, 0x800000, v27
	v_cmp_eq_u32_e32 vcc_lo, 0, v15
	v_add_nc_u32_e32 v15, 0xffffff91, v15
	v_cndmask_b32_e64 v36, v36, 0x6f, vcc_lo
	s_delay_alu instid0(VALU_DEP_4) | instskip(NEXT) | instid1(VALU_DEP_3)
	v_cndmask_b32_e32 v27, v37, v27, vcc_lo
	v_cndmask_b32_e64 v15, v15, 0xffffff92, vcc_lo
	s_delay_alu instid0(VALU_DEP_3) | instskip(NEXT) | instid1(VALU_DEP_3)
	v_lshl_add_u32 v37, 0x200000, v36, -1
	v_lshrrev_b32_e32 v38, v36, v27
	v_lshlrev_b32_e64 v48, v36, 0x100000
	s_delay_alu instid0(VALU_DEP_4) | instskip(NEXT) | instid1(VALU_DEP_4)
	v_add_nc_u32_e32 v36, v36, v15
	v_and_b32_e32 v27, v37, v27
	s_delay_alu instid0(VALU_DEP_4) | instskip(NEXT) | instid1(VALU_DEP_2)
	v_bfe_u32 v39, v38, 21, 1
	v_cmp_eq_u32_e64 s13, v27, v48
	s_delay_alu instid0(VALU_DEP_2) | instskip(NEXT) | instid1(VALU_DEP_1)
	v_add_nc_u32_e32 v37, -1, v39
	v_cndmask_b32_e64 v27, 0, v37, s13
	v_lshrrev_b32_e32 v37, 23, v38
	s_mov_b32 s13, exec_lo
	s_delay_alu instid0(VALU_DEP_2) | instskip(NEXT) | instid1(VALU_DEP_2)
	v_add_nc_u32_e32 v27, v27, v38
	v_xor_b32_e32 v37, 1, v37
	s_delay_alu instid0(VALU_DEP_2) | instskip(NEXT) | instid1(VALU_DEP_1)
	v_and_b32_e32 v15, 0x1fffff, v27
	v_add_nc_u32_e32 v27, v15, v38
                                        ; implicit-def: $vgpr15
	s_delay_alu instid0(VALU_DEP_3)
	v_cmpx_ne_u32_e64 v36, v37
	s_xor_b32 s13, exec_lo, s13
; %bb.9618:                             ;   in Loop: Header=BB6_8078 Depth=3
	s_delay_alu instid0(VALU_DEP_2) | instskip(SKIP_2) | instid1(VALU_DEP_2)
	v_cmp_lt_u32_e32 vcc_lo, 0xffffff, v27
	v_sub_nc_u32_e32 v15, v36, v37
	v_cndmask_b32_e64 v36, 0, 1, vcc_lo
	v_add_co_ci_u32_e32 v15, vcc_lo, 0, v15, vcc_lo
	s_delay_alu instid0(VALU_DEP_2)
	v_lshrrev_b32_e32 v27, v36, v27
; %bb.9619:                             ;   in Loop: Header=BB6_8078 Depth=3
	s_and_not1_saveexec_b32 s13, s13
; %bb.9620:                             ;   in Loop: Header=BB6_8078 Depth=3
	s_delay_alu instid0(VALU_DEP_1)
	v_bfe_u32 v15, v27, 23, 1
; %bb.9621:                             ;   in Loop: Header=BB6_8078 Depth=3
	s_or_b32 exec_lo, exec_lo, s13
	v_lshrrev_b32_e32 v27, 21, v27
	s_delay_alu instid0(VALU_DEP_2) | instskip(SKIP_2) | instid1(VALU_DEP_2)
	v_cmp_gt_i32_e32 vcc_lo, 32, v15
	v_min_i32_e32 v36, 31, v15
	v_lshrrev_b32_e32 v26, 24, v26
	v_dual_cndmask_b32 v27, 3, v27 :: v_dual_lshlrev_b32 v36, 2, v36
	s_delay_alu instid0(VALU_DEP_2) | instskip(NEXT) | instid1(VALU_DEP_2)
	v_and_b32_e32 v26, 0x80, v26
	v_or_b32_e32 v15, v15, v27
	v_and_b32_e32 v37, 3, v27
	s_delay_alu instid0(VALU_DEP_2) | instskip(SKIP_1) | instid1(VALU_DEP_1)
	v_cmp_ne_u32_e32 vcc_lo, 0, v15
	v_and_b32_e32 v36, 0xfc, v36
	v_or3_b32 v26, v26, v36, v37
	s_delay_alu instid0(VALU_DEP_1) | instskip(NEXT) | instid1(VALU_DEP_1)
	v_lshlrev_b32_e32 v26, 8, v26
	v_cndmask_b32_e32 v15, 0, v26, vcc_lo
.LBB6_9622:                             ;   in Loop: Header=BB6_8078 Depth=3
	s_or_b32 exec_lo, exec_lo, s30
.LBB6_9623:                             ;   in Loop: Header=BB6_8078 Depth=3
	s_delay_alu instid0(SALU_CYCLE_1) | instskip(SKIP_3) | instid1(VALU_DEP_1)
	s_or_b32 exec_lo, exec_lo, s17
	v_and_b32_e32 v27, 0xff, v44
	s_mov_b32 s13, 0
	s_mov_b32 s30, exec_lo
                                        ; implicit-def: $sgpr17
	v_cmpx_lt_i16_e32 0x7f, v27
	s_xor_b32 s30, exec_lo, s30
	s_cbranch_execnz .LBB6_10517
; %bb.9624:                             ;   in Loop: Header=BB6_8078 Depth=3
	s_or_saveexec_b32 s30, s30
	v_mov_b32_e32 v26, s17
	s_xor_b32 exec_lo, exec_lo, s30
	s_cbranch_execnz .LBB6_10520
.LBB6_9625:                             ;   in Loop: Header=BB6_8078 Depth=3
	s_or_b32 exec_lo, exec_lo, s30
	s_and_saveexec_b32 s17, s13
	s_cbranch_execz .LBB6_9627
.LBB6_9626:                             ;   in Loop: Header=BB6_8078 Depth=3
	v_bfe_u32 v37, v44, 2, 5
	v_lshlrev_b32_e32 v38, 24, v44
	s_delay_alu instid0(VALU_DEP_2) | instskip(SKIP_1) | instid1(VALU_DEP_1)
	v_cmp_eq_u32_e32 vcc_lo, 0, v37
	v_and_b32_e32 v26, 3, v44
	v_clz_i32_u32_e32 v27, v26
	s_delay_alu instid0(VALU_DEP_1) | instskip(NEXT) | instid1(VALU_DEP_1)
	v_min_u32_e32 v27, 32, v27
	v_subrev_nc_u32_e32 v36, 29, v27
	v_sub_nc_u32_e32 v27, 30, v27
	s_delay_alu instid0(VALU_DEP_1) | instskip(NEXT) | instid1(VALU_DEP_1)
	v_dual_cndmask_b32 v27, v37, v27 :: v_dual_lshlrev_b32 v36, v36, v44
	v_and_b32_e32 v36, 3, v36
	s_delay_alu instid0(VALU_DEP_2) | instskip(NEXT) | instid1(VALU_DEP_2)
	v_lshl_add_u32 v27, v27, 23, 0x37800000
	v_cndmask_b32_e32 v26, v26, v36, vcc_lo
	v_and_b32_e32 v36, 0x80000000, v38
	s_delay_alu instid0(VALU_DEP_2) | instskip(NEXT) | instid1(VALU_DEP_1)
	v_lshlrev_b32_e32 v26, 21, v26
	v_or3_b32 v26, v36, v27, v26
.LBB6_9627:                             ;   in Loop: Header=BB6_8078 Depth=3
	s_or_b32 exec_lo, exec_lo, s17
	s_waitcnt vmcnt(0)
	v_and_b32_e32 v36, 0xff, v8
	s_mov_b32 s13, 0
	s_mov_b32 s30, exec_lo
                                        ; implicit-def: $sgpr17
	s_delay_alu instid0(VALU_DEP_1)
	v_cmpx_lt_i16_e32 0x7f, v36
	s_xor_b32 s30, exec_lo, s30
	s_cbranch_execnz .LBB6_10521
; %bb.9628:                             ;   in Loop: Header=BB6_8078 Depth=3
	s_or_saveexec_b32 s30, s30
	v_mov_b32_e32 v27, s17
	s_xor_b32 exec_lo, exec_lo, s30
	s_cbranch_execnz .LBB6_10524
.LBB6_9629:                             ;   in Loop: Header=BB6_8078 Depth=3
	s_or_b32 exec_lo, exec_lo, s30
	s_and_saveexec_b32 s17, s13
	s_cbranch_execz .LBB6_9631
.LBB6_9630:                             ;   in Loop: Header=BB6_8078 Depth=3
	v_and_b32_e32 v27, 3, v8
	v_bfe_u32 v38, v8, 2, 5
	v_lshlrev_b32_e32 v39, 24, v8
	s_delay_alu instid0(VALU_DEP_3) | instskip(NEXT) | instid1(VALU_DEP_3)
	v_clz_i32_u32_e32 v36, v27
	v_cmp_eq_u32_e32 vcc_lo, 0, v38
	s_delay_alu instid0(VALU_DEP_2) | instskip(NEXT) | instid1(VALU_DEP_1)
	v_min_u32_e32 v36, 32, v36
	v_subrev_nc_u32_e32 v37, 29, v36
	v_sub_nc_u32_e32 v36, 30, v36
	s_delay_alu instid0(VALU_DEP_2) | instskip(NEXT) | instid1(VALU_DEP_1)
	v_lshlrev_b32_e32 v37, v37, v8
	v_dual_cndmask_b32 v36, v38, v36 :: v_dual_and_b32 v37, 3, v37
	s_delay_alu instid0(VALU_DEP_1) | instskip(NEXT) | instid1(VALU_DEP_2)
	v_lshl_add_u32 v36, v36, 23, 0x37800000
	v_cndmask_b32_e32 v27, v27, v37, vcc_lo
	v_and_b32_e32 v37, 0x80000000, v39
	s_delay_alu instid0(VALU_DEP_2) | instskip(NEXT) | instid1(VALU_DEP_1)
	v_lshlrev_b32_e32 v27, 21, v27
	v_or3_b32 v27, v37, v36, v27
.LBB6_9631:                             ;   in Loop: Header=BB6_8078 Depth=3
	s_or_b32 exec_lo, exec_lo, s17
	s_delay_alu instid0(VALU_DEP_1) | instskip(SKIP_2) | instid1(VALU_DEP_2)
	v_add_f32_e32 v26, v26, v27
	v_mov_b32_e32 v144, 0x80
	s_mov_b32 s17, exec_lo
	v_and_b32_e32 v27, 0x7f800000, v26
	s_delay_alu instid0(VALU_DEP_1)
	v_cmpx_ne_u32_e32 0x7f800000, v27
	s_cbranch_execz .LBB6_9639
; %bb.9632:                             ;   in Loop: Header=BB6_8078 Depth=3
	v_mov_b32_e32 v144, 0
	s_mov_b32 s30, exec_lo
	v_cmpx_ne_u32_e32 0, v26
	s_cbranch_execz .LBB6_9638
; %bb.9633:                             ;   in Loop: Header=BB6_8078 Depth=3
	v_bfe_u32 v27, v26, 23, 8
	s_delay_alu instid0(VALU_DEP_1) | instskip(SKIP_1) | instid1(VALU_DEP_2)
	v_sub_nc_u32_e32 v37, 0x70, v27
	v_cmp_gt_u32_e32 vcc_lo, 0x71, v27
	v_dual_cndmask_b32 v37, 0, v37 :: v_dual_and_b32 v36, 0x7fffff, v26
	s_delay_alu instid0(VALU_DEP_1) | instskip(SKIP_2) | instid1(VALU_DEP_4)
	v_or_b32_e32 v38, 0x800000, v36
	v_cmp_eq_u32_e32 vcc_lo, 0, v27
	v_add_nc_u32_e32 v27, 0xffffff91, v27
	v_cndmask_b32_e64 v37, v37, 0x6f, vcc_lo
	s_delay_alu instid0(VALU_DEP_4) | instskip(NEXT) | instid1(VALU_DEP_3)
	v_cndmask_b32_e32 v36, v38, v36, vcc_lo
	v_cndmask_b32_e64 v27, v27, 0xffffff92, vcc_lo
	s_delay_alu instid0(VALU_DEP_3) | instskip(NEXT) | instid1(VALU_DEP_3)
	v_lshl_add_u32 v38, 0x200000, v37, -1
	v_lshrrev_b32_e32 v39, v37, v36
	v_lshlrev_b32_e64 v49, v37, 0x100000
	s_delay_alu instid0(VALU_DEP_4) | instskip(NEXT) | instid1(VALU_DEP_4)
	v_add_nc_u32_e32 v37, v37, v27
	v_and_b32_e32 v36, v38, v36
	s_delay_alu instid0(VALU_DEP_4) | instskip(NEXT) | instid1(VALU_DEP_2)
	v_bfe_u32 v48, v39, 21, 1
	v_cmp_eq_u32_e64 s13, v36, v49
	s_delay_alu instid0(VALU_DEP_2) | instskip(NEXT) | instid1(VALU_DEP_1)
	v_add_nc_u32_e32 v38, -1, v48
	v_cndmask_b32_e64 v36, 0, v38, s13
	v_lshrrev_b32_e32 v38, 23, v39
	s_mov_b32 s13, exec_lo
	s_delay_alu instid0(VALU_DEP_2) | instskip(NEXT) | instid1(VALU_DEP_2)
	v_add_nc_u32_e32 v36, v36, v39
	v_xor_b32_e32 v38, 1, v38
	s_delay_alu instid0(VALU_DEP_2) | instskip(NEXT) | instid1(VALU_DEP_1)
	v_and_b32_e32 v27, 0x1fffff, v36
	v_add_nc_u32_e32 v36, v27, v39
                                        ; implicit-def: $vgpr27
	s_delay_alu instid0(VALU_DEP_3)
	v_cmpx_ne_u32_e64 v37, v38
	s_xor_b32 s13, exec_lo, s13
; %bb.9634:                             ;   in Loop: Header=BB6_8078 Depth=3
	s_delay_alu instid0(VALU_DEP_2) | instskip(SKIP_2) | instid1(VALU_DEP_2)
	v_cmp_lt_u32_e32 vcc_lo, 0xffffff, v36
	v_sub_nc_u32_e32 v27, v37, v38
	v_cndmask_b32_e64 v37, 0, 1, vcc_lo
	v_add_co_ci_u32_e32 v27, vcc_lo, 0, v27, vcc_lo
	s_delay_alu instid0(VALU_DEP_2)
	v_lshrrev_b32_e32 v36, v37, v36
; %bb.9635:                             ;   in Loop: Header=BB6_8078 Depth=3
	s_and_not1_saveexec_b32 s13, s13
; %bb.9636:                             ;   in Loop: Header=BB6_8078 Depth=3
	s_delay_alu instid0(VALU_DEP_1)
	v_bfe_u32 v27, v36, 23, 1
; %bb.9637:                             ;   in Loop: Header=BB6_8078 Depth=3
	s_or_b32 exec_lo, exec_lo, s13
	v_lshrrev_b32_e32 v36, 21, v36
	s_delay_alu instid0(VALU_DEP_2) | instskip(SKIP_2) | instid1(VALU_DEP_4)
	v_cmp_gt_i32_e32 vcc_lo, 32, v27
	v_lshrrev_b32_e32 v26, 24, v26
	v_min_i32_e32 v37, 31, v27
	v_cndmask_b32_e32 v36, 3, v36, vcc_lo
	s_delay_alu instid0(VALU_DEP_3) | instskip(NEXT) | instid1(VALU_DEP_3)
	v_and_b32_e32 v26, 0x80, v26
	v_lshlrev_b32_e32 v37, 2, v37
	s_delay_alu instid0(VALU_DEP_3) | instskip(SKIP_1) | instid1(VALU_DEP_2)
	v_and_b32_e32 v38, 3, v36
	v_or_b32_e32 v27, v27, v36
	v_or3_b32 v26, v37, v26, v38
	s_delay_alu instid0(VALU_DEP_2) | instskip(NEXT) | instid1(VALU_DEP_2)
	v_cmp_ne_u32_e32 vcc_lo, 0, v27
	v_cndmask_b32_e32 v144, 0, v26, vcc_lo
.LBB6_9638:                             ;   in Loop: Header=BB6_8078 Depth=3
	s_or_b32 exec_lo, exec_lo, s30
.LBB6_9639:                             ;   in Loop: Header=BB6_8078 Depth=3
	s_delay_alu instid0(SALU_CYCLE_1) | instskip(SKIP_3) | instid1(VALU_DEP_1)
	s_or_b32 exec_lo, exec_lo, s17
	v_and_b32_e32 v27, 0xff, v42
	s_mov_b32 s13, 0
	s_mov_b32 s30, exec_lo
                                        ; implicit-def: $sgpr17
	v_cmpx_lt_i16_e32 0x7f, v27
	s_xor_b32 s30, exec_lo, s30
	s_cbranch_execnz .LBB6_10525
; %bb.9640:                             ;   in Loop: Header=BB6_8078 Depth=3
	s_or_saveexec_b32 s30, s30
	v_mov_b32_e32 v26, s17
	s_xor_b32 exec_lo, exec_lo, s30
	s_cbranch_execnz .LBB6_10528
.LBB6_9641:                             ;   in Loop: Header=BB6_8078 Depth=3
	s_or_b32 exec_lo, exec_lo, s30
	s_and_saveexec_b32 s17, s13
	s_cbranch_execz .LBB6_9643
.LBB6_9642:                             ;   in Loop: Header=BB6_8078 Depth=3
	v_bfe_u32 v37, v42, 2, 5
	v_lshlrev_b32_e32 v38, 24, v42
	s_delay_alu instid0(VALU_DEP_2) | instskip(SKIP_1) | instid1(VALU_DEP_1)
	v_cmp_eq_u32_e32 vcc_lo, 0, v37
	v_and_b32_e32 v26, 3, v42
	v_clz_i32_u32_e32 v27, v26
	s_delay_alu instid0(VALU_DEP_1) | instskip(NEXT) | instid1(VALU_DEP_1)
	v_min_u32_e32 v27, 32, v27
	v_subrev_nc_u32_e32 v36, 29, v27
	v_sub_nc_u32_e32 v27, 30, v27
	s_delay_alu instid0(VALU_DEP_1) | instskip(NEXT) | instid1(VALU_DEP_1)
	v_dual_cndmask_b32 v27, v37, v27 :: v_dual_lshlrev_b32 v36, v36, v42
	v_and_b32_e32 v36, 3, v36
	s_delay_alu instid0(VALU_DEP_2) | instskip(NEXT) | instid1(VALU_DEP_2)
	v_lshl_add_u32 v27, v27, 23, 0x37800000
	v_cndmask_b32_e32 v26, v26, v36, vcc_lo
	v_and_b32_e32 v36, 0x80000000, v38
	s_delay_alu instid0(VALU_DEP_2) | instskip(NEXT) | instid1(VALU_DEP_1)
	v_lshlrev_b32_e32 v26, 21, v26
	v_or3_b32 v26, v36, v27, v26
.LBB6_9643:                             ;   in Loop: Header=BB6_8078 Depth=3
	s_or_b32 exec_lo, exec_lo, s17
	v_lshrrev_b16 v27, 8, v8
	s_mov_b32 s13, 0
	s_mov_b32 s30, exec_lo
                                        ; implicit-def: $sgpr17
	s_delay_alu instid0(VALU_DEP_1)
	v_cmpx_lt_i16_e32 0x7f, v27
	s_xor_b32 s30, exec_lo, s30
	s_cbranch_execnz .LBB6_10529
; %bb.9644:                             ;   in Loop: Header=BB6_8078 Depth=3
	s_or_saveexec_b32 s30, s30
	v_mov_b32_e32 v36, s17
	s_xor_b32 exec_lo, exec_lo, s30
	s_cbranch_execnz .LBB6_10532
.LBB6_9645:                             ;   in Loop: Header=BB6_8078 Depth=3
	s_or_b32 exec_lo, exec_lo, s30
	s_and_saveexec_b32 s17, s13
	s_cbranch_execz .LBB6_9647
.LBB6_9646:                             ;   in Loop: Header=BB6_8078 Depth=3
	v_and_b32_e32 v36, 0xffff, v27
	v_lshlrev_b32_e32 v27, 24, v27
	s_delay_alu instid0(VALU_DEP_2) | instskip(NEXT) | instid1(VALU_DEP_2)
	v_and_b32_e32 v37, 3, v36
	v_and_b32_e32 v27, 0x80000000, v27
	s_delay_alu instid0(VALU_DEP_2) | instskip(NEXT) | instid1(VALU_DEP_1)
	v_clz_i32_u32_e32 v38, v37
	v_min_u32_e32 v38, 32, v38
	s_delay_alu instid0(VALU_DEP_1) | instskip(SKIP_1) | instid1(VALU_DEP_2)
	v_subrev_nc_u32_e32 v39, 29, v38
	v_sub_nc_u32_e32 v38, 30, v38
	v_lshlrev_b32_e32 v39, v39, v36
	v_bfe_u32 v36, v36, 2, 5
	s_delay_alu instid0(VALU_DEP_2) | instskip(NEXT) | instid1(VALU_DEP_2)
	v_and_b32_e32 v39, 3, v39
	v_cmp_eq_u32_e32 vcc_lo, 0, v36
	s_delay_alu instid0(VALU_DEP_2) | instskip(NEXT) | instid1(VALU_DEP_1)
	v_dual_cndmask_b32 v36, v36, v38 :: v_dual_cndmask_b32 v37, v37, v39
	v_lshl_add_u32 v36, v36, 23, 0x37800000
	s_delay_alu instid0(VALU_DEP_2) | instskip(NEXT) | instid1(VALU_DEP_1)
	v_lshlrev_b32_e32 v37, 21, v37
	v_or3_b32 v36, v27, v36, v37
.LBB6_9647:                             ;   in Loop: Header=BB6_8078 Depth=3
	s_or_b32 exec_lo, exec_lo, s17
	s_delay_alu instid0(VALU_DEP_1) | instskip(SKIP_2) | instid1(VALU_DEP_2)
	v_add_f32_e32 v26, v26, v36
	v_mov_b32_e32 v42, 0x80
	s_mov_b32 s17, exec_lo
	v_and_b32_e32 v27, 0x7f800000, v26
	s_delay_alu instid0(VALU_DEP_1)
	v_cmpx_ne_u32_e32 0x7f800000, v27
	s_cbranch_execz .LBB6_9655
; %bb.9648:                             ;   in Loop: Header=BB6_8078 Depth=3
	v_mov_b32_e32 v42, 0
	s_mov_b32 s30, exec_lo
	v_cmpx_ne_u32_e32 0, v26
	s_cbranch_execz .LBB6_9654
; %bb.9649:                             ;   in Loop: Header=BB6_8078 Depth=3
	v_bfe_u32 v27, v26, 23, 8
	s_delay_alu instid0(VALU_DEP_1) | instskip(SKIP_1) | instid1(VALU_DEP_2)
	v_sub_nc_u32_e32 v37, 0x70, v27
	v_cmp_gt_u32_e32 vcc_lo, 0x71, v27
	v_dual_cndmask_b32 v37, 0, v37 :: v_dual_and_b32 v36, 0x7fffff, v26
	s_delay_alu instid0(VALU_DEP_1) | instskip(SKIP_2) | instid1(VALU_DEP_4)
	v_or_b32_e32 v38, 0x800000, v36
	v_cmp_eq_u32_e32 vcc_lo, 0, v27
	v_add_nc_u32_e32 v27, 0xffffff91, v27
	v_cndmask_b32_e64 v37, v37, 0x6f, vcc_lo
	s_delay_alu instid0(VALU_DEP_4) | instskip(NEXT) | instid1(VALU_DEP_3)
	v_cndmask_b32_e32 v36, v38, v36, vcc_lo
	v_cndmask_b32_e64 v27, v27, 0xffffff92, vcc_lo
	s_delay_alu instid0(VALU_DEP_3) | instskip(NEXT) | instid1(VALU_DEP_3)
	v_lshl_add_u32 v38, 0x200000, v37, -1
	v_lshrrev_b32_e32 v39, v37, v36
	v_lshlrev_b32_e64 v49, v37, 0x100000
	s_delay_alu instid0(VALU_DEP_4) | instskip(NEXT) | instid1(VALU_DEP_4)
	v_add_nc_u32_e32 v37, v37, v27
	v_and_b32_e32 v36, v38, v36
	s_delay_alu instid0(VALU_DEP_4) | instskip(NEXT) | instid1(VALU_DEP_2)
	v_bfe_u32 v48, v39, 21, 1
	v_cmp_eq_u32_e64 s13, v36, v49
	s_delay_alu instid0(VALU_DEP_2) | instskip(NEXT) | instid1(VALU_DEP_1)
	v_add_nc_u32_e32 v38, -1, v48
	v_cndmask_b32_e64 v36, 0, v38, s13
	v_lshrrev_b32_e32 v38, 23, v39
	s_mov_b32 s13, exec_lo
	s_delay_alu instid0(VALU_DEP_2) | instskip(NEXT) | instid1(VALU_DEP_2)
	v_add_nc_u32_e32 v36, v36, v39
	v_xor_b32_e32 v38, 1, v38
	s_delay_alu instid0(VALU_DEP_2) | instskip(NEXT) | instid1(VALU_DEP_1)
	v_and_b32_e32 v27, 0x1fffff, v36
	v_add_nc_u32_e32 v36, v27, v39
                                        ; implicit-def: $vgpr27
	s_delay_alu instid0(VALU_DEP_3)
	v_cmpx_ne_u32_e64 v37, v38
	s_xor_b32 s13, exec_lo, s13
; %bb.9650:                             ;   in Loop: Header=BB6_8078 Depth=3
	s_delay_alu instid0(VALU_DEP_2) | instskip(SKIP_2) | instid1(VALU_DEP_2)
	v_cmp_lt_u32_e32 vcc_lo, 0xffffff, v36
	v_sub_nc_u32_e32 v27, v37, v38
	v_cndmask_b32_e64 v37, 0, 1, vcc_lo
	v_add_co_ci_u32_e32 v27, vcc_lo, 0, v27, vcc_lo
	s_delay_alu instid0(VALU_DEP_2)
	v_lshrrev_b32_e32 v36, v37, v36
; %bb.9651:                             ;   in Loop: Header=BB6_8078 Depth=3
	s_and_not1_saveexec_b32 s13, s13
; %bb.9652:                             ;   in Loop: Header=BB6_8078 Depth=3
	s_delay_alu instid0(VALU_DEP_1)
	v_bfe_u32 v27, v36, 23, 1
; %bb.9653:                             ;   in Loop: Header=BB6_8078 Depth=3
	s_or_b32 exec_lo, exec_lo, s13
	v_lshrrev_b32_e32 v36, 21, v36
	s_delay_alu instid0(VALU_DEP_2) | instskip(SKIP_2) | instid1(VALU_DEP_4)
	v_cmp_gt_i32_e32 vcc_lo, 32, v27
	v_lshrrev_b32_e32 v26, 24, v26
	v_min_i32_e32 v37, 31, v27
	v_cndmask_b32_e32 v36, 3, v36, vcc_lo
	s_delay_alu instid0(VALU_DEP_3) | instskip(NEXT) | instid1(VALU_DEP_3)
	v_and_b32_e32 v26, 0x80, v26
	v_lshlrev_b32_e32 v37, 2, v37
	s_delay_alu instid0(VALU_DEP_3) | instskip(SKIP_1) | instid1(VALU_DEP_2)
	v_and_b32_e32 v38, 3, v36
	v_or_b32_e32 v27, v27, v36
	v_or3_b32 v26, v37, v26, v38
	s_delay_alu instid0(VALU_DEP_2) | instskip(NEXT) | instid1(VALU_DEP_2)
	v_cmp_ne_u32_e32 vcc_lo, 0, v27
	v_cndmask_b32_e32 v42, 0, v26, vcc_lo
.LBB6_9654:                             ;   in Loop: Header=BB6_8078 Depth=3
	s_or_b32 exec_lo, exec_lo, s30
.LBB6_9655:                             ;   in Loop: Header=BB6_8078 Depth=3
	s_delay_alu instid0(SALU_CYCLE_1) | instskip(SKIP_3) | instid1(VALU_DEP_1)
	s_or_b32 exec_lo, exec_lo, s17
	v_and_b32_e32 v27, 0xff, v40
	s_mov_b32 s13, 0
	s_mov_b32 s30, exec_lo
                                        ; implicit-def: $sgpr17
	v_cmpx_lt_i16_e32 0x7f, v27
	s_xor_b32 s30, exec_lo, s30
	s_cbranch_execnz .LBB6_10533
; %bb.9656:                             ;   in Loop: Header=BB6_8078 Depth=3
	s_or_saveexec_b32 s30, s30
	v_mov_b32_e32 v26, s17
	s_xor_b32 exec_lo, exec_lo, s30
	s_cbranch_execnz .LBB6_10536
.LBB6_9657:                             ;   in Loop: Header=BB6_8078 Depth=3
	s_or_b32 exec_lo, exec_lo, s30
	s_and_saveexec_b32 s17, s13
	s_cbranch_execz .LBB6_9659
.LBB6_9658:                             ;   in Loop: Header=BB6_8078 Depth=3
	v_bfe_u32 v37, v40, 2, 5
	v_lshlrev_b32_e32 v38, 24, v40
	s_delay_alu instid0(VALU_DEP_2) | instskip(SKIP_1) | instid1(VALU_DEP_1)
	v_cmp_eq_u32_e32 vcc_lo, 0, v37
	v_and_b32_e32 v26, 3, v40
	v_clz_i32_u32_e32 v27, v26
	s_delay_alu instid0(VALU_DEP_1) | instskip(NEXT) | instid1(VALU_DEP_1)
	v_min_u32_e32 v27, 32, v27
	v_subrev_nc_u32_e32 v36, 29, v27
	v_sub_nc_u32_e32 v27, 30, v27
	s_delay_alu instid0(VALU_DEP_1) | instskip(NEXT) | instid1(VALU_DEP_1)
	v_dual_cndmask_b32 v27, v37, v27 :: v_dual_lshlrev_b32 v36, v36, v40
	v_and_b32_e32 v36, 3, v36
	s_delay_alu instid0(VALU_DEP_2) | instskip(NEXT) | instid1(VALU_DEP_2)
	v_lshl_add_u32 v27, v27, 23, 0x37800000
	v_cndmask_b32_e32 v26, v26, v36, vcc_lo
	v_and_b32_e32 v36, 0x80000000, v38
	s_delay_alu instid0(VALU_DEP_2) | instskip(NEXT) | instid1(VALU_DEP_1)
	v_lshlrev_b32_e32 v26, 21, v26
	v_or3_b32 v26, v36, v27, v26
.LBB6_9659:                             ;   in Loop: Header=BB6_8078 Depth=3
	s_or_b32 exec_lo, exec_lo, s17
	v_lshrrev_b32_e32 v27, 16, v8
	s_mov_b32 s13, 0
	s_mov_b32 s30, exec_lo
                                        ; implicit-def: $sgpr17
	s_delay_alu instid0(VALU_DEP_1) | instskip(NEXT) | instid1(VALU_DEP_1)
	v_and_b32_e32 v37, 0xff, v27
	v_cmpx_lt_i16_e32 0x7f, v37
	s_xor_b32 s30, exec_lo, s30
	s_cbranch_execnz .LBB6_10537
; %bb.9660:                             ;   in Loop: Header=BB6_8078 Depth=3
	s_or_saveexec_b32 s30, s30
	v_mov_b32_e32 v36, s17
	s_xor_b32 exec_lo, exec_lo, s30
	s_cbranch_execnz .LBB6_10540
.LBB6_9661:                             ;   in Loop: Header=BB6_8078 Depth=3
	s_or_b32 exec_lo, exec_lo, s30
	s_and_saveexec_b32 s17, s13
	s_cbranch_execz .LBB6_9663
.LBB6_9662:                             ;   in Loop: Header=BB6_8078 Depth=3
	v_bfe_u32 v36, v8, 16, 2
	v_lshlrev_b32_e32 v39, 8, v8
	s_delay_alu instid0(VALU_DEP_2) | instskip(NEXT) | instid1(VALU_DEP_1)
	v_clz_i32_u32_e32 v37, v36
	v_min_u32_e32 v37, 32, v37
	s_delay_alu instid0(VALU_DEP_1) | instskip(SKIP_1) | instid1(VALU_DEP_2)
	v_subrev_nc_u32_e32 v38, 29, v37
	v_sub_nc_u32_e32 v37, 30, v37
	v_lshlrev_b32_e32 v27, v38, v27
	v_bfe_u32 v38, v8, 18, 5
	s_delay_alu instid0(VALU_DEP_2) | instskip(NEXT) | instid1(VALU_DEP_2)
	v_and_b32_e32 v27, 3, v27
	v_cmp_eq_u32_e32 vcc_lo, 0, v38
	v_cndmask_b32_e32 v37, v38, v37, vcc_lo
	s_delay_alu instid0(VALU_DEP_3) | instskip(SKIP_1) | instid1(VALU_DEP_3)
	v_cndmask_b32_e32 v27, v36, v27, vcc_lo
	v_and_b32_e32 v36, 0x80000000, v39
	v_lshl_add_u32 v37, v37, 23, 0x37800000
	s_delay_alu instid0(VALU_DEP_3) | instskip(NEXT) | instid1(VALU_DEP_1)
	v_lshlrev_b32_e32 v27, 21, v27
	v_or3_b32 v36, v36, v37, v27
.LBB6_9663:                             ;   in Loop: Header=BB6_8078 Depth=3
	s_or_b32 exec_lo, exec_lo, s17
	s_delay_alu instid0(VALU_DEP_1) | instskip(SKIP_2) | instid1(VALU_DEP_2)
	v_add_f32_e32 v26, v26, v36
	v_mov_b32_e32 v40, 0x80
	s_mov_b32 s17, exec_lo
	v_and_b32_e32 v27, 0x7f800000, v26
	s_delay_alu instid0(VALU_DEP_1)
	v_cmpx_ne_u32_e32 0x7f800000, v27
	s_cbranch_execz .LBB6_9671
; %bb.9664:                             ;   in Loop: Header=BB6_8078 Depth=3
	v_mov_b32_e32 v40, 0
	s_mov_b32 s30, exec_lo
	v_cmpx_ne_u32_e32 0, v26
	s_cbranch_execz .LBB6_9670
; %bb.9665:                             ;   in Loop: Header=BB6_8078 Depth=3
	v_bfe_u32 v27, v26, 23, 8
	s_delay_alu instid0(VALU_DEP_1) | instskip(SKIP_1) | instid1(VALU_DEP_2)
	v_sub_nc_u32_e32 v37, 0x70, v27
	v_cmp_gt_u32_e32 vcc_lo, 0x71, v27
	v_dual_cndmask_b32 v37, 0, v37 :: v_dual_and_b32 v36, 0x7fffff, v26
	s_delay_alu instid0(VALU_DEP_1) | instskip(SKIP_2) | instid1(VALU_DEP_4)
	v_or_b32_e32 v38, 0x800000, v36
	v_cmp_eq_u32_e32 vcc_lo, 0, v27
	v_add_nc_u32_e32 v27, 0xffffff91, v27
	v_cndmask_b32_e64 v37, v37, 0x6f, vcc_lo
	s_delay_alu instid0(VALU_DEP_4) | instskip(NEXT) | instid1(VALU_DEP_3)
	v_cndmask_b32_e32 v36, v38, v36, vcc_lo
	v_cndmask_b32_e64 v27, v27, 0xffffff92, vcc_lo
	s_delay_alu instid0(VALU_DEP_3) | instskip(NEXT) | instid1(VALU_DEP_3)
	v_lshl_add_u32 v38, 0x200000, v37, -1
	v_lshrrev_b32_e32 v39, v37, v36
	v_lshlrev_b32_e64 v49, v37, 0x100000
	s_delay_alu instid0(VALU_DEP_4) | instskip(NEXT) | instid1(VALU_DEP_4)
	v_add_nc_u32_e32 v37, v37, v27
	v_and_b32_e32 v36, v38, v36
	s_delay_alu instid0(VALU_DEP_4) | instskip(NEXT) | instid1(VALU_DEP_2)
	v_bfe_u32 v48, v39, 21, 1
	v_cmp_eq_u32_e64 s13, v36, v49
	s_delay_alu instid0(VALU_DEP_2) | instskip(NEXT) | instid1(VALU_DEP_1)
	v_add_nc_u32_e32 v38, -1, v48
	v_cndmask_b32_e64 v36, 0, v38, s13
	v_lshrrev_b32_e32 v38, 23, v39
	s_mov_b32 s13, exec_lo
	s_delay_alu instid0(VALU_DEP_2) | instskip(NEXT) | instid1(VALU_DEP_2)
	v_add_nc_u32_e32 v36, v36, v39
	v_xor_b32_e32 v38, 1, v38
	s_delay_alu instid0(VALU_DEP_2) | instskip(NEXT) | instid1(VALU_DEP_1)
	v_and_b32_e32 v27, 0x1fffff, v36
	v_add_nc_u32_e32 v36, v27, v39
                                        ; implicit-def: $vgpr27
	s_delay_alu instid0(VALU_DEP_3)
	v_cmpx_ne_u32_e64 v37, v38
	s_xor_b32 s13, exec_lo, s13
; %bb.9666:                             ;   in Loop: Header=BB6_8078 Depth=3
	s_delay_alu instid0(VALU_DEP_2) | instskip(SKIP_2) | instid1(VALU_DEP_2)
	v_cmp_lt_u32_e32 vcc_lo, 0xffffff, v36
	v_sub_nc_u32_e32 v27, v37, v38
	v_cndmask_b32_e64 v37, 0, 1, vcc_lo
	v_add_co_ci_u32_e32 v27, vcc_lo, 0, v27, vcc_lo
	s_delay_alu instid0(VALU_DEP_2)
	v_lshrrev_b32_e32 v36, v37, v36
; %bb.9667:                             ;   in Loop: Header=BB6_8078 Depth=3
	s_and_not1_saveexec_b32 s13, s13
; %bb.9668:                             ;   in Loop: Header=BB6_8078 Depth=3
	s_delay_alu instid0(VALU_DEP_1)
	v_bfe_u32 v27, v36, 23, 1
; %bb.9669:                             ;   in Loop: Header=BB6_8078 Depth=3
	s_or_b32 exec_lo, exec_lo, s13
	v_lshrrev_b32_e32 v36, 21, v36
	s_delay_alu instid0(VALU_DEP_2) | instskip(SKIP_2) | instid1(VALU_DEP_4)
	v_cmp_gt_i32_e32 vcc_lo, 32, v27
	v_lshrrev_b32_e32 v26, 24, v26
	v_min_i32_e32 v37, 31, v27
	v_cndmask_b32_e32 v36, 3, v36, vcc_lo
	s_delay_alu instid0(VALU_DEP_3) | instskip(NEXT) | instid1(VALU_DEP_3)
	v_and_b32_e32 v26, 0x80, v26
	v_lshlrev_b32_e32 v37, 2, v37
	s_delay_alu instid0(VALU_DEP_3) | instskip(SKIP_1) | instid1(VALU_DEP_2)
	v_and_b32_e32 v38, 3, v36
	v_or_b32_e32 v27, v27, v36
	v_or3_b32 v26, v37, v26, v38
	s_delay_alu instid0(VALU_DEP_2) | instskip(NEXT) | instid1(VALU_DEP_2)
	v_cmp_ne_u32_e32 vcc_lo, 0, v27
	v_cndmask_b32_e32 v40, 0, v26, vcc_lo
.LBB6_9670:                             ;   in Loop: Header=BB6_8078 Depth=3
	s_or_b32 exec_lo, exec_lo, s30
.LBB6_9671:                             ;   in Loop: Header=BB6_8078 Depth=3
	s_delay_alu instid0(SALU_CYCLE_1) | instskip(SKIP_3) | instid1(VALU_DEP_1)
	s_or_b32 exec_lo, exec_lo, s17
	v_and_b32_e32 v27, 0xff, v182
	s_mov_b32 s13, 0
	s_mov_b32 s30, exec_lo
                                        ; implicit-def: $sgpr17
	v_cmpx_lt_i16_e32 0x7f, v27
	s_xor_b32 s30, exec_lo, s30
	s_cbranch_execnz .LBB6_10541
; %bb.9672:                             ;   in Loop: Header=BB6_8078 Depth=3
	s_or_saveexec_b32 s30, s30
	v_mov_b32_e32 v26, s17
	s_xor_b32 exec_lo, exec_lo, s30
	s_cbranch_execnz .LBB6_10544
.LBB6_9673:                             ;   in Loop: Header=BB6_8078 Depth=3
	s_or_b32 exec_lo, exec_lo, s30
	s_and_saveexec_b32 s17, s13
	s_cbranch_execz .LBB6_9675
.LBB6_9674:                             ;   in Loop: Header=BB6_8078 Depth=3
	v_lshlrev_b32_e32 v26, 8, v182
	s_delay_alu instid0(VALU_DEP_1) | instskip(SKIP_1) | instid1(VALU_DEP_2)
	v_and_b32_e32 v36, 0xff00, v26
	v_bfe_u32 v26, v26, 10, 5
	v_bfe_u32 v37, v36, 8, 2
	s_delay_alu instid0(VALU_DEP_2) | instskip(SKIP_1) | instid1(VALU_DEP_3)
	v_cmp_eq_u32_e32 vcc_lo, 0, v26
	v_lshlrev_b32_e32 v36, 16, v36
	v_clz_i32_u32_e32 v38, v37
	s_delay_alu instid0(VALU_DEP_2) | instskip(NEXT) | instid1(VALU_DEP_2)
	v_and_b32_e32 v36, 0x80000000, v36
	v_min_u32_e32 v38, 32, v38
	s_delay_alu instid0(VALU_DEP_1) | instskip(SKIP_1) | instid1(VALU_DEP_1)
	v_subrev_nc_u32_e32 v39, 29, v38
	v_sub_nc_u32_e32 v38, 30, v38
	v_dual_cndmask_b32 v26, v26, v38 :: v_dual_lshlrev_b32 v27, v39, v27
	s_delay_alu instid0(VALU_DEP_1) | instskip(NEXT) | instid1(VALU_DEP_2)
	v_and_b32_e32 v27, 3, v27
	v_lshl_add_u32 v26, v26, 23, 0x37800000
	s_delay_alu instid0(VALU_DEP_2) | instskip(NEXT) | instid1(VALU_DEP_1)
	v_cndmask_b32_e32 v27, v37, v27, vcc_lo
	v_lshlrev_b32_e32 v27, 21, v27
	s_delay_alu instid0(VALU_DEP_1)
	v_or3_b32 v26, v36, v26, v27
.LBB6_9675:                             ;   in Loop: Header=BB6_8078 Depth=3
	s_or_b32 exec_lo, exec_lo, s17
	v_lshrrev_b32_e32 v27, 24, v8
	s_mov_b32 s13, 0
	s_mov_b32 s30, exec_lo
                                        ; implicit-def: $sgpr17
	s_delay_alu instid0(VALU_DEP_1)
	v_cmpx_lt_i16_e32 0x7f, v27
	s_xor_b32 s30, exec_lo, s30
	s_cbranch_execnz .LBB6_10545
; %bb.9676:                             ;   in Loop: Header=BB6_8078 Depth=3
	s_or_saveexec_b32 s30, s30
	v_mov_b32_e32 v36, s17
	s_xor_b32 exec_lo, exec_lo, s30
	s_cbranch_execnz .LBB6_10548
.LBB6_9677:                             ;   in Loop: Header=BB6_8078 Depth=3
	s_or_b32 exec_lo, exec_lo, s30
	s_and_saveexec_b32 s17, s13
	s_cbranch_execz .LBB6_9679
.LBB6_9678:                             ;   in Loop: Header=BB6_8078 Depth=3
	v_bfe_u32 v36, v8, 24, 2
	s_delay_alu instid0(VALU_DEP_1) | instskip(NEXT) | instid1(VALU_DEP_1)
	v_clz_i32_u32_e32 v37, v36
	v_min_u32_e32 v37, 32, v37
	s_delay_alu instid0(VALU_DEP_1) | instskip(SKIP_1) | instid1(VALU_DEP_2)
	v_subrev_nc_u32_e32 v38, 29, v37
	v_sub_nc_u32_e32 v37, 30, v37
	v_lshlrev_b32_e32 v27, v38, v27
	v_bfe_u32 v38, v8, 26, 5
	v_and_b32_e32 v8, 0x80000000, v8
	s_delay_alu instid0(VALU_DEP_3) | instskip(NEXT) | instid1(VALU_DEP_3)
	v_and_b32_e32 v27, 3, v27
	v_cmp_eq_u32_e32 vcc_lo, 0, v38
	v_cndmask_b32_e32 v37, v38, v37, vcc_lo
	s_delay_alu instid0(VALU_DEP_3) | instskip(NEXT) | instid1(VALU_DEP_2)
	v_cndmask_b32_e32 v27, v36, v27, vcc_lo
	v_lshl_add_u32 v36, v37, 23, 0x37800000
	s_delay_alu instid0(VALU_DEP_2) | instskip(NEXT) | instid1(VALU_DEP_1)
	v_lshlrev_b32_e32 v27, 21, v27
	v_or3_b32 v36, v8, v36, v27
.LBB6_9679:                             ;   in Loop: Header=BB6_8078 Depth=3
	s_or_b32 exec_lo, exec_lo, s17
	s_delay_alu instid0(VALU_DEP_1) | instskip(NEXT) | instid1(VALU_DEP_1)
	v_add_f32_e32 v26, v26, v36
	v_and_b32_e32 v8, 0x7f800000, v26
	s_delay_alu instid0(VALU_DEP_1)
	v_cmp_ne_u32_e32 vcc_lo, 0x7f800000, v8
	v_mov_b32_e32 v8, 0x80
	s_and_saveexec_b32 s17, vcc_lo
	s_cbranch_execz .LBB6_9687
; %bb.9680:                             ;   in Loop: Header=BB6_8078 Depth=3
	v_mov_b32_e32 v8, 0
	s_mov_b32 s30, exec_lo
	v_cmpx_ne_u32_e32 0, v26
	s_cbranch_execz .LBB6_9686
; %bb.9681:                             ;   in Loop: Header=BB6_8078 Depth=3
	v_bfe_u32 v8, v26, 23, 8
	s_delay_alu instid0(VALU_DEP_1) | instskip(SKIP_1) | instid1(VALU_DEP_2)
	v_sub_nc_u32_e32 v36, 0x70, v8
	v_cmp_gt_u32_e32 vcc_lo, 0x71, v8
	v_dual_cndmask_b32 v36, 0, v36 :: v_dual_and_b32 v27, 0x7fffff, v26
	s_delay_alu instid0(VALU_DEP_1) | instskip(SKIP_2) | instid1(VALU_DEP_4)
	v_or_b32_e32 v37, 0x800000, v27
	v_cmp_eq_u32_e32 vcc_lo, 0, v8
	v_add_nc_u32_e32 v8, 0xffffff91, v8
	v_cndmask_b32_e64 v36, v36, 0x6f, vcc_lo
	s_delay_alu instid0(VALU_DEP_4) | instskip(NEXT) | instid1(VALU_DEP_3)
	v_cndmask_b32_e32 v27, v37, v27, vcc_lo
	v_cndmask_b32_e64 v8, v8, 0xffffff92, vcc_lo
	s_delay_alu instid0(VALU_DEP_3) | instskip(NEXT) | instid1(VALU_DEP_3)
	v_lshl_add_u32 v37, 0x200000, v36, -1
	v_lshrrev_b32_e32 v38, v36, v27
	v_lshlrev_b32_e64 v48, v36, 0x100000
	s_delay_alu instid0(VALU_DEP_4) | instskip(NEXT) | instid1(VALU_DEP_4)
	v_add_nc_u32_e32 v36, v36, v8
	v_and_b32_e32 v27, v37, v27
	s_delay_alu instid0(VALU_DEP_4) | instskip(NEXT) | instid1(VALU_DEP_2)
	v_bfe_u32 v39, v38, 21, 1
	v_cmp_eq_u32_e64 s13, v27, v48
	s_delay_alu instid0(VALU_DEP_2) | instskip(NEXT) | instid1(VALU_DEP_1)
	v_add_nc_u32_e32 v37, -1, v39
	v_cndmask_b32_e64 v27, 0, v37, s13
	v_lshrrev_b32_e32 v37, 23, v38
	s_mov_b32 s13, exec_lo
	s_delay_alu instid0(VALU_DEP_2) | instskip(NEXT) | instid1(VALU_DEP_2)
	v_add_nc_u32_e32 v27, v27, v38
	v_xor_b32_e32 v37, 1, v37
	s_delay_alu instid0(VALU_DEP_2) | instskip(NEXT) | instid1(VALU_DEP_1)
	v_and_b32_e32 v8, 0x1fffff, v27
	v_add_nc_u32_e32 v27, v8, v38
                                        ; implicit-def: $vgpr8
	s_delay_alu instid0(VALU_DEP_3)
	v_cmpx_ne_u32_e64 v36, v37
	s_xor_b32 s13, exec_lo, s13
; %bb.9682:                             ;   in Loop: Header=BB6_8078 Depth=3
	s_delay_alu instid0(VALU_DEP_2) | instskip(SKIP_2) | instid1(VALU_DEP_2)
	v_cmp_lt_u32_e32 vcc_lo, 0xffffff, v27
	v_sub_nc_u32_e32 v8, v36, v37
	v_cndmask_b32_e64 v36, 0, 1, vcc_lo
	v_add_co_ci_u32_e32 v8, vcc_lo, 0, v8, vcc_lo
	s_delay_alu instid0(VALU_DEP_2)
	v_lshrrev_b32_e32 v27, v36, v27
; %bb.9683:                             ;   in Loop: Header=BB6_8078 Depth=3
	s_and_not1_saveexec_b32 s13, s13
; %bb.9684:                             ;   in Loop: Header=BB6_8078 Depth=3
	s_delay_alu instid0(VALU_DEP_1)
	v_bfe_u32 v8, v27, 23, 1
; %bb.9685:                             ;   in Loop: Header=BB6_8078 Depth=3
	s_or_b32 exec_lo, exec_lo, s13
	v_lshrrev_b32_e32 v27, 21, v27
	s_delay_alu instid0(VALU_DEP_2) | instskip(SKIP_2) | instid1(VALU_DEP_2)
	v_cmp_gt_i32_e32 vcc_lo, 32, v8
	v_lshrrev_b32_e32 v26, 24, v26
	v_min_i32_e32 v36, 31, v8
	v_dual_cndmask_b32 v27, 3, v27 :: v_dual_and_b32 v26, 0x80, v26
	s_delay_alu instid0(VALU_DEP_2) | instskip(NEXT) | instid1(VALU_DEP_2)
	v_lshlrev_b32_e32 v36, 2, v36
	v_or_b32_e32 v8, v8, v27
	s_delay_alu instid0(VALU_DEP_1) | instskip(SKIP_1) | instid1(VALU_DEP_1)
	v_cmp_ne_u32_e32 vcc_lo, 0, v8
	v_and_b32_e32 v37, 3, v27
	v_or3_b32 v26, v36, v26, v37
	s_delay_alu instid0(VALU_DEP_1)
	v_cndmask_b32_e32 v8, 0, v26, vcc_lo
.LBB6_9686:                             ;   in Loop: Header=BB6_8078 Depth=3
	s_or_b32 exec_lo, exec_lo, s30
.LBB6_9687:                             ;   in Loop: Header=BB6_8078 Depth=3
	s_delay_alu instid0(SALU_CYCLE_1) | instskip(SKIP_3) | instid1(VALU_DEP_1)
	s_or_b32 exec_lo, exec_lo, s17
	v_or_b32_e32 v26, v54, v52
	s_mov_b32 s13, 0
	s_mov_b32 s30, exec_lo
                                        ; implicit-def: $sgpr17
	v_and_b32_e32 v36, 0xff, v26
	s_delay_alu instid0(VALU_DEP_1)
	v_cmpx_lt_i16_e32 0x7f, v36
	s_xor_b32 s30, exec_lo, s30
	s_cbranch_execnz .LBB6_10549
; %bb.9688:                             ;   in Loop: Header=BB6_8078 Depth=3
	s_or_saveexec_b32 s30, s30
	v_mov_b32_e32 v27, s17
	s_xor_b32 exec_lo, exec_lo, s30
	s_cbranch_execnz .LBB6_10552
.LBB6_9689:                             ;   in Loop: Header=BB6_8078 Depth=3
	s_or_b32 exec_lo, exec_lo, s30
	s_and_saveexec_b32 s17, s13
	s_cbranch_execz .LBB6_9691
.LBB6_9690:                             ;   in Loop: Header=BB6_8078 Depth=3
	v_bfe_u32 v38, v26, 2, 5
	v_lshlrev_b32_e32 v39, 24, v26
	s_delay_alu instid0(VALU_DEP_2) | instskip(SKIP_1) | instid1(VALU_DEP_1)
	v_cmp_eq_u32_e32 vcc_lo, 0, v38
	v_and_b32_e32 v27, 3, v26
	v_clz_i32_u32_e32 v36, v27
	s_delay_alu instid0(VALU_DEP_1) | instskip(NEXT) | instid1(VALU_DEP_1)
	v_min_u32_e32 v36, 32, v36
	v_subrev_nc_u32_e32 v37, 29, v36
	v_sub_nc_u32_e32 v36, 30, v36
	s_delay_alu instid0(VALU_DEP_1) | instskip(NEXT) | instid1(VALU_DEP_1)
	v_dual_cndmask_b32 v36, v38, v36 :: v_dual_lshlrev_b32 v37, v37, v26
	v_and_b32_e32 v37, 3, v37
	s_delay_alu instid0(VALU_DEP_2) | instskip(NEXT) | instid1(VALU_DEP_2)
	v_lshl_add_u32 v36, v36, 23, 0x37800000
	v_cndmask_b32_e32 v27, v27, v37, vcc_lo
	v_and_b32_e32 v37, 0x80000000, v39
	s_delay_alu instid0(VALU_DEP_2) | instskip(NEXT) | instid1(VALU_DEP_1)
	v_lshlrev_b32_e32 v27, 21, v27
	v_or3_b32 v27, v37, v36, v27
.LBB6_9691:                             ;   in Loop: Header=BB6_8078 Depth=3
	s_or_b32 exec_lo, exec_lo, s17
	v_and_b32_e32 v37, 0xff, v9
	s_mov_b32 s13, 0
	s_mov_b32 s30, exec_lo
                                        ; implicit-def: $sgpr17
	s_delay_alu instid0(VALU_DEP_1)
	v_cmpx_lt_i16_e32 0x7f, v37
	s_xor_b32 s30, exec_lo, s30
	s_cbranch_execnz .LBB6_10553
; %bb.9692:                             ;   in Loop: Header=BB6_8078 Depth=3
	s_or_saveexec_b32 s30, s30
	v_mov_b32_e32 v36, s17
	s_xor_b32 exec_lo, exec_lo, s30
	s_cbranch_execnz .LBB6_10556
.LBB6_9693:                             ;   in Loop: Header=BB6_8078 Depth=3
	s_or_b32 exec_lo, exec_lo, s30
	s_and_saveexec_b32 s17, s13
	s_cbranch_execz .LBB6_9695
.LBB6_9694:                             ;   in Loop: Header=BB6_8078 Depth=3
	v_and_b32_e32 v36, 3, v9
	v_bfe_u32 v39, v9, 2, 5
	v_lshlrev_b32_e32 v48, 24, v9
	s_delay_alu instid0(VALU_DEP_3) | instskip(NEXT) | instid1(VALU_DEP_3)
	v_clz_i32_u32_e32 v37, v36
	v_cmp_eq_u32_e32 vcc_lo, 0, v39
	s_delay_alu instid0(VALU_DEP_2) | instskip(NEXT) | instid1(VALU_DEP_1)
	v_min_u32_e32 v37, 32, v37
	v_subrev_nc_u32_e32 v38, 29, v37
	v_sub_nc_u32_e32 v37, 30, v37
	s_delay_alu instid0(VALU_DEP_2) | instskip(NEXT) | instid1(VALU_DEP_1)
	v_lshlrev_b32_e32 v38, v38, v9
	v_dual_cndmask_b32 v37, v39, v37 :: v_dual_and_b32 v38, 3, v38
	s_delay_alu instid0(VALU_DEP_1) | instskip(NEXT) | instid1(VALU_DEP_2)
	v_lshl_add_u32 v37, v37, 23, 0x37800000
	v_cndmask_b32_e32 v36, v36, v38, vcc_lo
	v_and_b32_e32 v38, 0x80000000, v48
	s_delay_alu instid0(VALU_DEP_2) | instskip(NEXT) | instid1(VALU_DEP_1)
	v_lshlrev_b32_e32 v36, 21, v36
	v_or3_b32 v36, v38, v37, v36
.LBB6_9695:                             ;   in Loop: Header=BB6_8078 Depth=3
	s_or_b32 exec_lo, exec_lo, s17
	s_delay_alu instid0(VALU_DEP_1) | instskip(SKIP_2) | instid1(VALU_DEP_2)
	v_add_f32_e32 v27, v27, v36
	v_mov_b32_e32 v129, 0x80
	s_mov_b32 s17, exec_lo
	v_and_b32_e32 v36, 0x7f800000, v27
	s_delay_alu instid0(VALU_DEP_1)
	v_cmpx_ne_u32_e32 0x7f800000, v36
	s_cbranch_execz .LBB6_9703
; %bb.9696:                             ;   in Loop: Header=BB6_8078 Depth=3
	v_mov_b32_e32 v129, 0
	s_mov_b32 s30, exec_lo
	v_cmpx_ne_u32_e32 0, v27
	s_cbranch_execz .LBB6_9702
; %bb.9697:                             ;   in Loop: Header=BB6_8078 Depth=3
	v_bfe_u32 v36, v27, 23, 8
	s_delay_alu instid0(VALU_DEP_1) | instskip(SKIP_1) | instid1(VALU_DEP_2)
	v_sub_nc_u32_e32 v38, 0x70, v36
	v_cmp_gt_u32_e32 vcc_lo, 0x71, v36
	v_dual_cndmask_b32 v38, 0, v38 :: v_dual_and_b32 v37, 0x7fffff, v27
	s_delay_alu instid0(VALU_DEP_1) | instskip(SKIP_2) | instid1(VALU_DEP_4)
	v_or_b32_e32 v39, 0x800000, v37
	v_cmp_eq_u32_e32 vcc_lo, 0, v36
	v_add_nc_u32_e32 v36, 0xffffff91, v36
	v_cndmask_b32_e64 v38, v38, 0x6f, vcc_lo
	s_delay_alu instid0(VALU_DEP_4) | instskip(NEXT) | instid1(VALU_DEP_3)
	v_cndmask_b32_e32 v37, v39, v37, vcc_lo
	v_cndmask_b32_e64 v36, v36, 0xffffff92, vcc_lo
	s_delay_alu instid0(VALU_DEP_3) | instskip(NEXT) | instid1(VALU_DEP_3)
	v_lshl_add_u32 v39, 0x200000, v38, -1
	v_lshrrev_b32_e32 v48, v38, v37
	v_lshlrev_b32_e64 v50, v38, 0x100000
	s_delay_alu instid0(VALU_DEP_4) | instskip(NEXT) | instid1(VALU_DEP_4)
	v_add_nc_u32_e32 v38, v38, v36
	v_and_b32_e32 v37, v39, v37
	s_delay_alu instid0(VALU_DEP_4) | instskip(NEXT) | instid1(VALU_DEP_2)
	v_bfe_u32 v49, v48, 21, 1
	v_cmp_eq_u32_e64 s13, v37, v50
	s_delay_alu instid0(VALU_DEP_2) | instskip(NEXT) | instid1(VALU_DEP_1)
	v_add_nc_u32_e32 v39, -1, v49
	v_cndmask_b32_e64 v37, 0, v39, s13
	v_lshrrev_b32_e32 v39, 23, v48
	s_mov_b32 s13, exec_lo
	s_delay_alu instid0(VALU_DEP_2) | instskip(NEXT) | instid1(VALU_DEP_2)
	v_add_nc_u32_e32 v37, v37, v48
	v_xor_b32_e32 v39, 1, v39
	s_delay_alu instid0(VALU_DEP_2) | instskip(NEXT) | instid1(VALU_DEP_1)
	v_and_b32_e32 v36, 0x1fffff, v37
	v_add_nc_u32_e32 v37, v36, v48
                                        ; implicit-def: $vgpr36
	s_delay_alu instid0(VALU_DEP_3)
	v_cmpx_ne_u32_e64 v38, v39
	s_xor_b32 s13, exec_lo, s13
; %bb.9698:                             ;   in Loop: Header=BB6_8078 Depth=3
	s_delay_alu instid0(VALU_DEP_2) | instskip(SKIP_2) | instid1(VALU_DEP_2)
	v_cmp_lt_u32_e32 vcc_lo, 0xffffff, v37
	v_sub_nc_u32_e32 v36, v38, v39
	v_cndmask_b32_e64 v38, 0, 1, vcc_lo
	v_add_co_ci_u32_e32 v36, vcc_lo, 0, v36, vcc_lo
	s_delay_alu instid0(VALU_DEP_2)
	v_lshrrev_b32_e32 v37, v38, v37
; %bb.9699:                             ;   in Loop: Header=BB6_8078 Depth=3
	s_and_not1_saveexec_b32 s13, s13
; %bb.9700:                             ;   in Loop: Header=BB6_8078 Depth=3
	s_delay_alu instid0(VALU_DEP_1)
	v_bfe_u32 v36, v37, 23, 1
; %bb.9701:                             ;   in Loop: Header=BB6_8078 Depth=3
	s_or_b32 exec_lo, exec_lo, s13
	v_lshrrev_b32_e32 v37, 21, v37
	s_delay_alu instid0(VALU_DEP_2) | instskip(SKIP_2) | instid1(VALU_DEP_4)
	v_cmp_gt_i32_e32 vcc_lo, 32, v36
	v_lshrrev_b32_e32 v27, 24, v27
	v_min_i32_e32 v38, 31, v36
	v_cndmask_b32_e32 v37, 3, v37, vcc_lo
	s_delay_alu instid0(VALU_DEP_3) | instskip(NEXT) | instid1(VALU_DEP_3)
	v_and_b32_e32 v27, 0x80, v27
	v_lshlrev_b32_e32 v38, 2, v38
	s_delay_alu instid0(VALU_DEP_3) | instskip(SKIP_1) | instid1(VALU_DEP_2)
	v_and_b32_e32 v39, 3, v37
	v_or_b32_e32 v36, v36, v37
	v_or3_b32 v27, v38, v27, v39
	s_delay_alu instid0(VALU_DEP_2) | instskip(NEXT) | instid1(VALU_DEP_2)
	v_cmp_ne_u32_e32 vcc_lo, 0, v36
	v_cndmask_b32_e32 v129, 0, v27, vcc_lo
.LBB6_9702:                             ;   in Loop: Header=BB6_8078 Depth=3
	s_or_b32 exec_lo, exec_lo, s30
.LBB6_9703:                             ;   in Loop: Header=BB6_8078 Depth=3
	s_delay_alu instid0(SALU_CYCLE_1) | instskip(SKIP_3) | instid1(VALU_DEP_1)
	s_or_b32 exec_lo, exec_lo, s17
	v_lshrrev_b16 v36, 8, v26
	s_mov_b32 s13, 0
	s_mov_b32 s30, exec_lo
                                        ; implicit-def: $sgpr17
	v_cmpx_lt_i16_e32 0x7f, v36
	s_xor_b32 s30, exec_lo, s30
	s_cbranch_execnz .LBB6_10557
; %bb.9704:                             ;   in Loop: Header=BB6_8078 Depth=3
	s_or_saveexec_b32 s30, s30
	v_mov_b32_e32 v27, s17
	s_xor_b32 exec_lo, exec_lo, s30
	s_cbranch_execnz .LBB6_10560
.LBB6_9705:                             ;   in Loop: Header=BB6_8078 Depth=3
	s_or_b32 exec_lo, exec_lo, s30
	s_and_saveexec_b32 s17, s13
	s_cbranch_execz .LBB6_9707
.LBB6_9706:                             ;   in Loop: Header=BB6_8078 Depth=3
	v_and_b32_e32 v27, 0xffff, v36
	s_delay_alu instid0(VALU_DEP_1) | instskip(NEXT) | instid1(VALU_DEP_1)
	v_and_b32_e32 v37, 3, v27
	v_clz_i32_u32_e32 v38, v37
	s_delay_alu instid0(VALU_DEP_1) | instskip(NEXT) | instid1(VALU_DEP_1)
	v_min_u32_e32 v38, 32, v38
	v_subrev_nc_u32_e32 v39, 29, v38
	v_sub_nc_u32_e32 v38, 30, v38
	s_delay_alu instid0(VALU_DEP_2) | instskip(SKIP_1) | instid1(VALU_DEP_2)
	v_lshlrev_b32_e32 v39, v39, v27
	v_bfe_u32 v27, v27, 2, 5
	v_and_b32_e32 v39, 3, v39
	s_delay_alu instid0(VALU_DEP_2) | instskip(SKIP_1) | instid1(VALU_DEP_1)
	v_cmp_eq_u32_e32 vcc_lo, 0, v27
	v_dual_cndmask_b32 v27, v27, v38 :: v_dual_lshlrev_b32 v36, 24, v36
	v_dual_cndmask_b32 v37, v37, v39 :: v_dual_and_b32 v36, 0x80000000, v36
	s_delay_alu instid0(VALU_DEP_2) | instskip(NEXT) | instid1(VALU_DEP_2)
	v_lshl_add_u32 v27, v27, 23, 0x37800000
	v_lshlrev_b32_e32 v37, 21, v37
	s_delay_alu instid0(VALU_DEP_1)
	v_or3_b32 v27, v36, v27, v37
.LBB6_9707:                             ;   in Loop: Header=BB6_8078 Depth=3
	s_or_b32 exec_lo, exec_lo, s17
	v_lshrrev_b16 v36, 8, v9
	s_mov_b32 s13, 0
	s_mov_b32 s30, exec_lo
                                        ; implicit-def: $sgpr17
	s_delay_alu instid0(VALU_DEP_1)
	v_cmpx_lt_i16_e32 0x7f, v36
	s_xor_b32 s30, exec_lo, s30
	s_cbranch_execnz .LBB6_10561
; %bb.9708:                             ;   in Loop: Header=BB6_8078 Depth=3
	s_or_saveexec_b32 s30, s30
	v_mov_b32_e32 v37, s17
	s_xor_b32 exec_lo, exec_lo, s30
	s_cbranch_execnz .LBB6_10564
.LBB6_9709:                             ;   in Loop: Header=BB6_8078 Depth=3
	s_or_b32 exec_lo, exec_lo, s30
	s_and_saveexec_b32 s17, s13
	s_cbranch_execz .LBB6_9711
.LBB6_9710:                             ;   in Loop: Header=BB6_8078 Depth=3
	v_and_b32_e32 v37, 0xffff, v36
	v_lshlrev_b32_e32 v36, 24, v36
	s_delay_alu instid0(VALU_DEP_2) | instskip(NEXT) | instid1(VALU_DEP_2)
	v_and_b32_e32 v38, 3, v37
	v_and_b32_e32 v36, 0x80000000, v36
	s_delay_alu instid0(VALU_DEP_2) | instskip(NEXT) | instid1(VALU_DEP_1)
	v_clz_i32_u32_e32 v39, v38
	v_min_u32_e32 v39, 32, v39
	s_delay_alu instid0(VALU_DEP_1) | instskip(SKIP_1) | instid1(VALU_DEP_2)
	v_subrev_nc_u32_e32 v48, 29, v39
	v_sub_nc_u32_e32 v39, 30, v39
	v_lshlrev_b32_e32 v48, v48, v37
	v_bfe_u32 v37, v37, 2, 5
	s_delay_alu instid0(VALU_DEP_2) | instskip(NEXT) | instid1(VALU_DEP_2)
	v_and_b32_e32 v48, 3, v48
	v_cmp_eq_u32_e32 vcc_lo, 0, v37
	s_delay_alu instid0(VALU_DEP_2) | instskip(NEXT) | instid1(VALU_DEP_1)
	v_dual_cndmask_b32 v37, v37, v39 :: v_dual_cndmask_b32 v38, v38, v48
	v_lshl_add_u32 v37, v37, 23, 0x37800000
	s_delay_alu instid0(VALU_DEP_2) | instskip(NEXT) | instid1(VALU_DEP_1)
	v_lshlrev_b32_e32 v38, 21, v38
	v_or3_b32 v37, v36, v37, v38
.LBB6_9711:                             ;   in Loop: Header=BB6_8078 Depth=3
	s_or_b32 exec_lo, exec_lo, s17
	s_delay_alu instid0(VALU_DEP_1) | instskip(SKIP_2) | instid1(VALU_DEP_2)
	v_add_f32_e32 v27, v27, v37
	v_mov_b32_e32 v115, 0x8000
	s_mov_b32 s17, exec_lo
	v_and_b32_e32 v36, 0x7f800000, v27
	s_delay_alu instid0(VALU_DEP_1)
	v_cmpx_ne_u32_e32 0x7f800000, v36
	s_cbranch_execz .LBB6_9719
; %bb.9712:                             ;   in Loop: Header=BB6_8078 Depth=3
	v_mov_b32_e32 v115, 0
	s_mov_b32 s30, exec_lo
	v_cmpx_ne_u32_e32 0, v27
	s_cbranch_execz .LBB6_9718
; %bb.9713:                             ;   in Loop: Header=BB6_8078 Depth=3
	v_bfe_u32 v36, v27, 23, 8
	s_delay_alu instid0(VALU_DEP_1) | instskip(SKIP_1) | instid1(VALU_DEP_2)
	v_sub_nc_u32_e32 v38, 0x70, v36
	v_cmp_gt_u32_e32 vcc_lo, 0x71, v36
	v_dual_cndmask_b32 v38, 0, v38 :: v_dual_and_b32 v37, 0x7fffff, v27
	s_delay_alu instid0(VALU_DEP_1) | instskip(SKIP_2) | instid1(VALU_DEP_4)
	v_or_b32_e32 v39, 0x800000, v37
	v_cmp_eq_u32_e32 vcc_lo, 0, v36
	v_add_nc_u32_e32 v36, 0xffffff91, v36
	v_cndmask_b32_e64 v38, v38, 0x6f, vcc_lo
	s_delay_alu instid0(VALU_DEP_4) | instskip(NEXT) | instid1(VALU_DEP_3)
	v_cndmask_b32_e32 v37, v39, v37, vcc_lo
	v_cndmask_b32_e64 v36, v36, 0xffffff92, vcc_lo
	s_delay_alu instid0(VALU_DEP_3) | instskip(NEXT) | instid1(VALU_DEP_3)
	v_lshl_add_u32 v39, 0x200000, v38, -1
	v_lshrrev_b32_e32 v48, v38, v37
	v_lshlrev_b32_e64 v50, v38, 0x100000
	s_delay_alu instid0(VALU_DEP_4) | instskip(NEXT) | instid1(VALU_DEP_4)
	v_add_nc_u32_e32 v38, v38, v36
	v_and_b32_e32 v37, v39, v37
	s_delay_alu instid0(VALU_DEP_4) | instskip(NEXT) | instid1(VALU_DEP_2)
	v_bfe_u32 v49, v48, 21, 1
	v_cmp_eq_u32_e64 s13, v37, v50
	s_delay_alu instid0(VALU_DEP_2) | instskip(NEXT) | instid1(VALU_DEP_1)
	v_add_nc_u32_e32 v39, -1, v49
	v_cndmask_b32_e64 v37, 0, v39, s13
	v_lshrrev_b32_e32 v39, 23, v48
	s_mov_b32 s13, exec_lo
	s_delay_alu instid0(VALU_DEP_2) | instskip(NEXT) | instid1(VALU_DEP_2)
	v_add_nc_u32_e32 v37, v37, v48
	v_xor_b32_e32 v39, 1, v39
	s_delay_alu instid0(VALU_DEP_2) | instskip(NEXT) | instid1(VALU_DEP_1)
	v_and_b32_e32 v36, 0x1fffff, v37
	v_add_nc_u32_e32 v37, v36, v48
                                        ; implicit-def: $vgpr36
	s_delay_alu instid0(VALU_DEP_3)
	v_cmpx_ne_u32_e64 v38, v39
	s_xor_b32 s13, exec_lo, s13
; %bb.9714:                             ;   in Loop: Header=BB6_8078 Depth=3
	s_delay_alu instid0(VALU_DEP_2) | instskip(SKIP_2) | instid1(VALU_DEP_2)
	v_cmp_lt_u32_e32 vcc_lo, 0xffffff, v37
	v_sub_nc_u32_e32 v36, v38, v39
	v_cndmask_b32_e64 v38, 0, 1, vcc_lo
	v_add_co_ci_u32_e32 v36, vcc_lo, 0, v36, vcc_lo
	s_delay_alu instid0(VALU_DEP_2)
	v_lshrrev_b32_e32 v37, v38, v37
; %bb.9715:                             ;   in Loop: Header=BB6_8078 Depth=3
	s_and_not1_saveexec_b32 s13, s13
; %bb.9716:                             ;   in Loop: Header=BB6_8078 Depth=3
	s_delay_alu instid0(VALU_DEP_1)
	v_bfe_u32 v36, v37, 23, 1
; %bb.9717:                             ;   in Loop: Header=BB6_8078 Depth=3
	s_or_b32 exec_lo, exec_lo, s13
	v_lshrrev_b32_e32 v37, 21, v37
	s_delay_alu instid0(VALU_DEP_2) | instskip(SKIP_2) | instid1(VALU_DEP_2)
	v_cmp_gt_i32_e32 vcc_lo, 32, v36
	v_min_i32_e32 v38, 31, v36
	v_lshrrev_b32_e32 v27, 24, v27
	v_dual_cndmask_b32 v37, 3, v37 :: v_dual_lshlrev_b32 v38, 2, v38
	s_delay_alu instid0(VALU_DEP_2) | instskip(NEXT) | instid1(VALU_DEP_2)
	v_and_b32_e32 v27, 0x80, v27
	v_or_b32_e32 v36, v36, v37
	v_and_b32_e32 v39, 3, v37
	s_delay_alu instid0(VALU_DEP_2) | instskip(SKIP_1) | instid1(VALU_DEP_1)
	v_cmp_ne_u32_e32 vcc_lo, 0, v36
	v_and_b32_e32 v38, 0xfc, v38
	v_or3_b32 v27, v27, v38, v39
	s_delay_alu instid0(VALU_DEP_1) | instskip(NEXT) | instid1(VALU_DEP_1)
	v_lshlrev_b32_e32 v27, 8, v27
	v_cndmask_b32_e32 v115, 0, v27, vcc_lo
.LBB6_9718:                             ;   in Loop: Header=BB6_8078 Depth=3
	s_or_b32 exec_lo, exec_lo, s30
.LBB6_9719:                             ;   in Loop: Header=BB6_8078 Depth=3
	s_delay_alu instid0(SALU_CYCLE_1) | instskip(SKIP_3) | instid1(VALU_DEP_1)
	s_or_b32 exec_lo, exec_lo, s17
	v_or_b32_e32 v36, v53, v51
	s_mov_b32 s13, 0
	s_mov_b32 s30, exec_lo
                                        ; implicit-def: $sgpr17
	v_and_b32_e32 v37, 0xff, v36
	s_delay_alu instid0(VALU_DEP_1)
	v_cmpx_lt_i16_e32 0x7f, v37
	s_xor_b32 s30, exec_lo, s30
	s_cbranch_execnz .LBB6_10565
; %bb.9720:                             ;   in Loop: Header=BB6_8078 Depth=3
	s_or_saveexec_b32 s30, s30
	v_mov_b32_e32 v27, s17
	s_xor_b32 exec_lo, exec_lo, s30
	s_cbranch_execnz .LBB6_10568
.LBB6_9721:                             ;   in Loop: Header=BB6_8078 Depth=3
	s_or_b32 exec_lo, exec_lo, s30
	v_lshl_or_b32 v26, v36, 16, v26
	s_and_saveexec_b32 s17, s13
	s_cbranch_execz .LBB6_9723
.LBB6_9722:                             ;   in Loop: Header=BB6_8078 Depth=3
	s_delay_alu instid0(VALU_DEP_1) | instskip(SKIP_2) | instid1(VALU_DEP_3)
	v_bfe_u32 v27, v26, 16, 2
	v_lshrrev_b32_e32 v37, 16, v26
	v_lshlrev_b32_e32 v39, 8, v26
	v_clz_i32_u32_e32 v36, v27
	s_delay_alu instid0(VALU_DEP_1) | instskip(NEXT) | instid1(VALU_DEP_1)
	v_min_u32_e32 v36, 32, v36
	v_subrev_nc_u32_e32 v38, 29, v36
	v_sub_nc_u32_e32 v36, 30, v36
	s_delay_alu instid0(VALU_DEP_2) | instskip(SKIP_1) | instid1(VALU_DEP_1)
	v_lshlrev_b32_e32 v37, v38, v37
	v_bfe_u32 v38, v26, 18, 5
	v_cmp_eq_u32_e32 vcc_lo, 0, v38
	s_delay_alu instid0(VALU_DEP_3) | instskip(NEXT) | instid1(VALU_DEP_1)
	v_dual_cndmask_b32 v36, v38, v36 :: v_dual_and_b32 v37, 3, v37
	v_cndmask_b32_e32 v27, v27, v37, vcc_lo
	v_and_b32_e32 v37, 0x80000000, v39
	s_delay_alu instid0(VALU_DEP_3) | instskip(NEXT) | instid1(VALU_DEP_3)
	v_lshl_add_u32 v36, v36, 23, 0x37800000
	v_lshlrev_b32_e32 v27, 21, v27
	s_delay_alu instid0(VALU_DEP_1)
	v_or3_b32 v27, v37, v36, v27
.LBB6_9723:                             ;   in Loop: Header=BB6_8078 Depth=3
	s_or_b32 exec_lo, exec_lo, s17
	v_lshrrev_b32_e32 v36, 16, v9
	s_mov_b32 s13, 0
	s_mov_b32 s30, exec_lo
                                        ; implicit-def: $sgpr17
	s_delay_alu instid0(VALU_DEP_1) | instskip(NEXT) | instid1(VALU_DEP_1)
	v_and_b32_e32 v38, 0xff, v36
	v_cmpx_lt_i16_e32 0x7f, v38
	s_xor_b32 s30, exec_lo, s30
	s_cbranch_execnz .LBB6_10569
; %bb.9724:                             ;   in Loop: Header=BB6_8078 Depth=3
	s_or_saveexec_b32 s30, s30
	v_mov_b32_e32 v37, s17
	s_xor_b32 exec_lo, exec_lo, s30
	s_cbranch_execnz .LBB6_10572
.LBB6_9725:                             ;   in Loop: Header=BB6_8078 Depth=3
	s_or_b32 exec_lo, exec_lo, s30
	s_and_saveexec_b32 s17, s13
	s_cbranch_execz .LBB6_9727
.LBB6_9726:                             ;   in Loop: Header=BB6_8078 Depth=3
	v_bfe_u32 v37, v9, 16, 2
	v_lshlrev_b32_e32 v48, 8, v9
	s_delay_alu instid0(VALU_DEP_2) | instskip(NEXT) | instid1(VALU_DEP_1)
	v_clz_i32_u32_e32 v38, v37
	v_min_u32_e32 v38, 32, v38
	s_delay_alu instid0(VALU_DEP_1) | instskip(SKIP_1) | instid1(VALU_DEP_2)
	v_subrev_nc_u32_e32 v39, 29, v38
	v_sub_nc_u32_e32 v38, 30, v38
	v_lshlrev_b32_e32 v36, v39, v36
	v_bfe_u32 v39, v9, 18, 5
	s_delay_alu instid0(VALU_DEP_2) | instskip(NEXT) | instid1(VALU_DEP_2)
	v_and_b32_e32 v36, 3, v36
	v_cmp_eq_u32_e32 vcc_lo, 0, v39
	v_cndmask_b32_e32 v38, v39, v38, vcc_lo
	s_delay_alu instid0(VALU_DEP_3) | instskip(SKIP_1) | instid1(VALU_DEP_3)
	v_cndmask_b32_e32 v36, v37, v36, vcc_lo
	v_and_b32_e32 v37, 0x80000000, v48
	v_lshl_add_u32 v38, v38, 23, 0x37800000
	s_delay_alu instid0(VALU_DEP_3) | instskip(NEXT) | instid1(VALU_DEP_1)
	v_lshlrev_b32_e32 v36, 21, v36
	v_or3_b32 v37, v37, v38, v36
.LBB6_9727:                             ;   in Loop: Header=BB6_8078 Depth=3
	s_or_b32 exec_lo, exec_lo, s17
	s_delay_alu instid0(VALU_DEP_1) | instskip(SKIP_1) | instid1(VALU_DEP_1)
	v_dual_add_f32 v27, v27, v37 :: v_dual_mov_b32 v132, 0x80
	s_mov_b32 s17, exec_lo
	v_and_b32_e32 v36, 0x7f800000, v27
	s_delay_alu instid0(VALU_DEP_1)
	v_cmpx_ne_u32_e32 0x7f800000, v36
	s_cbranch_execz .LBB6_9735
; %bb.9728:                             ;   in Loop: Header=BB6_8078 Depth=3
	v_mov_b32_e32 v132, 0
	s_mov_b32 s30, exec_lo
	v_cmpx_ne_u32_e32 0, v27
	s_cbranch_execz .LBB6_9734
; %bb.9729:                             ;   in Loop: Header=BB6_8078 Depth=3
	v_bfe_u32 v36, v27, 23, 8
	s_delay_alu instid0(VALU_DEP_1) | instskip(SKIP_1) | instid1(VALU_DEP_2)
	v_sub_nc_u32_e32 v38, 0x70, v36
	v_cmp_gt_u32_e32 vcc_lo, 0x71, v36
	v_dual_cndmask_b32 v38, 0, v38 :: v_dual_and_b32 v37, 0x7fffff, v27
	s_delay_alu instid0(VALU_DEP_1) | instskip(SKIP_2) | instid1(VALU_DEP_4)
	v_or_b32_e32 v39, 0x800000, v37
	v_cmp_eq_u32_e32 vcc_lo, 0, v36
	v_add_nc_u32_e32 v36, 0xffffff91, v36
	v_cndmask_b32_e64 v38, v38, 0x6f, vcc_lo
	s_delay_alu instid0(VALU_DEP_4) | instskip(NEXT) | instid1(VALU_DEP_3)
	v_cndmask_b32_e32 v37, v39, v37, vcc_lo
	v_cndmask_b32_e64 v36, v36, 0xffffff92, vcc_lo
	s_delay_alu instid0(VALU_DEP_3) | instskip(NEXT) | instid1(VALU_DEP_3)
	v_lshl_add_u32 v39, 0x200000, v38, -1
	v_lshrrev_b32_e32 v48, v38, v37
	v_lshlrev_b32_e64 v50, v38, 0x100000
	s_delay_alu instid0(VALU_DEP_4) | instskip(NEXT) | instid1(VALU_DEP_4)
	v_add_nc_u32_e32 v38, v38, v36
	v_and_b32_e32 v37, v39, v37
	s_delay_alu instid0(VALU_DEP_4) | instskip(NEXT) | instid1(VALU_DEP_2)
	v_bfe_u32 v49, v48, 21, 1
	v_cmp_eq_u32_e64 s13, v37, v50
	s_delay_alu instid0(VALU_DEP_2) | instskip(NEXT) | instid1(VALU_DEP_1)
	v_add_nc_u32_e32 v39, -1, v49
	v_cndmask_b32_e64 v37, 0, v39, s13
	v_lshrrev_b32_e32 v39, 23, v48
	s_mov_b32 s13, exec_lo
	s_delay_alu instid0(VALU_DEP_2) | instskip(NEXT) | instid1(VALU_DEP_2)
	v_add_nc_u32_e32 v37, v37, v48
	v_xor_b32_e32 v39, 1, v39
	s_delay_alu instid0(VALU_DEP_2) | instskip(NEXT) | instid1(VALU_DEP_1)
	v_and_b32_e32 v36, 0x1fffff, v37
	v_add_nc_u32_e32 v37, v36, v48
                                        ; implicit-def: $vgpr36
	s_delay_alu instid0(VALU_DEP_3)
	v_cmpx_ne_u32_e64 v38, v39
	s_xor_b32 s13, exec_lo, s13
; %bb.9730:                             ;   in Loop: Header=BB6_8078 Depth=3
	s_delay_alu instid0(VALU_DEP_2) | instskip(SKIP_2) | instid1(VALU_DEP_2)
	v_cmp_lt_u32_e32 vcc_lo, 0xffffff, v37
	v_sub_nc_u32_e32 v36, v38, v39
	v_cndmask_b32_e64 v38, 0, 1, vcc_lo
	v_add_co_ci_u32_e32 v36, vcc_lo, 0, v36, vcc_lo
	s_delay_alu instid0(VALU_DEP_2)
	v_lshrrev_b32_e32 v37, v38, v37
; %bb.9731:                             ;   in Loop: Header=BB6_8078 Depth=3
	s_and_not1_saveexec_b32 s13, s13
; %bb.9732:                             ;   in Loop: Header=BB6_8078 Depth=3
	s_delay_alu instid0(VALU_DEP_1)
	v_bfe_u32 v36, v37, 23, 1
; %bb.9733:                             ;   in Loop: Header=BB6_8078 Depth=3
	s_or_b32 exec_lo, exec_lo, s13
	v_lshrrev_b32_e32 v37, 21, v37
	s_delay_alu instid0(VALU_DEP_2) | instskip(SKIP_2) | instid1(VALU_DEP_2)
	v_cmp_gt_i32_e32 vcc_lo, 32, v36
	v_min_i32_e32 v38, 31, v36
	v_lshrrev_b32_e32 v27, 24, v27
	v_dual_cndmask_b32 v37, 3, v37 :: v_dual_lshlrev_b32 v38, 2, v38
	s_delay_alu instid0(VALU_DEP_2) | instskip(NEXT) | instid1(VALU_DEP_2)
	v_and_b32_e32 v27, 0x80, v27
	v_or_b32_e32 v36, v36, v37
	s_delay_alu instid0(VALU_DEP_3) | instskip(NEXT) | instid1(VALU_DEP_2)
	v_and_b32_e32 v38, 0xfc, v38
	v_cmp_ne_u32_e32 vcc_lo, 0, v36
	v_and_b32_e32 v39, 3, v37
	s_delay_alu instid0(VALU_DEP_1) | instskip(NEXT) | instid1(VALU_DEP_1)
	v_or3_b32 v27, v38, v27, v39
	v_cndmask_b32_e32 v132, 0, v27, vcc_lo
.LBB6_9734:                             ;   in Loop: Header=BB6_8078 Depth=3
	s_or_b32 exec_lo, exec_lo, s30
.LBB6_9735:                             ;   in Loop: Header=BB6_8078 Depth=3
	s_delay_alu instid0(SALU_CYCLE_1) | instskip(SKIP_3) | instid1(VALU_DEP_1)
	s_or_b32 exec_lo, exec_lo, s17
	v_lshrrev_b32_e32 v36, 24, v26
	s_mov_b32 s13, 0
	s_mov_b32 s30, exec_lo
                                        ; implicit-def: $sgpr17
	v_cmpx_lt_i16_e32 0x7f, v36
	s_xor_b32 s30, exec_lo, s30
	s_cbranch_execnz .LBB6_10573
; %bb.9736:                             ;   in Loop: Header=BB6_8078 Depth=3
	s_or_saveexec_b32 s30, s30
	v_mov_b32_e32 v27, s17
	s_xor_b32 exec_lo, exec_lo, s30
	s_cbranch_execnz .LBB6_10576
.LBB6_9737:                             ;   in Loop: Header=BB6_8078 Depth=3
	s_or_b32 exec_lo, exec_lo, s30
	s_and_saveexec_b32 s17, s13
	s_cbranch_execz .LBB6_9739
.LBB6_9738:                             ;   in Loop: Header=BB6_8078 Depth=3
	v_bfe_u32 v27, v26, 24, 2
	s_delay_alu instid0(VALU_DEP_1) | instskip(NEXT) | instid1(VALU_DEP_1)
	v_clz_i32_u32_e32 v37, v27
	v_min_u32_e32 v37, 32, v37
	s_delay_alu instid0(VALU_DEP_1) | instskip(SKIP_1) | instid1(VALU_DEP_2)
	v_subrev_nc_u32_e32 v38, 29, v37
	v_sub_nc_u32_e32 v37, 30, v37
	v_lshlrev_b32_e32 v36, v38, v36
	v_bfe_u32 v38, v26, 26, 5
	v_and_b32_e32 v26, 0x80000000, v26
	s_delay_alu instid0(VALU_DEP_2) | instskip(NEXT) | instid1(VALU_DEP_4)
	v_cmp_eq_u32_e32 vcc_lo, 0, v38
	v_dual_cndmask_b32 v37, v38, v37 :: v_dual_and_b32 v36, 3, v36
	s_delay_alu instid0(VALU_DEP_1) | instskip(NEXT) | instid1(VALU_DEP_2)
	v_cndmask_b32_e32 v27, v27, v36, vcc_lo
	v_lshl_add_u32 v36, v37, 23, 0x37800000
	s_delay_alu instid0(VALU_DEP_2) | instskip(NEXT) | instid1(VALU_DEP_1)
	v_lshlrev_b32_e32 v27, 21, v27
	v_or3_b32 v27, v26, v36, v27
.LBB6_9739:                             ;   in Loop: Header=BB6_8078 Depth=3
	s_or_b32 exec_lo, exec_lo, s17
	v_lshrrev_b32_e32 v26, 24, v9
	s_mov_b32 s13, 0
	s_mov_b32 s30, exec_lo
                                        ; implicit-def: $sgpr17
	s_delay_alu instid0(VALU_DEP_1)
	v_cmpx_lt_i16_e32 0x7f, v26
	s_xor_b32 s30, exec_lo, s30
	s_cbranch_execnz .LBB6_10577
; %bb.9740:                             ;   in Loop: Header=BB6_8078 Depth=3
	s_or_saveexec_b32 s30, s30
	v_mov_b32_e32 v36, s17
	s_xor_b32 exec_lo, exec_lo, s30
	s_cbranch_execnz .LBB6_10580
.LBB6_9741:                             ;   in Loop: Header=BB6_8078 Depth=3
	s_or_b32 exec_lo, exec_lo, s30
	s_and_saveexec_b32 s17, s13
	s_cbranch_execz .LBB6_9743
.LBB6_9742:                             ;   in Loop: Header=BB6_8078 Depth=3
	v_bfe_u32 v36, v9, 24, 2
	s_delay_alu instid0(VALU_DEP_1) | instskip(NEXT) | instid1(VALU_DEP_1)
	v_clz_i32_u32_e32 v37, v36
	v_min_u32_e32 v37, 32, v37
	s_delay_alu instid0(VALU_DEP_1) | instskip(SKIP_1) | instid1(VALU_DEP_2)
	v_subrev_nc_u32_e32 v38, 29, v37
	v_sub_nc_u32_e32 v37, 30, v37
	v_lshlrev_b32_e32 v26, v38, v26
	v_bfe_u32 v38, v9, 26, 5
	v_and_b32_e32 v9, 0x80000000, v9
	s_delay_alu instid0(VALU_DEP_2) | instskip(NEXT) | instid1(VALU_DEP_4)
	v_cmp_eq_u32_e32 vcc_lo, 0, v38
	v_dual_cndmask_b32 v37, v38, v37 :: v_dual_and_b32 v26, 3, v26
	s_delay_alu instid0(VALU_DEP_1) | instskip(NEXT) | instid1(VALU_DEP_2)
	v_cndmask_b32_e32 v26, v36, v26, vcc_lo
	v_lshl_add_u32 v36, v37, 23, 0x37800000
	s_delay_alu instid0(VALU_DEP_2) | instskip(NEXT) | instid1(VALU_DEP_1)
	v_lshlrev_b32_e32 v26, 21, v26
	v_or3_b32 v36, v9, v36, v26
.LBB6_9743:                             ;   in Loop: Header=BB6_8078 Depth=3
	s_or_b32 exec_lo, exec_lo, s17
	s_delay_alu instid0(VALU_DEP_1) | instskip(NEXT) | instid1(VALU_DEP_1)
	v_add_f32_e32 v26, v27, v36
	v_and_b32_e32 v9, 0x7f800000, v26
	s_delay_alu instid0(VALU_DEP_1)
	v_cmp_ne_u32_e32 vcc_lo, 0x7f800000, v9
	v_mov_b32_e32 v9, 0x8000
	s_and_saveexec_b32 s17, vcc_lo
	s_cbranch_execz .LBB6_9751
; %bb.9744:                             ;   in Loop: Header=BB6_8078 Depth=3
	v_mov_b32_e32 v9, 0
	s_mov_b32 s30, exec_lo
	v_cmpx_ne_u32_e32 0, v26
	s_cbranch_execz .LBB6_9750
; %bb.9745:                             ;   in Loop: Header=BB6_8078 Depth=3
	v_bfe_u32 v9, v26, 23, 8
	s_delay_alu instid0(VALU_DEP_1) | instskip(SKIP_1) | instid1(VALU_DEP_2)
	v_sub_nc_u32_e32 v36, 0x70, v9
	v_cmp_gt_u32_e32 vcc_lo, 0x71, v9
	v_dual_cndmask_b32 v36, 0, v36 :: v_dual_and_b32 v27, 0x7fffff, v26
	s_delay_alu instid0(VALU_DEP_1) | instskip(SKIP_2) | instid1(VALU_DEP_4)
	v_or_b32_e32 v37, 0x800000, v27
	v_cmp_eq_u32_e32 vcc_lo, 0, v9
	v_add_nc_u32_e32 v9, 0xffffff91, v9
	v_cndmask_b32_e64 v36, v36, 0x6f, vcc_lo
	s_delay_alu instid0(VALU_DEP_2) | instskip(SKIP_1) | instid1(VALU_DEP_3)
	v_cndmask_b32_e64 v9, v9, 0xffffff92, vcc_lo
	v_cndmask_b32_e32 v27, v37, v27, vcc_lo
	v_lshl_add_u32 v37, 0x200000, v36, -1
	v_lshlrev_b32_e64 v48, v36, 0x100000
	s_delay_alu instid0(VALU_DEP_3) | instskip(SKIP_1) | instid1(VALU_DEP_4)
	v_lshrrev_b32_e32 v38, v36, v27
	v_add_nc_u32_e32 v36, v36, v9
	v_and_b32_e32 v27, v37, v27
	s_delay_alu instid0(VALU_DEP_3) | instskip(NEXT) | instid1(VALU_DEP_2)
	v_bfe_u32 v39, v38, 21, 1
	v_cmp_eq_u32_e64 s13, v27, v48
	s_delay_alu instid0(VALU_DEP_2) | instskip(NEXT) | instid1(VALU_DEP_1)
	v_add_nc_u32_e32 v37, -1, v39
	v_cndmask_b32_e64 v27, 0, v37, s13
	v_lshrrev_b32_e32 v37, 23, v38
	s_mov_b32 s13, exec_lo
	s_delay_alu instid0(VALU_DEP_2) | instskip(NEXT) | instid1(VALU_DEP_2)
	v_add_nc_u32_e32 v27, v27, v38
	v_xor_b32_e32 v37, 1, v37
	s_delay_alu instid0(VALU_DEP_2) | instskip(NEXT) | instid1(VALU_DEP_1)
	v_and_b32_e32 v9, 0x1fffff, v27
	v_add_nc_u32_e32 v27, v9, v38
                                        ; implicit-def: $vgpr9
	s_delay_alu instid0(VALU_DEP_3)
	v_cmpx_ne_u32_e64 v36, v37
	s_xor_b32 s13, exec_lo, s13
; %bb.9746:                             ;   in Loop: Header=BB6_8078 Depth=3
	s_delay_alu instid0(VALU_DEP_2) | instskip(SKIP_2) | instid1(VALU_DEP_2)
	v_cmp_lt_u32_e32 vcc_lo, 0xffffff, v27
	v_sub_nc_u32_e32 v9, v36, v37
	v_cndmask_b32_e64 v36, 0, 1, vcc_lo
	v_add_co_ci_u32_e32 v9, vcc_lo, 0, v9, vcc_lo
	s_delay_alu instid0(VALU_DEP_2)
	v_lshrrev_b32_e32 v27, v36, v27
; %bb.9747:                             ;   in Loop: Header=BB6_8078 Depth=3
	s_and_not1_saveexec_b32 s13, s13
; %bb.9748:                             ;   in Loop: Header=BB6_8078 Depth=3
	s_delay_alu instid0(VALU_DEP_1)
	v_bfe_u32 v9, v27, 23, 1
; %bb.9749:                             ;   in Loop: Header=BB6_8078 Depth=3
	s_or_b32 exec_lo, exec_lo, s13
	v_lshrrev_b32_e32 v27, 21, v27
	s_delay_alu instid0(VALU_DEP_2) | instskip(SKIP_2) | instid1(VALU_DEP_2)
	v_cmp_gt_i32_e32 vcc_lo, 32, v9
	v_min_i32_e32 v36, 31, v9
	v_lshrrev_b32_e32 v26, 24, v26
	v_dual_cndmask_b32 v27, 3, v27 :: v_dual_lshlrev_b32 v36, 2, v36
	s_delay_alu instid0(VALU_DEP_2) | instskip(NEXT) | instid1(VALU_DEP_2)
	v_and_b32_e32 v26, 0x80, v26
	v_or_b32_e32 v9, v9, v27
	v_and_b32_e32 v37, 3, v27
	s_delay_alu instid0(VALU_DEP_2) | instskip(SKIP_1) | instid1(VALU_DEP_1)
	v_cmp_ne_u32_e32 vcc_lo, 0, v9
	v_and_b32_e32 v36, 0xfc, v36
	v_or3_b32 v26, v26, v36, v37
	s_delay_alu instid0(VALU_DEP_1) | instskip(NEXT) | instid1(VALU_DEP_1)
	v_lshlrev_b32_e32 v26, 8, v26
	v_cndmask_b32_e32 v9, 0, v26, vcc_lo
.LBB6_9750:                             ;   in Loop: Header=BB6_8078 Depth=3
	s_or_b32 exec_lo, exec_lo, s30
.LBB6_9751:                             ;   in Loop: Header=BB6_8078 Depth=3
	s_delay_alu instid0(SALU_CYCLE_1) | instskip(SKIP_3) | instid1(VALU_DEP_1)
	s_or_b32 exec_lo, exec_lo, s17
	v_and_b32_e32 v27, 0xff, v179
	s_mov_b32 s13, 0
	s_mov_b32 s30, exec_lo
                                        ; implicit-def: $sgpr17
	v_cmpx_lt_i16_e32 0x7f, v27
	s_xor_b32 s30, exec_lo, s30
	s_cbranch_execnz .LBB6_10581
; %bb.9752:                             ;   in Loop: Header=BB6_8078 Depth=3
	s_or_saveexec_b32 s30, s30
	v_mov_b32_e32 v26, s17
	s_xor_b32 exec_lo, exec_lo, s30
	s_cbranch_execnz .LBB6_10584
.LBB6_9753:                             ;   in Loop: Header=BB6_8078 Depth=3
	s_or_b32 exec_lo, exec_lo, s30
	s_and_saveexec_b32 s17, s13
	s_cbranch_execz .LBB6_9755
.LBB6_9754:                             ;   in Loop: Header=BB6_8078 Depth=3
	v_and_b32_e32 v26, 3, v179
	v_bfe_u32 v37, v179, 2, 5
	v_lshlrev_b32_e32 v38, 24, v179
	s_delay_alu instid0(VALU_DEP_3) | instskip(NEXT) | instid1(VALU_DEP_3)
	v_clz_i32_u32_e32 v27, v26
	v_cmp_eq_u32_e32 vcc_lo, 0, v37
	s_delay_alu instid0(VALU_DEP_2) | instskip(NEXT) | instid1(VALU_DEP_1)
	v_min_u32_e32 v27, 32, v27
	v_subrev_nc_u32_e32 v36, 29, v27
	v_sub_nc_u32_e32 v27, 30, v27
	s_delay_alu instid0(VALU_DEP_2) | instskip(NEXT) | instid1(VALU_DEP_1)
	v_lshlrev_b32_e32 v36, v36, v179
	v_dual_cndmask_b32 v27, v37, v27 :: v_dual_and_b32 v36, 3, v36
	s_delay_alu instid0(VALU_DEP_1) | instskip(NEXT) | instid1(VALU_DEP_2)
	v_lshl_add_u32 v27, v27, 23, 0x37800000
	v_cndmask_b32_e32 v26, v26, v36, vcc_lo
	v_and_b32_e32 v36, 0x80000000, v38
	s_delay_alu instid0(VALU_DEP_2) | instskip(NEXT) | instid1(VALU_DEP_1)
	v_lshlrev_b32_e32 v26, 21, v26
	v_or3_b32 v26, v36, v27, v26
.LBB6_9755:                             ;   in Loop: Header=BB6_8078 Depth=3
	s_or_b32 exec_lo, exec_lo, s17
	v_and_b32_e32 v36, 0xff, v10
	s_mov_b32 s13, 0
	s_mov_b32 s30, exec_lo
                                        ; implicit-def: $sgpr17
	s_delay_alu instid0(VALU_DEP_1)
	v_cmpx_lt_i16_e32 0x7f, v36
	s_xor_b32 s30, exec_lo, s30
	s_cbranch_execnz .LBB6_10585
; %bb.9756:                             ;   in Loop: Header=BB6_8078 Depth=3
	s_or_saveexec_b32 s30, s30
	v_mov_b32_e32 v27, s17
	s_xor_b32 exec_lo, exec_lo, s30
	s_cbranch_execnz .LBB6_10588
.LBB6_9757:                             ;   in Loop: Header=BB6_8078 Depth=3
	s_or_b32 exec_lo, exec_lo, s30
	s_and_saveexec_b32 s17, s13
	s_cbranch_execz .LBB6_9759
.LBB6_9758:                             ;   in Loop: Header=BB6_8078 Depth=3
	v_bfe_u32 v38, v10, 2, 5
	v_lshlrev_b32_e32 v39, 24, v10
	s_delay_alu instid0(VALU_DEP_2) | instskip(SKIP_1) | instid1(VALU_DEP_1)
	v_cmp_eq_u32_e32 vcc_lo, 0, v38
	v_and_b32_e32 v27, 3, v10
	v_clz_i32_u32_e32 v36, v27
	s_delay_alu instid0(VALU_DEP_1) | instskip(NEXT) | instid1(VALU_DEP_1)
	v_min_u32_e32 v36, 32, v36
	v_subrev_nc_u32_e32 v37, 29, v36
	v_sub_nc_u32_e32 v36, 30, v36
	s_delay_alu instid0(VALU_DEP_1) | instskip(NEXT) | instid1(VALU_DEP_1)
	v_dual_cndmask_b32 v36, v38, v36 :: v_dual_lshlrev_b32 v37, v37, v10
	v_and_b32_e32 v37, 3, v37
	s_delay_alu instid0(VALU_DEP_2) | instskip(NEXT) | instid1(VALU_DEP_2)
	v_lshl_add_u32 v36, v36, 23, 0x37800000
	v_cndmask_b32_e32 v27, v27, v37, vcc_lo
	v_and_b32_e32 v37, 0x80000000, v39
	s_delay_alu instid0(VALU_DEP_2) | instskip(NEXT) | instid1(VALU_DEP_1)
	v_lshlrev_b32_e32 v27, 21, v27
	v_or3_b32 v27, v37, v36, v27
.LBB6_9759:                             ;   in Loop: Header=BB6_8078 Depth=3
	s_or_b32 exec_lo, exec_lo, s17
	s_delay_alu instid0(VALU_DEP_1) | instskip(SKIP_2) | instid1(VALU_DEP_2)
	v_add_f32_e32 v26, v26, v27
	v_mov_b32_e32 v52, 0x80
	s_mov_b32 s17, exec_lo
	v_and_b32_e32 v27, 0x7f800000, v26
	s_delay_alu instid0(VALU_DEP_1)
	v_cmpx_ne_u32_e32 0x7f800000, v27
	s_cbranch_execz .LBB6_9767
; %bb.9760:                             ;   in Loop: Header=BB6_8078 Depth=3
	v_mov_b32_e32 v52, 0
	s_mov_b32 s30, exec_lo
	v_cmpx_ne_u32_e32 0, v26
	s_cbranch_execz .LBB6_9766
; %bb.9761:                             ;   in Loop: Header=BB6_8078 Depth=3
	v_bfe_u32 v27, v26, 23, 8
	s_delay_alu instid0(VALU_DEP_1) | instskip(SKIP_1) | instid1(VALU_DEP_2)
	v_sub_nc_u32_e32 v37, 0x70, v27
	v_cmp_gt_u32_e32 vcc_lo, 0x71, v27
	v_dual_cndmask_b32 v37, 0, v37 :: v_dual_and_b32 v36, 0x7fffff, v26
	s_delay_alu instid0(VALU_DEP_1) | instskip(SKIP_2) | instid1(VALU_DEP_4)
	v_or_b32_e32 v38, 0x800000, v36
	v_cmp_eq_u32_e32 vcc_lo, 0, v27
	v_add_nc_u32_e32 v27, 0xffffff91, v27
	v_cndmask_b32_e64 v37, v37, 0x6f, vcc_lo
	s_delay_alu instid0(VALU_DEP_4) | instskip(NEXT) | instid1(VALU_DEP_3)
	v_cndmask_b32_e32 v36, v38, v36, vcc_lo
	v_cndmask_b32_e64 v27, v27, 0xffffff92, vcc_lo
	s_delay_alu instid0(VALU_DEP_3) | instskip(NEXT) | instid1(VALU_DEP_3)
	v_lshl_add_u32 v38, 0x200000, v37, -1
	v_lshrrev_b32_e32 v39, v37, v36
	v_lshlrev_b32_e64 v49, v37, 0x100000
	s_delay_alu instid0(VALU_DEP_4) | instskip(NEXT) | instid1(VALU_DEP_4)
	v_add_nc_u32_e32 v37, v37, v27
	v_and_b32_e32 v36, v38, v36
	s_delay_alu instid0(VALU_DEP_4) | instskip(NEXT) | instid1(VALU_DEP_2)
	v_bfe_u32 v48, v39, 21, 1
	v_cmp_eq_u32_e64 s13, v36, v49
	s_delay_alu instid0(VALU_DEP_2) | instskip(NEXT) | instid1(VALU_DEP_1)
	v_add_nc_u32_e32 v38, -1, v48
	v_cndmask_b32_e64 v36, 0, v38, s13
	v_lshrrev_b32_e32 v38, 23, v39
	s_mov_b32 s13, exec_lo
	s_delay_alu instid0(VALU_DEP_2) | instskip(NEXT) | instid1(VALU_DEP_2)
	v_add_nc_u32_e32 v36, v36, v39
	v_xor_b32_e32 v38, 1, v38
	s_delay_alu instid0(VALU_DEP_2) | instskip(NEXT) | instid1(VALU_DEP_1)
	v_and_b32_e32 v27, 0x1fffff, v36
	v_add_nc_u32_e32 v36, v27, v39
                                        ; implicit-def: $vgpr27
	s_delay_alu instid0(VALU_DEP_3)
	v_cmpx_ne_u32_e64 v37, v38
	s_xor_b32 s13, exec_lo, s13
; %bb.9762:                             ;   in Loop: Header=BB6_8078 Depth=3
	s_delay_alu instid0(VALU_DEP_2) | instskip(SKIP_2) | instid1(VALU_DEP_2)
	v_cmp_lt_u32_e32 vcc_lo, 0xffffff, v36
	v_sub_nc_u32_e32 v27, v37, v38
	v_cndmask_b32_e64 v37, 0, 1, vcc_lo
	v_add_co_ci_u32_e32 v27, vcc_lo, 0, v27, vcc_lo
	s_delay_alu instid0(VALU_DEP_2)
	v_lshrrev_b32_e32 v36, v37, v36
; %bb.9763:                             ;   in Loop: Header=BB6_8078 Depth=3
	s_and_not1_saveexec_b32 s13, s13
; %bb.9764:                             ;   in Loop: Header=BB6_8078 Depth=3
	s_delay_alu instid0(VALU_DEP_1)
	v_bfe_u32 v27, v36, 23, 1
; %bb.9765:                             ;   in Loop: Header=BB6_8078 Depth=3
	s_or_b32 exec_lo, exec_lo, s13
	v_lshrrev_b32_e32 v36, 21, v36
	s_delay_alu instid0(VALU_DEP_2) | instskip(SKIP_2) | instid1(VALU_DEP_4)
	v_cmp_gt_i32_e32 vcc_lo, 32, v27
	v_lshrrev_b32_e32 v26, 24, v26
	v_min_i32_e32 v37, 31, v27
	v_cndmask_b32_e32 v36, 3, v36, vcc_lo
	s_delay_alu instid0(VALU_DEP_3) | instskip(NEXT) | instid1(VALU_DEP_3)
	v_and_b32_e32 v26, 0x80, v26
	v_lshlrev_b32_e32 v37, 2, v37
	s_delay_alu instid0(VALU_DEP_3) | instskip(SKIP_1) | instid1(VALU_DEP_2)
	v_and_b32_e32 v38, 3, v36
	v_or_b32_e32 v27, v27, v36
	v_or3_b32 v26, v37, v26, v38
	s_delay_alu instid0(VALU_DEP_2) | instskip(NEXT) | instid1(VALU_DEP_2)
	v_cmp_ne_u32_e32 vcc_lo, 0, v27
	v_cndmask_b32_e32 v52, 0, v26, vcc_lo
.LBB6_9766:                             ;   in Loop: Header=BB6_8078 Depth=3
	s_or_b32 exec_lo, exec_lo, s30
.LBB6_9767:                             ;   in Loop: Header=BB6_8078 Depth=3
	s_delay_alu instid0(SALU_CYCLE_1) | instskip(SKIP_3) | instid1(VALU_DEP_1)
	s_or_b32 exec_lo, exec_lo, s17
	v_and_b32_e32 v27, 0xff, v176
	s_mov_b32 s13, 0
	s_mov_b32 s30, exec_lo
                                        ; implicit-def: $sgpr17
	v_cmpx_lt_i16_e32 0x7f, v27
	s_xor_b32 s30, exec_lo, s30
	s_cbranch_execnz .LBB6_10589
; %bb.9768:                             ;   in Loop: Header=BB6_8078 Depth=3
	s_or_saveexec_b32 s30, s30
	v_mov_b32_e32 v26, s17
	s_xor_b32 exec_lo, exec_lo, s30
	s_cbranch_execnz .LBB6_10592
.LBB6_9769:                             ;   in Loop: Header=BB6_8078 Depth=3
	s_or_b32 exec_lo, exec_lo, s30
	s_and_saveexec_b32 s17, s13
	s_cbranch_execz .LBB6_9771
.LBB6_9770:                             ;   in Loop: Header=BB6_8078 Depth=3
	v_bfe_u32 v37, v176, 2, 5
	v_lshlrev_b32_e32 v38, 24, v176
	s_delay_alu instid0(VALU_DEP_2) | instskip(SKIP_1) | instid1(VALU_DEP_1)
	v_cmp_eq_u32_e32 vcc_lo, 0, v37
	v_and_b32_e32 v26, 3, v176
	v_clz_i32_u32_e32 v27, v26
	s_delay_alu instid0(VALU_DEP_1) | instskip(NEXT) | instid1(VALU_DEP_1)
	v_min_u32_e32 v27, 32, v27
	v_subrev_nc_u32_e32 v36, 29, v27
	v_sub_nc_u32_e32 v27, 30, v27
	s_delay_alu instid0(VALU_DEP_1) | instskip(NEXT) | instid1(VALU_DEP_1)
	v_dual_cndmask_b32 v27, v37, v27 :: v_dual_lshlrev_b32 v36, v36, v176
	v_and_b32_e32 v36, 3, v36
	s_delay_alu instid0(VALU_DEP_2) | instskip(NEXT) | instid1(VALU_DEP_2)
	v_lshl_add_u32 v27, v27, 23, 0x37800000
	v_cndmask_b32_e32 v26, v26, v36, vcc_lo
	v_and_b32_e32 v36, 0x80000000, v38
	s_delay_alu instid0(VALU_DEP_2) | instskip(NEXT) | instid1(VALU_DEP_1)
	v_lshlrev_b32_e32 v26, 21, v26
	v_or3_b32 v26, v36, v27, v26
.LBB6_9771:                             ;   in Loop: Header=BB6_8078 Depth=3
	s_or_b32 exec_lo, exec_lo, s17
	v_lshrrev_b16 v27, 8, v10
	s_mov_b32 s13, 0
	s_mov_b32 s30, exec_lo
                                        ; implicit-def: $sgpr17
	s_delay_alu instid0(VALU_DEP_1)
	v_cmpx_lt_i16_e32 0x7f, v27
	s_xor_b32 s30, exec_lo, s30
	s_cbranch_execnz .LBB6_10593
; %bb.9772:                             ;   in Loop: Header=BB6_8078 Depth=3
	s_or_saveexec_b32 s30, s30
	v_mov_b32_e32 v36, s17
	s_xor_b32 exec_lo, exec_lo, s30
	s_cbranch_execnz .LBB6_10596
.LBB6_9773:                             ;   in Loop: Header=BB6_8078 Depth=3
	s_or_b32 exec_lo, exec_lo, s30
	s_and_saveexec_b32 s17, s13
	s_cbranch_execz .LBB6_9775
.LBB6_9774:                             ;   in Loop: Header=BB6_8078 Depth=3
	v_and_b32_e32 v36, 0xffff, v27
	v_lshlrev_b32_e32 v27, 24, v27
	s_delay_alu instid0(VALU_DEP_2) | instskip(NEXT) | instid1(VALU_DEP_2)
	v_and_b32_e32 v37, 3, v36
	v_and_b32_e32 v27, 0x80000000, v27
	s_delay_alu instid0(VALU_DEP_2) | instskip(NEXT) | instid1(VALU_DEP_1)
	v_clz_i32_u32_e32 v38, v37
	v_min_u32_e32 v38, 32, v38
	s_delay_alu instid0(VALU_DEP_1) | instskip(SKIP_1) | instid1(VALU_DEP_2)
	v_subrev_nc_u32_e32 v39, 29, v38
	v_sub_nc_u32_e32 v38, 30, v38
	v_lshlrev_b32_e32 v39, v39, v36
	v_bfe_u32 v36, v36, 2, 5
	s_delay_alu instid0(VALU_DEP_2) | instskip(NEXT) | instid1(VALU_DEP_2)
	v_and_b32_e32 v39, 3, v39
	v_cmp_eq_u32_e32 vcc_lo, 0, v36
	s_delay_alu instid0(VALU_DEP_2) | instskip(NEXT) | instid1(VALU_DEP_1)
	v_dual_cndmask_b32 v36, v36, v38 :: v_dual_cndmask_b32 v37, v37, v39
	v_lshl_add_u32 v36, v36, 23, 0x37800000
	s_delay_alu instid0(VALU_DEP_2) | instskip(NEXT) | instid1(VALU_DEP_1)
	v_lshlrev_b32_e32 v37, 21, v37
	v_or3_b32 v36, v27, v36, v37
.LBB6_9775:                             ;   in Loop: Header=BB6_8078 Depth=3
	s_or_b32 exec_lo, exec_lo, s17
	s_delay_alu instid0(VALU_DEP_1) | instskip(NEXT) | instid1(VALU_DEP_1)
	v_add_f32_e32 v27, v26, v36
	v_and_b32_e32 v26, 0x7f800000, v27
	s_delay_alu instid0(VALU_DEP_1)
	v_cmp_ne_u32_e32 vcc_lo, 0x7f800000, v26
	v_mov_b32_e32 v26, 0x80
	s_and_saveexec_b32 s17, vcc_lo
	s_cbranch_execz .LBB6_9783
; %bb.9776:                             ;   in Loop: Header=BB6_8078 Depth=3
	v_mov_b32_e32 v26, 0
	s_mov_b32 s30, exec_lo
	v_cmpx_ne_u32_e32 0, v27
	s_cbranch_execz .LBB6_9782
; %bb.9777:                             ;   in Loop: Header=BB6_8078 Depth=3
	v_bfe_u32 v26, v27, 23, 8
	s_delay_alu instid0(VALU_DEP_1) | instskip(SKIP_1) | instid1(VALU_DEP_2)
	v_sub_nc_u32_e32 v37, 0x70, v26
	v_cmp_gt_u32_e32 vcc_lo, 0x71, v26
	v_dual_cndmask_b32 v37, 0, v37 :: v_dual_and_b32 v36, 0x7fffff, v27
	s_delay_alu instid0(VALU_DEP_1) | instskip(SKIP_2) | instid1(VALU_DEP_4)
	v_or_b32_e32 v38, 0x800000, v36
	v_cmp_eq_u32_e32 vcc_lo, 0, v26
	v_add_nc_u32_e32 v26, 0xffffff91, v26
	v_cndmask_b32_e64 v37, v37, 0x6f, vcc_lo
	s_delay_alu instid0(VALU_DEP_2) | instskip(SKIP_1) | instid1(VALU_DEP_3)
	v_cndmask_b32_e64 v26, v26, 0xffffff92, vcc_lo
	v_cndmask_b32_e32 v36, v38, v36, vcc_lo
	v_lshl_add_u32 v38, 0x200000, v37, -1
	v_lshlrev_b32_e64 v49, v37, 0x100000
	s_delay_alu instid0(VALU_DEP_3) | instskip(SKIP_1) | instid1(VALU_DEP_4)
	v_lshrrev_b32_e32 v39, v37, v36
	v_add_nc_u32_e32 v37, v37, v26
	v_and_b32_e32 v36, v38, v36
	s_delay_alu instid0(VALU_DEP_3) | instskip(NEXT) | instid1(VALU_DEP_2)
	v_bfe_u32 v48, v39, 21, 1
	v_cmp_eq_u32_e64 s13, v36, v49
	s_delay_alu instid0(VALU_DEP_2) | instskip(NEXT) | instid1(VALU_DEP_1)
	v_add_nc_u32_e32 v38, -1, v48
	v_cndmask_b32_e64 v36, 0, v38, s13
	v_lshrrev_b32_e32 v38, 23, v39
	s_mov_b32 s13, exec_lo
	s_delay_alu instid0(VALU_DEP_2) | instskip(NEXT) | instid1(VALU_DEP_2)
	v_add_nc_u32_e32 v36, v36, v39
	v_xor_b32_e32 v38, 1, v38
	s_delay_alu instid0(VALU_DEP_2) | instskip(NEXT) | instid1(VALU_DEP_1)
	v_and_b32_e32 v26, 0x1fffff, v36
	v_add_nc_u32_e32 v36, v26, v39
                                        ; implicit-def: $vgpr26
	s_delay_alu instid0(VALU_DEP_3)
	v_cmpx_ne_u32_e64 v37, v38
	s_xor_b32 s13, exec_lo, s13
; %bb.9778:                             ;   in Loop: Header=BB6_8078 Depth=3
	s_delay_alu instid0(VALU_DEP_2) | instskip(SKIP_2) | instid1(VALU_DEP_2)
	v_cmp_lt_u32_e32 vcc_lo, 0xffffff, v36
	v_sub_nc_u32_e32 v26, v37, v38
	v_cndmask_b32_e64 v37, 0, 1, vcc_lo
	v_add_co_ci_u32_e32 v26, vcc_lo, 0, v26, vcc_lo
	s_delay_alu instid0(VALU_DEP_2)
	v_lshrrev_b32_e32 v36, v37, v36
; %bb.9779:                             ;   in Loop: Header=BB6_8078 Depth=3
	s_and_not1_saveexec_b32 s13, s13
; %bb.9780:                             ;   in Loop: Header=BB6_8078 Depth=3
	s_delay_alu instid0(VALU_DEP_1)
	v_bfe_u32 v26, v36, 23, 1
; %bb.9781:                             ;   in Loop: Header=BB6_8078 Depth=3
	s_or_b32 exec_lo, exec_lo, s13
	v_lshrrev_b32_e32 v36, 21, v36
	s_delay_alu instid0(VALU_DEP_2) | instskip(SKIP_2) | instid1(VALU_DEP_2)
	v_cmp_gt_i32_e32 vcc_lo, 32, v26
	v_lshrrev_b32_e32 v27, 24, v27
	v_min_i32_e32 v37, 31, v26
	v_dual_cndmask_b32 v36, 3, v36 :: v_dual_and_b32 v27, 0x80, v27
	s_delay_alu instid0(VALU_DEP_1) | instskip(SKIP_1) | instid1(VALU_DEP_2)
	v_or_b32_e32 v26, v26, v36
	v_and_b32_e32 v38, 3, v36
	v_cmp_ne_u32_e32 vcc_lo, 0, v26
	v_lshlrev_b32_e32 v37, 2, v37
	s_delay_alu instid0(VALU_DEP_1) | instskip(NEXT) | instid1(VALU_DEP_1)
	v_or3_b32 v27, v37, v27, v38
	v_cndmask_b32_e32 v26, 0, v27, vcc_lo
.LBB6_9782:                             ;   in Loop: Header=BB6_8078 Depth=3
	s_or_b32 exec_lo, exec_lo, s30
.LBB6_9783:                             ;   in Loop: Header=BB6_8078 Depth=3
	s_delay_alu instid0(SALU_CYCLE_1) | instskip(SKIP_3) | instid1(VALU_DEP_1)
	s_or_b32 exec_lo, exec_lo, s17
	v_and_b32_e32 v36, 0xff, v167
	s_mov_b32 s13, 0
	s_mov_b32 s30, exec_lo
                                        ; implicit-def: $sgpr17
	v_cmpx_lt_i16_e32 0x7f, v36
	s_xor_b32 s30, exec_lo, s30
	s_cbranch_execnz .LBB6_10597
; %bb.9784:                             ;   in Loop: Header=BB6_8078 Depth=3
	s_or_saveexec_b32 s30, s30
	v_mov_b32_e32 v27, s17
	s_xor_b32 exec_lo, exec_lo, s30
	s_cbranch_execnz .LBB6_10600
.LBB6_9785:                             ;   in Loop: Header=BB6_8078 Depth=3
	s_or_b32 exec_lo, exec_lo, s30
	s_and_saveexec_b32 s17, s13
	s_cbranch_execz .LBB6_9787
.LBB6_9786:                             ;   in Loop: Header=BB6_8078 Depth=3
	v_bfe_u32 v38, v167, 2, 5
	v_lshlrev_b32_e32 v39, 24, v167
	s_delay_alu instid0(VALU_DEP_2) | instskip(SKIP_1) | instid1(VALU_DEP_1)
	v_cmp_eq_u32_e32 vcc_lo, 0, v38
	v_and_b32_e32 v27, 3, v167
	v_clz_i32_u32_e32 v36, v27
	s_delay_alu instid0(VALU_DEP_1) | instskip(NEXT) | instid1(VALU_DEP_1)
	v_min_u32_e32 v36, 32, v36
	v_subrev_nc_u32_e32 v37, 29, v36
	v_sub_nc_u32_e32 v36, 30, v36
	s_delay_alu instid0(VALU_DEP_1) | instskip(NEXT) | instid1(VALU_DEP_1)
	v_dual_cndmask_b32 v36, v38, v36 :: v_dual_lshlrev_b32 v37, v37, v167
	v_and_b32_e32 v37, 3, v37
	s_delay_alu instid0(VALU_DEP_2) | instskip(NEXT) | instid1(VALU_DEP_2)
	v_lshl_add_u32 v36, v36, 23, 0x37800000
	v_cndmask_b32_e32 v27, v27, v37, vcc_lo
	v_and_b32_e32 v37, 0x80000000, v39
	s_delay_alu instid0(VALU_DEP_2) | instskip(NEXT) | instid1(VALU_DEP_1)
	v_lshlrev_b32_e32 v27, 21, v27
	v_or3_b32 v27, v37, v36, v27
.LBB6_9787:                             ;   in Loop: Header=BB6_8078 Depth=3
	s_or_b32 exec_lo, exec_lo, s17
	v_lshrrev_b32_e32 v36, 16, v10
	s_mov_b32 s13, 0
	s_mov_b32 s30, exec_lo
                                        ; implicit-def: $sgpr17
	s_delay_alu instid0(VALU_DEP_1) | instskip(NEXT) | instid1(VALU_DEP_1)
	v_and_b32_e32 v38, 0xff, v36
	v_cmpx_lt_i16_e32 0x7f, v38
	s_xor_b32 s30, exec_lo, s30
	s_cbranch_execnz .LBB6_10601
; %bb.9788:                             ;   in Loop: Header=BB6_8078 Depth=3
	s_or_saveexec_b32 s30, s30
	v_mov_b32_e32 v37, s17
	s_xor_b32 exec_lo, exec_lo, s30
	s_cbranch_execnz .LBB6_10604
.LBB6_9789:                             ;   in Loop: Header=BB6_8078 Depth=3
	s_or_b32 exec_lo, exec_lo, s30
	s_and_saveexec_b32 s17, s13
	s_cbranch_execz .LBB6_9791
.LBB6_9790:                             ;   in Loop: Header=BB6_8078 Depth=3
	v_bfe_u32 v37, v10, 16, 2
	v_lshlrev_b32_e32 v48, 8, v10
	s_delay_alu instid0(VALU_DEP_2) | instskip(NEXT) | instid1(VALU_DEP_1)
	v_clz_i32_u32_e32 v38, v37
	v_min_u32_e32 v38, 32, v38
	s_delay_alu instid0(VALU_DEP_1) | instskip(SKIP_1) | instid1(VALU_DEP_2)
	v_subrev_nc_u32_e32 v39, 29, v38
	v_sub_nc_u32_e32 v38, 30, v38
	v_lshlrev_b32_e32 v36, v39, v36
	v_bfe_u32 v39, v10, 18, 5
	s_delay_alu instid0(VALU_DEP_2) | instskip(NEXT) | instid1(VALU_DEP_2)
	v_and_b32_e32 v36, 3, v36
	v_cmp_eq_u32_e32 vcc_lo, 0, v39
	v_cndmask_b32_e32 v38, v39, v38, vcc_lo
	s_delay_alu instid0(VALU_DEP_3) | instskip(SKIP_1) | instid1(VALU_DEP_3)
	v_cndmask_b32_e32 v36, v37, v36, vcc_lo
	v_and_b32_e32 v37, 0x80000000, v48
	v_lshl_add_u32 v38, v38, 23, 0x37800000
	s_delay_alu instid0(VALU_DEP_3) | instskip(NEXT) | instid1(VALU_DEP_1)
	v_lshlrev_b32_e32 v36, 21, v36
	v_or3_b32 v37, v37, v38, v36
.LBB6_9791:                             ;   in Loop: Header=BB6_8078 Depth=3
	s_or_b32 exec_lo, exec_lo, s17
	s_delay_alu instid0(VALU_DEP_1) | instskip(NEXT) | instid1(VALU_DEP_1)
	v_add_f32_e32 v36, v27, v37
	v_and_b32_e32 v27, 0x7f800000, v36
	s_delay_alu instid0(VALU_DEP_1)
	v_cmp_ne_u32_e32 vcc_lo, 0x7f800000, v27
	v_mov_b32_e32 v27, 0x80
	s_and_saveexec_b32 s17, vcc_lo
	s_cbranch_execz .LBB6_9799
; %bb.9792:                             ;   in Loop: Header=BB6_8078 Depth=3
	v_mov_b32_e32 v27, 0
	s_mov_b32 s30, exec_lo
	v_cmpx_ne_u32_e32 0, v36
	s_cbranch_execz .LBB6_9798
; %bb.9793:                             ;   in Loop: Header=BB6_8078 Depth=3
	v_bfe_u32 v27, v36, 23, 8
	s_delay_alu instid0(VALU_DEP_1) | instskip(SKIP_1) | instid1(VALU_DEP_2)
	v_sub_nc_u32_e32 v38, 0x70, v27
	v_cmp_gt_u32_e32 vcc_lo, 0x71, v27
	v_dual_cndmask_b32 v38, 0, v38 :: v_dual_and_b32 v37, 0x7fffff, v36
	s_delay_alu instid0(VALU_DEP_1) | instskip(SKIP_2) | instid1(VALU_DEP_4)
	v_or_b32_e32 v39, 0x800000, v37
	v_cmp_eq_u32_e32 vcc_lo, 0, v27
	v_add_nc_u32_e32 v27, 0xffffff91, v27
	v_cndmask_b32_e64 v38, v38, 0x6f, vcc_lo
	s_delay_alu instid0(VALU_DEP_2) | instskip(SKIP_1) | instid1(VALU_DEP_3)
	v_cndmask_b32_e64 v27, v27, 0xffffff92, vcc_lo
	v_cndmask_b32_e32 v37, v39, v37, vcc_lo
	v_lshl_add_u32 v39, 0x200000, v38, -1
	v_lshlrev_b32_e64 v50, v38, 0x100000
	s_delay_alu instid0(VALU_DEP_3) | instskip(SKIP_1) | instid1(VALU_DEP_4)
	v_lshrrev_b32_e32 v48, v38, v37
	v_add_nc_u32_e32 v38, v38, v27
	v_and_b32_e32 v37, v39, v37
	s_delay_alu instid0(VALU_DEP_3) | instskip(NEXT) | instid1(VALU_DEP_2)
	v_bfe_u32 v49, v48, 21, 1
	v_cmp_eq_u32_e64 s13, v37, v50
	s_delay_alu instid0(VALU_DEP_2) | instskip(NEXT) | instid1(VALU_DEP_1)
	v_add_nc_u32_e32 v39, -1, v49
	v_cndmask_b32_e64 v37, 0, v39, s13
	v_lshrrev_b32_e32 v39, 23, v48
	s_mov_b32 s13, exec_lo
	s_delay_alu instid0(VALU_DEP_2) | instskip(NEXT) | instid1(VALU_DEP_2)
	v_add_nc_u32_e32 v37, v37, v48
	v_xor_b32_e32 v39, 1, v39
	s_delay_alu instid0(VALU_DEP_2) | instskip(NEXT) | instid1(VALU_DEP_1)
	v_and_b32_e32 v27, 0x1fffff, v37
	v_add_nc_u32_e32 v37, v27, v48
                                        ; implicit-def: $vgpr27
	s_delay_alu instid0(VALU_DEP_3)
	v_cmpx_ne_u32_e64 v38, v39
	s_xor_b32 s13, exec_lo, s13
; %bb.9794:                             ;   in Loop: Header=BB6_8078 Depth=3
	s_delay_alu instid0(VALU_DEP_2) | instskip(SKIP_2) | instid1(VALU_DEP_2)
	v_cmp_lt_u32_e32 vcc_lo, 0xffffff, v37
	v_sub_nc_u32_e32 v27, v38, v39
	v_cndmask_b32_e64 v38, 0, 1, vcc_lo
	v_add_co_ci_u32_e32 v27, vcc_lo, 0, v27, vcc_lo
	s_delay_alu instid0(VALU_DEP_2)
	v_lshrrev_b32_e32 v37, v38, v37
; %bb.9795:                             ;   in Loop: Header=BB6_8078 Depth=3
	s_and_not1_saveexec_b32 s13, s13
; %bb.9796:                             ;   in Loop: Header=BB6_8078 Depth=3
	s_delay_alu instid0(VALU_DEP_1)
	v_bfe_u32 v27, v37, 23, 1
; %bb.9797:                             ;   in Loop: Header=BB6_8078 Depth=3
	s_or_b32 exec_lo, exec_lo, s13
	v_lshrrev_b32_e32 v37, 21, v37
	s_delay_alu instid0(VALU_DEP_2) | instskip(SKIP_2) | instid1(VALU_DEP_2)
	v_cmp_gt_i32_e32 vcc_lo, 32, v27
	v_lshrrev_b32_e32 v36, 24, v36
	v_min_i32_e32 v38, 31, v27
	v_dual_cndmask_b32 v37, 3, v37 :: v_dual_and_b32 v36, 0x80, v36
	s_delay_alu instid0(VALU_DEP_1) | instskip(SKIP_1) | instid1(VALU_DEP_2)
	v_or_b32_e32 v27, v27, v37
	v_and_b32_e32 v39, 3, v37
	v_cmp_ne_u32_e32 vcc_lo, 0, v27
	v_lshlrev_b32_e32 v38, 2, v38
	s_delay_alu instid0(VALU_DEP_1) | instskip(NEXT) | instid1(VALU_DEP_1)
	v_or3_b32 v36, v38, v36, v39
	v_cndmask_b32_e32 v27, 0, v36, vcc_lo
.LBB6_9798:                             ;   in Loop: Header=BB6_8078 Depth=3
	s_or_b32 exec_lo, exec_lo, s30
.LBB6_9799:                             ;   in Loop: Header=BB6_8078 Depth=3
	s_delay_alu instid0(SALU_CYCLE_1) | instskip(SKIP_3) | instid1(VALU_DEP_1)
	s_or_b32 exec_lo, exec_lo, s17
	v_and_b32_e32 v37, 0xff, v165
	s_mov_b32 s13, 0
	s_mov_b32 s30, exec_lo
                                        ; implicit-def: $sgpr17
	v_cmpx_lt_i16_e32 0x7f, v37
	s_xor_b32 s30, exec_lo, s30
	s_cbranch_execnz .LBB6_10605
; %bb.9800:                             ;   in Loop: Header=BB6_8078 Depth=3
	s_or_saveexec_b32 s30, s30
	v_mov_b32_e32 v36, s17
	s_xor_b32 exec_lo, exec_lo, s30
	s_cbranch_execnz .LBB6_10608
.LBB6_9801:                             ;   in Loop: Header=BB6_8078 Depth=3
	s_or_b32 exec_lo, exec_lo, s30
	s_and_saveexec_b32 s17, s13
	s_cbranch_execz .LBB6_9803
.LBB6_9802:                             ;   in Loop: Header=BB6_8078 Depth=3
	v_lshlrev_b32_e32 v36, 8, v165
	s_delay_alu instid0(VALU_DEP_1) | instskip(SKIP_1) | instid1(VALU_DEP_2)
	v_and_b32_e32 v38, 0xff00, v36
	v_bfe_u32 v36, v36, 10, 5
	v_bfe_u32 v39, v38, 8, 2
	s_delay_alu instid0(VALU_DEP_2) | instskip(NEXT) | instid1(VALU_DEP_2)
	v_cmp_eq_u32_e32 vcc_lo, 0, v36
	v_clz_i32_u32_e32 v48, v39
	s_delay_alu instid0(VALU_DEP_1) | instskip(NEXT) | instid1(VALU_DEP_1)
	v_min_u32_e32 v48, 32, v48
	v_subrev_nc_u32_e32 v49, 29, v48
	v_sub_nc_u32_e32 v48, 30, v48
	s_delay_alu instid0(VALU_DEP_1) | instskip(NEXT) | instid1(VALU_DEP_1)
	v_dual_cndmask_b32 v36, v36, v48 :: v_dual_lshlrev_b32 v37, v49, v37
	v_and_b32_e32 v37, 3, v37
	s_delay_alu instid0(VALU_DEP_2) | instskip(NEXT) | instid1(VALU_DEP_2)
	v_lshl_add_u32 v36, v36, 23, 0x37800000
	v_dual_cndmask_b32 v37, v39, v37 :: v_dual_lshlrev_b32 v38, 16, v38
	s_delay_alu instid0(VALU_DEP_1) | instskip(NEXT) | instid1(VALU_DEP_2)
	v_lshlrev_b32_e32 v37, 21, v37
	v_and_b32_e32 v38, 0x80000000, v38
	s_delay_alu instid0(VALU_DEP_1)
	v_or3_b32 v36, v38, v36, v37
.LBB6_9803:                             ;   in Loop: Header=BB6_8078 Depth=3
	s_or_b32 exec_lo, exec_lo, s17
	v_lshrrev_b32_e32 v37, 24, v10
	s_mov_b32 s13, 0
	s_mov_b32 s30, exec_lo
                                        ; implicit-def: $sgpr17
	s_delay_alu instid0(VALU_DEP_1)
	v_cmpx_lt_i16_e32 0x7f, v37
	s_xor_b32 s30, exec_lo, s30
	s_cbranch_execnz .LBB6_10609
; %bb.9804:                             ;   in Loop: Header=BB6_8078 Depth=3
	s_or_saveexec_b32 s30, s30
	v_mov_b32_e32 v38, s17
	s_xor_b32 exec_lo, exec_lo, s30
	s_cbranch_execnz .LBB6_10612
.LBB6_9805:                             ;   in Loop: Header=BB6_8078 Depth=3
	s_or_b32 exec_lo, exec_lo, s30
	s_and_saveexec_b32 s17, s13
	s_cbranch_execz .LBB6_9807
.LBB6_9806:                             ;   in Loop: Header=BB6_8078 Depth=3
	v_bfe_u32 v38, v10, 24, 2
	s_delay_alu instid0(VALU_DEP_1) | instskip(NEXT) | instid1(VALU_DEP_1)
	v_clz_i32_u32_e32 v39, v38
	v_min_u32_e32 v39, 32, v39
	s_delay_alu instid0(VALU_DEP_1) | instskip(SKIP_1) | instid1(VALU_DEP_2)
	v_subrev_nc_u32_e32 v48, 29, v39
	v_sub_nc_u32_e32 v39, 30, v39
	v_lshlrev_b32_e32 v37, v48, v37
	v_bfe_u32 v48, v10, 26, 5
	v_and_b32_e32 v10, 0x80000000, v10
	s_delay_alu instid0(VALU_DEP_3) | instskip(NEXT) | instid1(VALU_DEP_3)
	v_and_b32_e32 v37, 3, v37
	v_cmp_eq_u32_e32 vcc_lo, 0, v48
	v_cndmask_b32_e32 v39, v48, v39, vcc_lo
	s_delay_alu instid0(VALU_DEP_3) | instskip(NEXT) | instid1(VALU_DEP_2)
	v_cndmask_b32_e32 v37, v38, v37, vcc_lo
	v_lshl_add_u32 v38, v39, 23, 0x37800000
	s_delay_alu instid0(VALU_DEP_2) | instskip(NEXT) | instid1(VALU_DEP_1)
	v_lshlrev_b32_e32 v37, 21, v37
	v_or3_b32 v38, v10, v38, v37
.LBB6_9807:                             ;   in Loop: Header=BB6_8078 Depth=3
	s_or_b32 exec_lo, exec_lo, s17
	s_delay_alu instid0(VALU_DEP_1) | instskip(NEXT) | instid1(VALU_DEP_1)
	v_add_f32_e32 v36, v36, v38
	v_and_b32_e32 v10, 0x7f800000, v36
	s_delay_alu instid0(VALU_DEP_1)
	v_cmp_ne_u32_e32 vcc_lo, 0x7f800000, v10
	v_mov_b32_e32 v10, 0x80
	s_and_saveexec_b32 s17, vcc_lo
	s_cbranch_execz .LBB6_9815
; %bb.9808:                             ;   in Loop: Header=BB6_8078 Depth=3
	v_mov_b32_e32 v10, 0
	s_mov_b32 s30, exec_lo
	v_cmpx_ne_u32_e32 0, v36
	s_cbranch_execz .LBB6_9814
; %bb.9809:                             ;   in Loop: Header=BB6_8078 Depth=3
	v_bfe_u32 v10, v36, 23, 8
	s_delay_alu instid0(VALU_DEP_1) | instskip(SKIP_1) | instid1(VALU_DEP_2)
	v_sub_nc_u32_e32 v38, 0x70, v10
	v_cmp_gt_u32_e32 vcc_lo, 0x71, v10
	v_dual_cndmask_b32 v38, 0, v38 :: v_dual_and_b32 v37, 0x7fffff, v36
	s_delay_alu instid0(VALU_DEP_1) | instskip(SKIP_2) | instid1(VALU_DEP_4)
	v_or_b32_e32 v39, 0x800000, v37
	v_cmp_eq_u32_e32 vcc_lo, 0, v10
	v_add_nc_u32_e32 v10, 0xffffff91, v10
	v_cndmask_b32_e64 v38, v38, 0x6f, vcc_lo
	s_delay_alu instid0(VALU_DEP_4) | instskip(NEXT) | instid1(VALU_DEP_3)
	v_cndmask_b32_e32 v37, v39, v37, vcc_lo
	v_cndmask_b32_e64 v10, v10, 0xffffff92, vcc_lo
	s_delay_alu instid0(VALU_DEP_3) | instskip(NEXT) | instid1(VALU_DEP_3)
	v_lshl_add_u32 v39, 0x200000, v38, -1
	v_lshrrev_b32_e32 v48, v38, v37
	v_lshlrev_b32_e64 v50, v38, 0x100000
	s_delay_alu instid0(VALU_DEP_4) | instskip(NEXT) | instid1(VALU_DEP_4)
	v_add_nc_u32_e32 v38, v38, v10
	v_and_b32_e32 v37, v39, v37
	s_delay_alu instid0(VALU_DEP_4) | instskip(NEXT) | instid1(VALU_DEP_2)
	v_bfe_u32 v49, v48, 21, 1
	v_cmp_eq_u32_e64 s13, v37, v50
	s_delay_alu instid0(VALU_DEP_2) | instskip(NEXT) | instid1(VALU_DEP_1)
	v_add_nc_u32_e32 v39, -1, v49
	v_cndmask_b32_e64 v37, 0, v39, s13
	v_lshrrev_b32_e32 v39, 23, v48
	s_mov_b32 s13, exec_lo
	s_delay_alu instid0(VALU_DEP_2) | instskip(NEXT) | instid1(VALU_DEP_2)
	v_add_nc_u32_e32 v37, v37, v48
	v_xor_b32_e32 v39, 1, v39
	s_delay_alu instid0(VALU_DEP_2) | instskip(NEXT) | instid1(VALU_DEP_1)
	v_and_b32_e32 v10, 0x1fffff, v37
	v_add_nc_u32_e32 v37, v10, v48
                                        ; implicit-def: $vgpr10
	s_delay_alu instid0(VALU_DEP_3)
	v_cmpx_ne_u32_e64 v38, v39
	s_xor_b32 s13, exec_lo, s13
; %bb.9810:                             ;   in Loop: Header=BB6_8078 Depth=3
	s_delay_alu instid0(VALU_DEP_2) | instskip(SKIP_2) | instid1(VALU_DEP_2)
	v_cmp_lt_u32_e32 vcc_lo, 0xffffff, v37
	v_sub_nc_u32_e32 v10, v38, v39
	v_cndmask_b32_e64 v38, 0, 1, vcc_lo
	v_add_co_ci_u32_e32 v10, vcc_lo, 0, v10, vcc_lo
	s_delay_alu instid0(VALU_DEP_2)
	v_lshrrev_b32_e32 v37, v38, v37
; %bb.9811:                             ;   in Loop: Header=BB6_8078 Depth=3
	s_and_not1_saveexec_b32 s13, s13
; %bb.9812:                             ;   in Loop: Header=BB6_8078 Depth=3
	s_delay_alu instid0(VALU_DEP_1)
	v_bfe_u32 v10, v37, 23, 1
; %bb.9813:                             ;   in Loop: Header=BB6_8078 Depth=3
	s_or_b32 exec_lo, exec_lo, s13
	v_lshrrev_b32_e32 v37, 21, v37
	s_delay_alu instid0(VALU_DEP_2) | instskip(SKIP_2) | instid1(VALU_DEP_2)
	v_cmp_gt_i32_e32 vcc_lo, 32, v10
	v_lshrrev_b32_e32 v36, 24, v36
	v_min_i32_e32 v38, 31, v10
	v_dual_cndmask_b32 v37, 3, v37 :: v_dual_and_b32 v36, 0x80, v36
	s_delay_alu instid0(VALU_DEP_2) | instskip(NEXT) | instid1(VALU_DEP_2)
	v_lshlrev_b32_e32 v38, 2, v38
	v_or_b32_e32 v10, v10, v37
	s_delay_alu instid0(VALU_DEP_1) | instskip(SKIP_1) | instid1(VALU_DEP_1)
	v_cmp_ne_u32_e32 vcc_lo, 0, v10
	v_and_b32_e32 v39, 3, v37
	v_or3_b32 v36, v38, v36, v39
	s_delay_alu instid0(VALU_DEP_1)
	v_cndmask_b32_e32 v10, 0, v36, vcc_lo
.LBB6_9814:                             ;   in Loop: Header=BB6_8078 Depth=3
	s_or_b32 exec_lo, exec_lo, s30
.LBB6_9815:                             ;   in Loop: Header=BB6_8078 Depth=3
	s_delay_alu instid0(SALU_CYCLE_1) | instskip(SKIP_3) | instid1(VALU_DEP_1)
	s_or_b32 exec_lo, exec_lo, s17
	v_or_b32_e32 v38, v177, v164
	s_mov_b32 s13, 0
	s_mov_b32 s30, exec_lo
                                        ; implicit-def: $sgpr17
	v_and_b32_e32 v37, 0xff, v38
	s_delay_alu instid0(VALU_DEP_1)
	v_cmpx_lt_i16_e32 0x7f, v37
	s_xor_b32 s30, exec_lo, s30
	s_cbranch_execnz .LBB6_10613
; %bb.9816:                             ;   in Loop: Header=BB6_8078 Depth=3
	s_or_saveexec_b32 s30, s30
	v_mov_b32_e32 v36, s17
	s_xor_b32 exec_lo, exec_lo, s30
	s_cbranch_execnz .LBB6_10616
.LBB6_9817:                             ;   in Loop: Header=BB6_8078 Depth=3
	s_or_b32 exec_lo, exec_lo, s30
	s_and_saveexec_b32 s17, s13
	s_cbranch_execz .LBB6_9819
.LBB6_9818:                             ;   in Loop: Header=BB6_8078 Depth=3
	v_bfe_u32 v48, v38, 2, 5
	s_delay_alu instid0(VALU_DEP_1) | instskip(SKIP_1) | instid1(VALU_DEP_1)
	v_cmp_eq_u32_e32 vcc_lo, 0, v48
	v_and_b32_e32 v36, 3, v38
	v_clz_i32_u32_e32 v37, v36
	s_delay_alu instid0(VALU_DEP_1) | instskip(NEXT) | instid1(VALU_DEP_1)
	v_min_u32_e32 v37, 32, v37
	v_subrev_nc_u32_e32 v39, 29, v37
	v_sub_nc_u32_e32 v37, 30, v37
	s_delay_alu instid0(VALU_DEP_2) | instskip(NEXT) | instid1(VALU_DEP_2)
	v_lshlrev_b32_e32 v39, v39, v38
	v_cndmask_b32_e32 v37, v48, v37, vcc_lo
	s_delay_alu instid0(VALU_DEP_2) | instskip(SKIP_1) | instid1(VALU_DEP_3)
	v_and_b32_e32 v39, 3, v39
	v_lshlrev_b32_e32 v49, 24, v38
	v_lshl_add_u32 v37, v37, 23, 0x37800000
	s_delay_alu instid0(VALU_DEP_2) | instskip(NEXT) | instid1(VALU_DEP_1)
	v_dual_cndmask_b32 v36, v36, v39 :: v_dual_and_b32 v39, 0x80000000, v49
	v_lshlrev_b32_e32 v36, 21, v36
	s_delay_alu instid0(VALU_DEP_1)
	v_or3_b32 v36, v39, v37, v36
.LBB6_9819:                             ;   in Loop: Header=BB6_8078 Depth=3
	s_or_b32 exec_lo, exec_lo, s17
	v_and_b32_e32 v39, 0xff, v11
	s_mov_b32 s13, 0
	s_mov_b32 s30, exec_lo
                                        ; implicit-def: $sgpr17
	s_delay_alu instid0(VALU_DEP_1)
	v_cmpx_lt_i16_e32 0x7f, v39
	s_xor_b32 s30, exec_lo, s30
	s_cbranch_execnz .LBB6_10617
; %bb.9820:                             ;   in Loop: Header=BB6_8078 Depth=3
	s_or_saveexec_b32 s30, s30
	v_mov_b32_e32 v37, s17
	s_xor_b32 exec_lo, exec_lo, s30
	s_cbranch_execnz .LBB6_10620
.LBB6_9821:                             ;   in Loop: Header=BB6_8078 Depth=3
	s_or_b32 exec_lo, exec_lo, s30
	s_and_saveexec_b32 s17, s13
	s_cbranch_execz .LBB6_9823
.LBB6_9822:                             ;   in Loop: Header=BB6_8078 Depth=3
	v_and_b32_e32 v37, 3, v11
	v_bfe_u32 v49, v11, 2, 5
	s_delay_alu instid0(VALU_DEP_2) | instskip(NEXT) | instid1(VALU_DEP_2)
	v_clz_i32_u32_e32 v39, v37
	v_cmp_eq_u32_e32 vcc_lo, 0, v49
	s_delay_alu instid0(VALU_DEP_2) | instskip(NEXT) | instid1(VALU_DEP_1)
	v_min_u32_e32 v39, 32, v39
	v_subrev_nc_u32_e32 v48, 29, v39
	v_sub_nc_u32_e32 v39, 30, v39
	s_delay_alu instid0(VALU_DEP_2) | instskip(NEXT) | instid1(VALU_DEP_1)
	v_lshlrev_b32_e32 v48, v48, v11
	v_dual_cndmask_b32 v39, v49, v39 :: v_dual_and_b32 v48, 3, v48
	v_lshlrev_b32_e32 v50, 24, v11
	s_delay_alu instid0(VALU_DEP_2) | instskip(NEXT) | instid1(VALU_DEP_2)
	v_lshl_add_u32 v39, v39, 23, 0x37800000
	v_dual_cndmask_b32 v37, v37, v48 :: v_dual_and_b32 v48, 0x80000000, v50
	s_delay_alu instid0(VALU_DEP_1) | instskip(NEXT) | instid1(VALU_DEP_1)
	v_lshlrev_b32_e32 v37, 21, v37
	v_or3_b32 v37, v48, v39, v37
.LBB6_9823:                             ;   in Loop: Header=BB6_8078 Depth=3
	s_or_b32 exec_lo, exec_lo, s17
	s_delay_alu instid0(VALU_DEP_1) | instskip(NEXT) | instid1(VALU_DEP_1)
	v_add_f32_e32 v37, v36, v37
	v_and_b32_e32 v36, 0x7f800000, v37
	s_delay_alu instid0(VALU_DEP_1)
	v_cmp_ne_u32_e32 vcc_lo, 0x7f800000, v36
	v_mov_b32_e32 v36, 0x80
	s_and_saveexec_b32 s17, vcc_lo
	s_cbranch_execz .LBB6_9831
; %bb.9824:                             ;   in Loop: Header=BB6_8078 Depth=3
	v_mov_b32_e32 v36, 0
	s_mov_b32 s30, exec_lo
	v_cmpx_ne_u32_e32 0, v37
	s_cbranch_execz .LBB6_9830
; %bb.9825:                             ;   in Loop: Header=BB6_8078 Depth=3
	v_bfe_u32 v36, v37, 23, 8
	s_delay_alu instid0(VALU_DEP_1) | instskip(SKIP_1) | instid1(VALU_DEP_2)
	v_sub_nc_u32_e32 v48, 0x70, v36
	v_cmp_gt_u32_e32 vcc_lo, 0x71, v36
	v_dual_cndmask_b32 v48, 0, v48 :: v_dual_and_b32 v39, 0x7fffff, v37
	s_delay_alu instid0(VALU_DEP_1) | instskip(SKIP_2) | instid1(VALU_DEP_4)
	v_or_b32_e32 v49, 0x800000, v39
	v_cmp_eq_u32_e32 vcc_lo, 0, v36
	v_add_nc_u32_e32 v36, 0xffffff91, v36
	v_cndmask_b32_e64 v48, v48, 0x6f, vcc_lo
	s_delay_alu instid0(VALU_DEP_4) | instskip(NEXT) | instid1(VALU_DEP_3)
	v_cndmask_b32_e32 v39, v49, v39, vcc_lo
	v_cndmask_b32_e64 v36, v36, 0xffffff92, vcc_lo
	s_delay_alu instid0(VALU_DEP_3) | instskip(NEXT) | instid1(VALU_DEP_3)
	v_lshl_add_u32 v49, 0x200000, v48, -1
	v_lshrrev_b32_e32 v50, v48, v39
	v_lshlrev_b32_e64 v53, v48, 0x100000
	s_delay_alu instid0(VALU_DEP_4) | instskip(NEXT) | instid1(VALU_DEP_4)
	v_add_nc_u32_e32 v48, v48, v36
	v_and_b32_e32 v39, v49, v39
	s_delay_alu instid0(VALU_DEP_4) | instskip(NEXT) | instid1(VALU_DEP_2)
	v_bfe_u32 v51, v50, 21, 1
	v_cmp_eq_u32_e64 s13, v39, v53
	s_delay_alu instid0(VALU_DEP_2) | instskip(NEXT) | instid1(VALU_DEP_1)
	v_add_nc_u32_e32 v49, -1, v51
	v_cndmask_b32_e64 v39, 0, v49, s13
	v_lshrrev_b32_e32 v49, 23, v50
	s_mov_b32 s13, exec_lo
	s_delay_alu instid0(VALU_DEP_2) | instskip(NEXT) | instid1(VALU_DEP_2)
	v_add_nc_u32_e32 v39, v39, v50
	v_xor_b32_e32 v49, 1, v49
	s_delay_alu instid0(VALU_DEP_2) | instskip(NEXT) | instid1(VALU_DEP_1)
	v_and_b32_e32 v36, 0x1fffff, v39
	v_add_nc_u32_e32 v39, v36, v50
                                        ; implicit-def: $vgpr36
	s_delay_alu instid0(VALU_DEP_3)
	v_cmpx_ne_u32_e64 v48, v49
	s_xor_b32 s13, exec_lo, s13
; %bb.9826:                             ;   in Loop: Header=BB6_8078 Depth=3
	s_delay_alu instid0(VALU_DEP_2) | instskip(SKIP_2) | instid1(VALU_DEP_2)
	v_cmp_lt_u32_e32 vcc_lo, 0xffffff, v39
	v_sub_nc_u32_e32 v36, v48, v49
	v_cndmask_b32_e64 v48, 0, 1, vcc_lo
	v_add_co_ci_u32_e32 v36, vcc_lo, 0, v36, vcc_lo
	s_delay_alu instid0(VALU_DEP_2)
	v_lshrrev_b32_e32 v39, v48, v39
; %bb.9827:                             ;   in Loop: Header=BB6_8078 Depth=3
	s_and_not1_saveexec_b32 s13, s13
; %bb.9828:                             ;   in Loop: Header=BB6_8078 Depth=3
	s_delay_alu instid0(VALU_DEP_1)
	v_bfe_u32 v36, v39, 23, 1
; %bb.9829:                             ;   in Loop: Header=BB6_8078 Depth=3
	s_or_b32 exec_lo, exec_lo, s13
	v_lshrrev_b32_e32 v39, 21, v39
	s_delay_alu instid0(VALU_DEP_2) | instskip(SKIP_2) | instid1(VALU_DEP_2)
	v_cmp_gt_i32_e32 vcc_lo, 32, v36
	v_min_i32_e32 v48, 31, v36
	v_lshrrev_b32_e32 v37, 24, v37
	v_dual_cndmask_b32 v39, 3, v39 :: v_dual_lshlrev_b32 v48, 2, v48
	s_delay_alu instid0(VALU_DEP_2) | instskip(NEXT) | instid1(VALU_DEP_2)
	v_and_b32_e32 v37, 0x80, v37
	v_or_b32_e32 v36, v36, v39
	s_delay_alu instid0(VALU_DEP_1) | instskip(SKIP_1) | instid1(VALU_DEP_1)
	v_cmp_ne_u32_e32 vcc_lo, 0, v36
	v_and_b32_e32 v49, 3, v39
	v_or3_b32 v37, v48, v37, v49
	s_delay_alu instid0(VALU_DEP_1)
	v_cndmask_b32_e32 v36, 0, v37, vcc_lo
.LBB6_9830:                             ;   in Loop: Header=BB6_8078 Depth=3
	s_or_b32 exec_lo, exec_lo, s30
.LBB6_9831:                             ;   in Loop: Header=BB6_8078 Depth=3
	s_delay_alu instid0(SALU_CYCLE_1) | instskip(SKIP_3) | instid1(VALU_DEP_1)
	s_or_b32 exec_lo, exec_lo, s17
	v_lshrrev_b16 v39, 8, v38
	s_mov_b32 s13, 0
	s_mov_b32 s30, exec_lo
                                        ; implicit-def: $sgpr17
	v_cmpx_lt_i16_e32 0x7f, v39
	s_xor_b32 s30, exec_lo, s30
	s_cbranch_execnz .LBB6_10621
; %bb.9832:                             ;   in Loop: Header=BB6_8078 Depth=3
	s_or_saveexec_b32 s30, s30
	v_mov_b32_e32 v37, s17
	s_xor_b32 exec_lo, exec_lo, s30
	s_cbranch_execnz .LBB6_10624
.LBB6_9833:                             ;   in Loop: Header=BB6_8078 Depth=3
	s_or_b32 exec_lo, exec_lo, s30
	s_and_saveexec_b32 s17, s13
	s_cbranch_execz .LBB6_9835
.LBB6_9834:                             ;   in Loop: Header=BB6_8078 Depth=3
	v_and_b32_e32 v37, 0xffff, v39
	v_lshlrev_b32_e32 v39, 24, v39
	s_delay_alu instid0(VALU_DEP_2) | instskip(NEXT) | instid1(VALU_DEP_2)
	v_and_b32_e32 v48, 3, v37
	v_and_b32_e32 v39, 0x80000000, v39
	s_delay_alu instid0(VALU_DEP_2) | instskip(NEXT) | instid1(VALU_DEP_1)
	v_clz_i32_u32_e32 v49, v48
	v_min_u32_e32 v49, 32, v49
	s_delay_alu instid0(VALU_DEP_1) | instskip(SKIP_1) | instid1(VALU_DEP_2)
	v_subrev_nc_u32_e32 v50, 29, v49
	v_sub_nc_u32_e32 v49, 30, v49
	v_lshlrev_b32_e32 v50, v50, v37
	v_bfe_u32 v37, v37, 2, 5
	s_delay_alu instid0(VALU_DEP_1) | instskip(NEXT) | instid1(VALU_DEP_3)
	v_cmp_eq_u32_e32 vcc_lo, 0, v37
	v_dual_cndmask_b32 v37, v37, v49 :: v_dual_and_b32 v50, 3, v50
	s_delay_alu instid0(VALU_DEP_1) | instskip(NEXT) | instid1(VALU_DEP_2)
	v_cndmask_b32_e32 v48, v48, v50, vcc_lo
	v_lshl_add_u32 v37, v37, 23, 0x37800000
	s_delay_alu instid0(VALU_DEP_2) | instskip(NEXT) | instid1(VALU_DEP_1)
	v_lshlrev_b32_e32 v48, 21, v48
	v_or3_b32 v37, v39, v37, v48
.LBB6_9835:                             ;   in Loop: Header=BB6_8078 Depth=3
	s_or_b32 exec_lo, exec_lo, s17
	v_lshrrev_b16 v39, 8, v11
	s_mov_b32 s13, 0
	s_mov_b32 s30, exec_lo
                                        ; implicit-def: $sgpr17
	s_delay_alu instid0(VALU_DEP_1)
	v_cmpx_lt_i16_e32 0x7f, v39
	s_xor_b32 s30, exec_lo, s30
	s_cbranch_execnz .LBB6_10625
; %bb.9836:                             ;   in Loop: Header=BB6_8078 Depth=3
	s_or_saveexec_b32 s30, s30
	v_mov_b32_e32 v48, s17
	s_xor_b32 exec_lo, exec_lo, s30
	s_cbranch_execnz .LBB6_10628
.LBB6_9837:                             ;   in Loop: Header=BB6_8078 Depth=3
	s_or_b32 exec_lo, exec_lo, s30
	s_and_saveexec_b32 s17, s13
	s_cbranch_execz .LBB6_9839
.LBB6_9838:                             ;   in Loop: Header=BB6_8078 Depth=3
	v_and_b32_e32 v48, 0xffff, v39
	v_lshlrev_b32_e32 v39, 24, v39
	s_delay_alu instid0(VALU_DEP_2) | instskip(NEXT) | instid1(VALU_DEP_2)
	v_and_b32_e32 v49, 3, v48
	v_and_b32_e32 v39, 0x80000000, v39
	s_delay_alu instid0(VALU_DEP_2) | instskip(NEXT) | instid1(VALU_DEP_1)
	v_clz_i32_u32_e32 v50, v49
	v_min_u32_e32 v50, 32, v50
	s_delay_alu instid0(VALU_DEP_1) | instskip(SKIP_1) | instid1(VALU_DEP_2)
	v_subrev_nc_u32_e32 v51, 29, v50
	v_sub_nc_u32_e32 v50, 30, v50
	v_lshlrev_b32_e32 v51, v51, v48
	v_bfe_u32 v48, v48, 2, 5
	s_delay_alu instid0(VALU_DEP_2) | instskip(NEXT) | instid1(VALU_DEP_2)
	v_and_b32_e32 v51, 3, v51
	v_cmp_eq_u32_e32 vcc_lo, 0, v48
	s_delay_alu instid0(VALU_DEP_2) | instskip(NEXT) | instid1(VALU_DEP_1)
	v_dual_cndmask_b32 v48, v48, v50 :: v_dual_cndmask_b32 v49, v49, v51
	v_lshl_add_u32 v48, v48, 23, 0x37800000
	s_delay_alu instid0(VALU_DEP_2) | instskip(NEXT) | instid1(VALU_DEP_1)
	v_lshlrev_b32_e32 v49, 21, v49
	v_or3_b32 v48, v39, v48, v49
.LBB6_9839:                             ;   in Loop: Header=BB6_8078 Depth=3
	s_or_b32 exec_lo, exec_lo, s17
	s_delay_alu instid0(VALU_DEP_1) | instskip(NEXT) | instid1(VALU_DEP_1)
	v_add_f32_e32 v39, v37, v48
	v_and_b32_e32 v37, 0x7f800000, v39
	s_delay_alu instid0(VALU_DEP_1)
	v_cmp_ne_u32_e32 vcc_lo, 0x7f800000, v37
	v_mov_b32_e32 v37, 0x8000
	s_and_saveexec_b32 s17, vcc_lo
	s_cbranch_execz .LBB6_9847
; %bb.9840:                             ;   in Loop: Header=BB6_8078 Depth=3
	v_mov_b32_e32 v37, 0
	s_mov_b32 s30, exec_lo
	v_cmpx_ne_u32_e32 0, v39
	s_cbranch_execz .LBB6_9846
; %bb.9841:                             ;   in Loop: Header=BB6_8078 Depth=3
	v_bfe_u32 v37, v39, 23, 8
	s_delay_alu instid0(VALU_DEP_1) | instskip(SKIP_1) | instid1(VALU_DEP_2)
	v_sub_nc_u32_e32 v49, 0x70, v37
	v_cmp_gt_u32_e32 vcc_lo, 0x71, v37
	v_dual_cndmask_b32 v49, 0, v49 :: v_dual_and_b32 v48, 0x7fffff, v39
	s_delay_alu instid0(VALU_DEP_1) | instskip(SKIP_2) | instid1(VALU_DEP_4)
	v_or_b32_e32 v50, 0x800000, v48
	v_cmp_eq_u32_e32 vcc_lo, 0, v37
	v_add_nc_u32_e32 v37, 0xffffff91, v37
	v_cndmask_b32_e64 v49, v49, 0x6f, vcc_lo
	s_delay_alu instid0(VALU_DEP_4) | instskip(NEXT) | instid1(VALU_DEP_3)
	v_cndmask_b32_e32 v48, v50, v48, vcc_lo
	v_cndmask_b32_e64 v37, v37, 0xffffff92, vcc_lo
	s_delay_alu instid0(VALU_DEP_3) | instskip(NEXT) | instid1(VALU_DEP_3)
	v_lshl_add_u32 v51, 0x200000, v49, -1
	v_lshrrev_b32_e32 v50, v49, v48
	v_lshlrev_b32_e64 v54, v49, 0x100000
	s_delay_alu instid0(VALU_DEP_4) | instskip(NEXT) | instid1(VALU_DEP_4)
	v_add_nc_u32_e32 v49, v49, v37
	v_and_b32_e32 v48, v51, v48
	s_delay_alu instid0(VALU_DEP_4) | instskip(NEXT) | instid1(VALU_DEP_2)
	v_bfe_u32 v53, v50, 21, 1
	v_cmp_eq_u32_e64 s13, v48, v54
	s_delay_alu instid0(VALU_DEP_2) | instskip(NEXT) | instid1(VALU_DEP_1)
	v_add_nc_u32_e32 v51, -1, v53
	v_cndmask_b32_e64 v48, 0, v51, s13
	v_lshrrev_b32_e32 v51, 23, v50
	s_mov_b32 s13, exec_lo
	s_delay_alu instid0(VALU_DEP_2) | instskip(NEXT) | instid1(VALU_DEP_2)
	v_add_nc_u32_e32 v48, v48, v50
	v_xor_b32_e32 v53, 1, v51
	s_delay_alu instid0(VALU_DEP_2) | instskip(NEXT) | instid1(VALU_DEP_1)
	v_and_b32_e32 v37, 0x1fffff, v48
	v_add_nc_u32_e32 v48, v37, v50
                                        ; implicit-def: $vgpr37
	s_delay_alu instid0(VALU_DEP_3)
	v_cmpx_ne_u32_e64 v49, v53
	s_xor_b32 s13, exec_lo, s13
; %bb.9842:                             ;   in Loop: Header=BB6_8078 Depth=3
	s_delay_alu instid0(VALU_DEP_2) | instskip(SKIP_2) | instid1(VALU_DEP_2)
	v_cmp_lt_u32_e32 vcc_lo, 0xffffff, v48
	v_sub_nc_u32_e32 v37, v49, v53
	v_cndmask_b32_e64 v49, 0, 1, vcc_lo
	v_add_co_ci_u32_e32 v37, vcc_lo, 0, v37, vcc_lo
	s_delay_alu instid0(VALU_DEP_2)
	v_lshrrev_b32_e32 v48, v49, v48
; %bb.9843:                             ;   in Loop: Header=BB6_8078 Depth=3
	s_and_not1_saveexec_b32 s13, s13
; %bb.9844:                             ;   in Loop: Header=BB6_8078 Depth=3
	s_delay_alu instid0(VALU_DEP_1)
	v_bfe_u32 v37, v48, 23, 1
; %bb.9845:                             ;   in Loop: Header=BB6_8078 Depth=3
	s_or_b32 exec_lo, exec_lo, s13
	v_lshrrev_b32_e32 v48, 21, v48
	s_delay_alu instid0(VALU_DEP_2) | instskip(SKIP_2) | instid1(VALU_DEP_2)
	v_cmp_gt_i32_e32 vcc_lo, 32, v37
	v_min_i32_e32 v49, 31, v37
	v_lshrrev_b32_e32 v39, 24, v39
	v_dual_cndmask_b32 v48, 3, v48 :: v_dual_lshlrev_b32 v49, 2, v49
	s_delay_alu instid0(VALU_DEP_2) | instskip(NEXT) | instid1(VALU_DEP_2)
	v_and_b32_e32 v39, 0x80, v39
	v_or_b32_e32 v37, v37, v48
	s_delay_alu instid0(VALU_DEP_3) | instskip(NEXT) | instid1(VALU_DEP_2)
	v_and_b32_e32 v49, 0xfc, v49
	v_cmp_ne_u32_e32 vcc_lo, 0, v37
	v_and_b32_e32 v50, 3, v48
	s_delay_alu instid0(VALU_DEP_1) | instskip(NEXT) | instid1(VALU_DEP_1)
	v_or3_b32 v39, v39, v49, v50
	v_lshlrev_b32_e32 v39, 8, v39
	s_delay_alu instid0(VALU_DEP_1)
	v_cndmask_b32_e32 v37, 0, v39, vcc_lo
.LBB6_9846:                             ;   in Loop: Header=BB6_8078 Depth=3
	s_or_b32 exec_lo, exec_lo, s30
.LBB6_9847:                             ;   in Loop: Header=BB6_8078 Depth=3
	s_delay_alu instid0(SALU_CYCLE_1) | instskip(SKIP_3) | instid1(VALU_DEP_1)
	s_or_b32 exec_lo, exec_lo, s17
	v_or_b32_e32 v39, v166, v162
	s_mov_b32 s13, 0
	s_mov_b32 s30, exec_lo
                                        ; implicit-def: $sgpr17
	v_and_b32_e32 v49, 0xff, v39
	s_delay_alu instid0(VALU_DEP_1)
	v_cmpx_lt_i16_e32 0x7f, v49
	s_xor_b32 s30, exec_lo, s30
	s_cbranch_execnz .LBB6_10629
; %bb.9848:                             ;   in Loop: Header=BB6_8078 Depth=3
	s_or_saveexec_b32 s30, s30
	v_mov_b32_e32 v48, s17
	s_xor_b32 exec_lo, exec_lo, s30
	s_cbranch_execnz .LBB6_10632
.LBB6_9849:                             ;   in Loop: Header=BB6_8078 Depth=3
	s_or_b32 exec_lo, exec_lo, s30
	v_lshl_or_b32 v39, v39, 16, v38
	s_and_saveexec_b32 s17, s13
	s_cbranch_execz .LBB6_9851
.LBB6_9850:                             ;   in Loop: Header=BB6_8078 Depth=3
	s_delay_alu instid0(VALU_DEP_1) | instskip(SKIP_1) | instid1(VALU_DEP_2)
	v_bfe_u32 v38, v39, 16, 2
	v_lshrrev_b32_e32 v49, 16, v39
	v_clz_i32_u32_e32 v48, v38
	s_delay_alu instid0(VALU_DEP_1) | instskip(NEXT) | instid1(VALU_DEP_1)
	v_min_u32_e32 v48, 32, v48
	v_subrev_nc_u32_e32 v50, 29, v48
	v_sub_nc_u32_e32 v48, 30, v48
	s_delay_alu instid0(VALU_DEP_2) | instskip(SKIP_1) | instid1(VALU_DEP_1)
	v_lshlrev_b32_e32 v49, v50, v49
	v_bfe_u32 v50, v39, 18, 5
	v_cmp_eq_u32_e32 vcc_lo, 0, v50
	s_delay_alu instid0(VALU_DEP_3) | instskip(NEXT) | instid1(VALU_DEP_1)
	v_dual_cndmask_b32 v48, v50, v48 :: v_dual_and_b32 v49, 3, v49
	v_dual_cndmask_b32 v38, v38, v49 :: v_dual_lshlrev_b32 v51, 8, v39
	s_delay_alu instid0(VALU_DEP_2) | instskip(NEXT) | instid1(VALU_DEP_2)
	v_lshl_add_u32 v48, v48, 23, 0x37800000
	v_and_b32_e32 v49, 0x80000000, v51
	s_delay_alu instid0(VALU_DEP_3) | instskip(NEXT) | instid1(VALU_DEP_1)
	v_lshlrev_b32_e32 v38, 21, v38
	v_or3_b32 v48, v49, v48, v38
.LBB6_9851:                             ;   in Loop: Header=BB6_8078 Depth=3
	s_or_b32 exec_lo, exec_lo, s17
	v_lshrrev_b32_e32 v38, 16, v11
	s_mov_b32 s13, 0
	s_mov_b32 s30, exec_lo
                                        ; implicit-def: $sgpr17
	s_delay_alu instid0(VALU_DEP_1) | instskip(NEXT) | instid1(VALU_DEP_1)
	v_and_b32_e32 v53, 0xff, v38
	v_cmpx_lt_i16_e32 0x7f, v53
	s_xor_b32 s30, exec_lo, s30
	s_cbranch_execnz .LBB6_10633
; %bb.9852:                             ;   in Loop: Header=BB6_8078 Depth=3
	s_or_saveexec_b32 s30, s30
	v_mov_b32_e32 v49, s17
	s_xor_b32 exec_lo, exec_lo, s30
	s_cbranch_execnz .LBB6_10636
.LBB6_9853:                             ;   in Loop: Header=BB6_8078 Depth=3
	s_or_b32 exec_lo, exec_lo, s30
	s_and_saveexec_b32 s17, s13
	s_cbranch_execz .LBB6_9855
.LBB6_9854:                             ;   in Loop: Header=BB6_8078 Depth=3
	v_bfe_u32 v49, v11, 16, 2
	s_delay_alu instid0(VALU_DEP_1) | instskip(NEXT) | instid1(VALU_DEP_1)
	v_clz_i32_u32_e32 v50, v49
	v_min_u32_e32 v50, 32, v50
	s_delay_alu instid0(VALU_DEP_1) | instskip(SKIP_1) | instid1(VALU_DEP_2)
	v_subrev_nc_u32_e32 v51, 29, v50
	v_sub_nc_u32_e32 v50, 30, v50
	v_lshlrev_b32_e32 v38, v51, v38
	v_bfe_u32 v51, v11, 18, 5
	s_delay_alu instid0(VALU_DEP_2) | instskip(NEXT) | instid1(VALU_DEP_2)
	v_and_b32_e32 v38, 3, v38
	v_cmp_eq_u32_e32 vcc_lo, 0, v51
	v_dual_cndmask_b32 v50, v51, v50 :: v_dual_lshlrev_b32 v53, 8, v11
	s_delay_alu instid0(VALU_DEP_1) | instskip(NEXT) | instid1(VALU_DEP_2)
	v_dual_cndmask_b32 v38, v49, v38 :: v_dual_and_b32 v49, 0x80000000, v53
	v_lshl_add_u32 v50, v50, 23, 0x37800000
	s_delay_alu instid0(VALU_DEP_2) | instskip(NEXT) | instid1(VALU_DEP_1)
	v_lshlrev_b32_e32 v38, 21, v38
	v_or3_b32 v49, v49, v50, v38
.LBB6_9855:                             ;   in Loop: Header=BB6_8078 Depth=3
	s_or_b32 exec_lo, exec_lo, s17
	s_delay_alu instid0(VALU_DEP_1) | instskip(NEXT) | instid1(VALU_DEP_1)
	v_add_f32_e32 v48, v48, v49
	v_and_b32_e32 v38, 0x7f800000, v48
	s_delay_alu instid0(VALU_DEP_1)
	v_cmp_ne_u32_e32 vcc_lo, 0x7f800000, v38
	v_mov_b32_e32 v38, 0x80
	s_and_saveexec_b32 s17, vcc_lo
	s_cbranch_execz .LBB6_9863
; %bb.9856:                             ;   in Loop: Header=BB6_8078 Depth=3
	v_mov_b32_e32 v38, 0
	s_mov_b32 s30, exec_lo
	v_cmpx_ne_u32_e32 0, v48
	s_cbranch_execz .LBB6_9862
; %bb.9857:                             ;   in Loop: Header=BB6_8078 Depth=3
	v_bfe_u32 v38, v48, 23, 8
	s_delay_alu instid0(VALU_DEP_1) | instskip(SKIP_1) | instid1(VALU_DEP_2)
	v_sub_nc_u32_e32 v50, 0x70, v38
	v_cmp_gt_u32_e32 vcc_lo, 0x71, v38
	v_dual_cndmask_b32 v50, 0, v50 :: v_dual_and_b32 v49, 0x7fffff, v48
	s_delay_alu instid0(VALU_DEP_1) | instskip(SKIP_2) | instid1(VALU_DEP_4)
	v_or_b32_e32 v51, 0x800000, v49
	v_cmp_eq_u32_e32 vcc_lo, 0, v38
	v_add_nc_u32_e32 v38, 0xffffff91, v38
	v_cndmask_b32_e64 v50, v50, 0x6f, vcc_lo
	s_delay_alu instid0(VALU_DEP_4) | instskip(NEXT) | instid1(VALU_DEP_3)
	v_cndmask_b32_e32 v49, v51, v49, vcc_lo
	v_cndmask_b32_e64 v38, v38, 0xffffff92, vcc_lo
	s_delay_alu instid0(VALU_DEP_3) | instskip(NEXT) | instid1(VALU_DEP_3)
	v_lshl_add_u32 v53, 0x200000, v50, -1
	v_lshrrev_b32_e32 v51, v50, v49
	v_lshlrev_b32_e64 v55, v50, 0x100000
	s_delay_alu instid0(VALU_DEP_3) | instskip(NEXT) | instid1(VALU_DEP_3)
	v_and_b32_e32 v49, v53, v49
	v_bfe_u32 v54, v51, 21, 1
	s_delay_alu instid0(VALU_DEP_2) | instskip(NEXT) | instid1(VALU_DEP_2)
	v_cmp_eq_u32_e64 s13, v49, v55
	v_add_nc_u32_e32 v53, -1, v54
	v_lshrrev_b32_e32 v54, 23, v51
	s_delay_alu instid0(VALU_DEP_2) | instskip(SKIP_1) | instid1(VALU_DEP_3)
	v_cndmask_b32_e64 v49, 0, v53, s13
	v_add_nc_u32_e32 v53, v50, v38
	v_xor_b32_e32 v54, 1, v54
	s_mov_b32 s13, exec_lo
	s_delay_alu instid0(VALU_DEP_3) | instskip(NEXT) | instid1(VALU_DEP_1)
	v_add_nc_u32_e32 v49, v49, v51
	v_and_b32_e32 v38, 0x1fffff, v49
	s_delay_alu instid0(VALU_DEP_1)
	v_add_nc_u32_e32 v49, v38, v51
                                        ; implicit-def: $vgpr38
	v_cmpx_ne_u32_e64 v53, v54
	s_xor_b32 s13, exec_lo, s13
; %bb.9858:                             ;   in Loop: Header=BB6_8078 Depth=3
	s_delay_alu instid0(VALU_DEP_2) | instskip(SKIP_2) | instid1(VALU_DEP_2)
	v_cmp_lt_u32_e32 vcc_lo, 0xffffff, v49
	v_sub_nc_u32_e32 v38, v53, v54
	v_cndmask_b32_e64 v50, 0, 1, vcc_lo
	v_add_co_ci_u32_e32 v38, vcc_lo, 0, v38, vcc_lo
	s_delay_alu instid0(VALU_DEP_2)
	v_lshrrev_b32_e32 v49, v50, v49
; %bb.9859:                             ;   in Loop: Header=BB6_8078 Depth=3
	s_and_not1_saveexec_b32 s13, s13
; %bb.9860:                             ;   in Loop: Header=BB6_8078 Depth=3
	s_delay_alu instid0(VALU_DEP_1)
	v_bfe_u32 v38, v49, 23, 1
; %bb.9861:                             ;   in Loop: Header=BB6_8078 Depth=3
	s_or_b32 exec_lo, exec_lo, s13
	v_lshrrev_b32_e32 v49, 21, v49
	s_delay_alu instid0(VALU_DEP_2) | instskip(SKIP_2) | instid1(VALU_DEP_2)
	v_cmp_gt_i32_e32 vcc_lo, 32, v38
	v_min_i32_e32 v50, 31, v38
	v_lshrrev_b32_e32 v48, 24, v48
	v_dual_cndmask_b32 v49, 3, v49 :: v_dual_lshlrev_b32 v50, 2, v50
	s_delay_alu instid0(VALU_DEP_2) | instskip(NEXT) | instid1(VALU_DEP_2)
	v_and_b32_e32 v48, 0x80, v48
	v_or_b32_e32 v38, v38, v49
	s_delay_alu instid0(VALU_DEP_3) | instskip(NEXT) | instid1(VALU_DEP_2)
	v_and_b32_e32 v50, 0xfc, v50
	v_cmp_ne_u32_e32 vcc_lo, 0, v38
	v_and_b32_e32 v51, 3, v49
	s_delay_alu instid0(VALU_DEP_1) | instskip(NEXT) | instid1(VALU_DEP_1)
	v_or3_b32 v48, v50, v48, v51
	v_cndmask_b32_e32 v38, 0, v48, vcc_lo
.LBB6_9862:                             ;   in Loop: Header=BB6_8078 Depth=3
	s_or_b32 exec_lo, exec_lo, s30
.LBB6_9863:                             ;   in Loop: Header=BB6_8078 Depth=3
	s_delay_alu instid0(SALU_CYCLE_1) | instskip(SKIP_3) | instid1(VALU_DEP_1)
	s_or_b32 exec_lo, exec_lo, s17
	v_lshrrev_b32_e32 v49, 24, v39
	s_mov_b32 s13, 0
	s_mov_b32 s30, exec_lo
                                        ; implicit-def: $sgpr17
	v_cmpx_lt_i16_e32 0x7f, v49
	s_xor_b32 s30, exec_lo, s30
	s_cbranch_execnz .LBB6_10637
; %bb.9864:                             ;   in Loop: Header=BB6_8078 Depth=3
	s_or_saveexec_b32 s30, s30
	v_mov_b32_e32 v48, s17
	s_xor_b32 exec_lo, exec_lo, s30
	s_cbranch_execnz .LBB6_10640
.LBB6_9865:                             ;   in Loop: Header=BB6_8078 Depth=3
	s_or_b32 exec_lo, exec_lo, s30
	s_and_saveexec_b32 s17, s13
	s_cbranch_execz .LBB6_9867
.LBB6_9866:                             ;   in Loop: Header=BB6_8078 Depth=3
	v_bfe_u32 v48, v39, 24, 2
	s_delay_alu instid0(VALU_DEP_1) | instskip(NEXT) | instid1(VALU_DEP_1)
	v_clz_i32_u32_e32 v50, v48
	v_min_u32_e32 v50, 32, v50
	s_delay_alu instid0(VALU_DEP_1) | instskip(SKIP_1) | instid1(VALU_DEP_2)
	v_subrev_nc_u32_e32 v51, 29, v50
	v_sub_nc_u32_e32 v50, 30, v50
	v_lshlrev_b32_e32 v49, v51, v49
	v_bfe_u32 v51, v39, 26, 5
	v_and_b32_e32 v39, 0x80000000, v39
	s_delay_alu instid0(VALU_DEP_2) | instskip(NEXT) | instid1(VALU_DEP_4)
	v_cmp_eq_u32_e32 vcc_lo, 0, v51
	v_dual_cndmask_b32 v50, v51, v50 :: v_dual_and_b32 v49, 3, v49
	s_delay_alu instid0(VALU_DEP_1) | instskip(NEXT) | instid1(VALU_DEP_2)
	v_cndmask_b32_e32 v48, v48, v49, vcc_lo
	v_lshl_add_u32 v49, v50, 23, 0x37800000
	s_delay_alu instid0(VALU_DEP_2) | instskip(NEXT) | instid1(VALU_DEP_1)
	v_lshlrev_b32_e32 v48, 21, v48
	v_or3_b32 v48, v39, v49, v48
.LBB6_9867:                             ;   in Loop: Header=BB6_8078 Depth=3
	s_or_b32 exec_lo, exec_lo, s17
	v_lshrrev_b32_e32 v39, 24, v11
	s_mov_b32 s13, 0
	s_mov_b32 s30, exec_lo
                                        ; implicit-def: $sgpr17
	s_delay_alu instid0(VALU_DEP_1)
	v_cmpx_lt_i16_e32 0x7f, v39
	s_xor_b32 s30, exec_lo, s30
	s_cbranch_execnz .LBB6_10641
; %bb.9868:                             ;   in Loop: Header=BB6_8078 Depth=3
	s_or_saveexec_b32 s30, s30
	v_mov_b32_e32 v49, s17
	s_xor_b32 exec_lo, exec_lo, s30
	s_cbranch_execnz .LBB6_10644
.LBB6_9869:                             ;   in Loop: Header=BB6_8078 Depth=3
	s_or_b32 exec_lo, exec_lo, s30
	s_and_saveexec_b32 s17, s13
	s_cbranch_execz .LBB6_9871
.LBB6_9870:                             ;   in Loop: Header=BB6_8078 Depth=3
	v_bfe_u32 v49, v11, 24, 2
	s_delay_alu instid0(VALU_DEP_1) | instskip(NEXT) | instid1(VALU_DEP_1)
	v_clz_i32_u32_e32 v50, v49
	v_min_u32_e32 v50, 32, v50
	s_delay_alu instid0(VALU_DEP_1) | instskip(SKIP_1) | instid1(VALU_DEP_2)
	v_subrev_nc_u32_e32 v51, 29, v50
	v_sub_nc_u32_e32 v50, 30, v50
	v_lshlrev_b32_e32 v39, v51, v39
	v_bfe_u32 v51, v11, 26, 5
	v_and_b32_e32 v11, 0x80000000, v11
	s_delay_alu instid0(VALU_DEP_2) | instskip(NEXT) | instid1(VALU_DEP_4)
	v_cmp_eq_u32_e32 vcc_lo, 0, v51
	v_dual_cndmask_b32 v50, v51, v50 :: v_dual_and_b32 v39, 3, v39
	s_delay_alu instid0(VALU_DEP_1) | instskip(NEXT) | instid1(VALU_DEP_2)
	v_cndmask_b32_e32 v39, v49, v39, vcc_lo
	v_lshl_add_u32 v49, v50, 23, 0x37800000
	s_delay_alu instid0(VALU_DEP_2) | instskip(NEXT) | instid1(VALU_DEP_1)
	v_lshlrev_b32_e32 v39, 21, v39
	v_or3_b32 v49, v11, v49, v39
.LBB6_9871:                             ;   in Loop: Header=BB6_8078 Depth=3
	s_or_b32 exec_lo, exec_lo, s17
	s_delay_alu instid0(VALU_DEP_1) | instskip(NEXT) | instid1(VALU_DEP_1)
	v_add_f32_e32 v39, v48, v49
	v_and_b32_e32 v11, 0x7f800000, v39
	s_delay_alu instid0(VALU_DEP_1)
	v_cmp_ne_u32_e32 vcc_lo, 0x7f800000, v11
	v_mov_b32_e32 v11, 0x8000
	s_and_saveexec_b32 s17, vcc_lo
	s_cbranch_execz .LBB6_8077
; %bb.9872:                             ;   in Loop: Header=BB6_8078 Depth=3
	v_mov_b32_e32 v11, 0
	s_mov_b32 s30, exec_lo
	v_cmpx_ne_u32_e32 0, v39
	s_cbranch_execz .LBB6_8076
; %bb.9873:                             ;   in Loop: Header=BB6_8078 Depth=3
	v_bfe_u32 v11, v39, 23, 8
	s_delay_alu instid0(VALU_DEP_1) | instskip(SKIP_1) | instid1(VALU_DEP_2)
	v_sub_nc_u32_e32 v49, 0x70, v11
	v_cmp_gt_u32_e32 vcc_lo, 0x71, v11
	v_dual_cndmask_b32 v49, 0, v49 :: v_dual_and_b32 v48, 0x7fffff, v39
	s_delay_alu instid0(VALU_DEP_1) | instskip(SKIP_2) | instid1(VALU_DEP_4)
	v_or_b32_e32 v50, 0x800000, v48
	v_cmp_eq_u32_e32 vcc_lo, 0, v11
	v_add_nc_u32_e32 v11, 0xffffff91, v11
	v_cndmask_b32_e64 v49, v49, 0x6f, vcc_lo
	s_delay_alu instid0(VALU_DEP_4) | instskip(NEXT) | instid1(VALU_DEP_3)
	v_cndmask_b32_e32 v48, v50, v48, vcc_lo
	v_cndmask_b32_e64 v11, v11, 0xffffff92, vcc_lo
	s_delay_alu instid0(VALU_DEP_3) | instskip(NEXT) | instid1(VALU_DEP_3)
	v_lshl_add_u32 v51, 0x200000, v49, -1
	v_lshrrev_b32_e32 v50, v49, v48
	v_lshlrev_b32_e64 v54, v49, 0x100000
	s_delay_alu instid0(VALU_DEP_4) | instskip(NEXT) | instid1(VALU_DEP_4)
	v_add_nc_u32_e32 v49, v49, v11
	v_and_b32_e32 v48, v51, v48
	s_delay_alu instid0(VALU_DEP_4) | instskip(NEXT) | instid1(VALU_DEP_2)
	v_bfe_u32 v53, v50, 21, 1
	v_cmp_eq_u32_e64 s13, v48, v54
	s_delay_alu instid0(VALU_DEP_2) | instskip(NEXT) | instid1(VALU_DEP_1)
	v_add_nc_u32_e32 v51, -1, v53
	v_cndmask_b32_e64 v48, 0, v51, s13
	v_lshrrev_b32_e32 v51, 23, v50
	s_mov_b32 s13, exec_lo
	s_delay_alu instid0(VALU_DEP_2) | instskip(NEXT) | instid1(VALU_DEP_2)
	v_add_nc_u32_e32 v48, v48, v50
	v_xor_b32_e32 v53, 1, v51
	s_delay_alu instid0(VALU_DEP_2) | instskip(NEXT) | instid1(VALU_DEP_1)
	v_and_b32_e32 v11, 0x1fffff, v48
	v_add_nc_u32_e32 v48, v11, v50
                                        ; implicit-def: $vgpr11
	s_delay_alu instid0(VALU_DEP_3)
	v_cmpx_ne_u32_e64 v49, v53
	s_xor_b32 s13, exec_lo, s13
; %bb.9874:                             ;   in Loop: Header=BB6_8078 Depth=3
	s_delay_alu instid0(VALU_DEP_2) | instskip(SKIP_2) | instid1(VALU_DEP_2)
	v_cmp_lt_u32_e32 vcc_lo, 0xffffff, v48
	v_sub_nc_u32_e32 v11, v49, v53
	v_cndmask_b32_e64 v49, 0, 1, vcc_lo
	v_add_co_ci_u32_e32 v11, vcc_lo, 0, v11, vcc_lo
	s_delay_alu instid0(VALU_DEP_2)
	v_lshrrev_b32_e32 v48, v49, v48
; %bb.9875:                             ;   in Loop: Header=BB6_8078 Depth=3
	s_and_not1_saveexec_b32 s13, s13
	s_cbranch_execz .LBB6_8075
; %bb.9876:                             ;   in Loop: Header=BB6_8078 Depth=3
	s_delay_alu instid0(VALU_DEP_1)
	v_bfe_u32 v11, v48, 23, 1
	s_branch .LBB6_8075
.LBB6_9877:                             ;   in Loop: Header=BB6_8078 Depth=3
	s_mov_b32 s13, -1
	s_mov_b32 s34, exec_lo
                                        ; implicit-def: $sgpr30
	v_cmpx_eq_u16_e32 0x80, v13
; %bb.9878:                             ;   in Loop: Header=BB6_8078 Depth=3
	s_mov_b32 s30, 0x7f800001
	s_xor_b32 s13, exec_lo, -1
; %bb.9879:                             ;   in Loop: Header=BB6_8078 Depth=3
	s_or_b32 exec_lo, exec_lo, s34
	s_delay_alu instid0(SALU_CYCLE_1)
	s_and_b32 s13, s13, exec_lo
                                        ; implicit-def: $vgpr13
	s_or_saveexec_b32 s31, s31
	v_mov_b32_e32 v12, s30
	s_xor_b32 exec_lo, exec_lo, s31
	s_cbranch_execz .LBB6_8089
.LBB6_9880:                             ;   in Loop: Header=BB6_8078 Depth=3
	v_cmp_ne_u16_e32 vcc_lo, 0, v13
	v_mov_b32_e32 v12, 0
	s_and_not1_b32 s13, s13, exec_lo
	s_and_b32 vcc_lo, vcc_lo, exec_lo
	s_delay_alu instid0(SALU_CYCLE_1)
	s_or_b32 s13, s13, vcc_lo
	s_or_b32 exec_lo, exec_lo, s31
	s_and_saveexec_b32 s30, s13
	s_cbranch_execnz .LBB6_8090
	s_branch .LBB6_8091
.LBB6_9881:                             ;   in Loop: Header=BB6_8078 Depth=3
	s_mov_b32 s13, -1
	s_mov_b32 s34, exec_lo
                                        ; implicit-def: $sgpr30
	v_cmpx_eq_u16_e32 0x80, v12
; %bb.9882:                             ;   in Loop: Header=BB6_8078 Depth=3
	s_mov_b32 s30, 0x7f800001
	s_xor_b32 s13, exec_lo, -1
; %bb.9883:                             ;   in Loop: Header=BB6_8078 Depth=3
	s_or_b32 exec_lo, exec_lo, s34
	s_delay_alu instid0(SALU_CYCLE_1)
	s_and_b32 s13, s13, exec_lo
	s_or_saveexec_b32 s31, s31
	v_mov_b32_e32 v13, s30
	s_xor_b32 exec_lo, exec_lo, s31
	s_cbranch_execz .LBB6_8101
.LBB6_9884:                             ;   in Loop: Header=BB6_8078 Depth=3
	v_cmp_ne_u16_e32 vcc_lo, 0, v12
	v_mov_b32_e32 v13, 0
	s_and_not1_b32 s13, s13, exec_lo
	s_and_b32 vcc_lo, vcc_lo, exec_lo
	s_delay_alu instid0(SALU_CYCLE_1)
	s_or_b32 s13, s13, vcc_lo
	s_or_b32 exec_lo, exec_lo, s31
	s_and_saveexec_b32 s30, s13
	s_cbranch_execnz .LBB6_8102
	s_branch .LBB6_8103
.LBB6_9885:                             ;   in Loop: Header=BB6_8078 Depth=3
	s_mov_b32 s13, -1
	s_mov_b32 s34, exec_lo
                                        ; implicit-def: $sgpr30
	v_cmpx_eq_u16_e32 0x80, v14
; %bb.9886:                             ;   in Loop: Header=BB6_8078 Depth=3
	s_mov_b32 s30, 0x7f800001
	s_xor_b32 s13, exec_lo, -1
; %bb.9887:                             ;   in Loop: Header=BB6_8078 Depth=3
	s_or_b32 exec_lo, exec_lo, s34
	s_delay_alu instid0(SALU_CYCLE_1)
	s_and_b32 s13, s13, exec_lo
                                        ; implicit-def: $vgpr14
	s_or_saveexec_b32 s31, s31
	v_mov_b32_e32 v13, s30
	s_xor_b32 exec_lo, exec_lo, s31
	s_cbranch_execz .LBB6_8113
.LBB6_9888:                             ;   in Loop: Header=BB6_8078 Depth=3
	v_cmp_ne_u16_e32 vcc_lo, 0, v14
	v_mov_b32_e32 v13, 0
	s_and_not1_b32 s13, s13, exec_lo
	s_and_b32 vcc_lo, vcc_lo, exec_lo
	s_delay_alu instid0(SALU_CYCLE_1)
	s_or_b32 s13, s13, vcc_lo
	s_or_b32 exec_lo, exec_lo, s31
	s_and_saveexec_b32 s30, s13
	s_cbranch_execnz .LBB6_8114
	s_branch .LBB6_8115
.LBB6_9889:                             ;   in Loop: Header=BB6_8078 Depth=3
	s_mov_b32 s13, -1
	s_mov_b32 s34, exec_lo
                                        ; implicit-def: $sgpr30
	v_cmpx_eq_u16_e32 0x80, v12
; %bb.9890:                             ;   in Loop: Header=BB6_8078 Depth=3
	s_mov_b32 s30, 0x7f800001
	s_xor_b32 s13, exec_lo, -1
; %bb.9891:                             ;   in Loop: Header=BB6_8078 Depth=3
	s_or_b32 exec_lo, exec_lo, s34
	s_delay_alu instid0(SALU_CYCLE_1)
	s_and_b32 s13, s13, exec_lo
	s_or_saveexec_b32 s31, s31
	v_mov_b32_e32 v13, s30
	s_xor_b32 exec_lo, exec_lo, s31
	s_cbranch_execz .LBB6_8125
.LBB6_9892:                             ;   in Loop: Header=BB6_8078 Depth=3
	v_cmp_ne_u16_e32 vcc_lo, 0, v12
	v_mov_b32_e32 v13, 0
	s_and_not1_b32 s13, s13, exec_lo
	s_and_b32 vcc_lo, vcc_lo, exec_lo
	s_delay_alu instid0(SALU_CYCLE_1)
	s_or_b32 s13, s13, vcc_lo
	s_or_b32 exec_lo, exec_lo, s31
	s_and_saveexec_b32 s30, s13
	s_cbranch_execnz .LBB6_8126
	s_branch .LBB6_8127
.LBB6_9893:                             ;   in Loop: Header=BB6_8078 Depth=3
	s_mov_b32 s13, -1
	s_mov_b32 s34, exec_lo
                                        ; implicit-def: $sgpr30
	v_cmpx_eq_u16_e32 0x80, v12
; %bb.9894:                             ;   in Loop: Header=BB6_8078 Depth=3
	s_mov_b32 s30, 0x7f800001
	s_xor_b32 s13, exec_lo, -1
; %bb.9895:                             ;   in Loop: Header=BB6_8078 Depth=3
	s_or_b32 exec_lo, exec_lo, s34
	s_delay_alu instid0(SALU_CYCLE_1)
	s_and_b32 s13, s13, exec_lo
                                        ; implicit-def: $vgpr12
	s_or_saveexec_b32 s31, s31
	v_mov_b32_e32 v8, s30
	s_xor_b32 exec_lo, exec_lo, s31
	s_cbranch_execz .LBB6_8137
.LBB6_9896:                             ;   in Loop: Header=BB6_8078 Depth=3
	v_cmp_ne_u16_e32 vcc_lo, 0, v12
	v_mov_b32_e32 v8, 0
	s_and_not1_b32 s13, s13, exec_lo
	s_and_b32 vcc_lo, vcc_lo, exec_lo
	s_delay_alu instid0(SALU_CYCLE_1)
	s_or_b32 s13, s13, vcc_lo
	s_or_b32 exec_lo, exec_lo, s31
	s_and_saveexec_b32 s30, s13
	s_cbranch_execnz .LBB6_8138
	s_branch .LBB6_8139
.LBB6_9897:                             ;   in Loop: Header=BB6_8078 Depth=3
	s_mov_b32 s13, -1
	s_mov_b32 s34, exec_lo
                                        ; implicit-def: $sgpr30
	v_cmpx_eq_u16_e32 0x80, v8
; %bb.9898:                             ;   in Loop: Header=BB6_8078 Depth=3
	s_mov_b32 s30, 0x7f800001
	s_xor_b32 s13, exec_lo, -1
; %bb.9899:                             ;   in Loop: Header=BB6_8078 Depth=3
	s_or_b32 exec_lo, exec_lo, s34
	s_delay_alu instid0(SALU_CYCLE_1)
	s_and_b32 s13, s13, exec_lo
	s_or_saveexec_b32 s31, s31
	v_mov_b32_e32 v12, s30
	s_xor_b32 exec_lo, exec_lo, s31
	s_cbranch_execz .LBB6_8149
.LBB6_9900:                             ;   in Loop: Header=BB6_8078 Depth=3
	v_cmp_ne_u16_e32 vcc_lo, 0, v8
	v_mov_b32_e32 v12, 0
	s_and_not1_b32 s13, s13, exec_lo
	s_and_b32 vcc_lo, vcc_lo, exec_lo
	s_delay_alu instid0(SALU_CYCLE_1)
	s_or_b32 s13, s13, vcc_lo
	s_or_b32 exec_lo, exec_lo, s31
	s_and_saveexec_b32 s30, s13
	s_cbranch_execnz .LBB6_8150
	s_branch .LBB6_8151
.LBB6_9901:                             ;   in Loop: Header=BB6_8078 Depth=3
	s_mov_b32 s13, -1
	s_mov_b32 s34, exec_lo
                                        ; implicit-def: $sgpr30
	v_cmpx_eq_u16_e32 0x80, v13
; %bb.9902:                             ;   in Loop: Header=BB6_8078 Depth=3
	s_mov_b32 s30, 0x7f800001
	s_xor_b32 s13, exec_lo, -1
; %bb.9903:                             ;   in Loop: Header=BB6_8078 Depth=3
	s_or_b32 exec_lo, exec_lo, s34
	s_delay_alu instid0(SALU_CYCLE_1)
	s_and_b32 s13, s13, exec_lo
                                        ; implicit-def: $vgpr13
	s_or_saveexec_b32 s31, s31
	v_mov_b32_e32 v12, s30
	s_xor_b32 exec_lo, exec_lo, s31
	s_cbranch_execz .LBB6_8161
.LBB6_9904:                             ;   in Loop: Header=BB6_8078 Depth=3
	v_cmp_ne_u16_e32 vcc_lo, 0, v13
	v_mov_b32_e32 v12, 0
	s_and_not1_b32 s13, s13, exec_lo
	s_and_b32 vcc_lo, vcc_lo, exec_lo
	s_delay_alu instid0(SALU_CYCLE_1)
	s_or_b32 s13, s13, vcc_lo
	s_or_b32 exec_lo, exec_lo, s31
	s_and_saveexec_b32 s30, s13
	s_cbranch_execnz .LBB6_8162
	s_branch .LBB6_8163
.LBB6_9905:                             ;   in Loop: Header=BB6_8078 Depth=3
	s_mov_b32 s13, -1
	s_mov_b32 s34, exec_lo
                                        ; implicit-def: $sgpr30
	v_cmpx_eq_u16_e32 0x80, v8
; %bb.9906:                             ;   in Loop: Header=BB6_8078 Depth=3
	s_mov_b32 s30, 0x7f800001
	s_xor_b32 s13, exec_lo, -1
; %bb.9907:                             ;   in Loop: Header=BB6_8078 Depth=3
	s_or_b32 exec_lo, exec_lo, s34
	s_delay_alu instid0(SALU_CYCLE_1)
	s_and_b32 s13, s13, exec_lo
	s_or_saveexec_b32 s31, s31
	v_mov_b32_e32 v12, s30
	s_xor_b32 exec_lo, exec_lo, s31
	s_cbranch_execz .LBB6_8173
.LBB6_9908:                             ;   in Loop: Header=BB6_8078 Depth=3
	v_cmp_ne_u16_e32 vcc_lo, 0, v8
	v_mov_b32_e32 v12, 0
	s_and_not1_b32 s13, s13, exec_lo
	s_and_b32 vcc_lo, vcc_lo, exec_lo
	s_delay_alu instid0(SALU_CYCLE_1)
	s_or_b32 s13, s13, vcc_lo
	s_or_b32 exec_lo, exec_lo, s31
	s_and_saveexec_b32 s30, s13
	s_cbranch_execnz .LBB6_8174
	s_branch .LBB6_8175
.LBB6_9909:                             ;   in Loop: Header=BB6_8078 Depth=3
	s_mov_b32 s13, -1
	s_mov_b32 s34, exec_lo
                                        ; implicit-def: $sgpr30
	v_cmpx_eq_u16_e32 0x80, v9
; %bb.9910:                             ;   in Loop: Header=BB6_8078 Depth=3
	s_mov_b32 s30, 0x7f800001
	s_xor_b32 s13, exec_lo, -1
; %bb.9911:                             ;   in Loop: Header=BB6_8078 Depth=3
	s_or_b32 exec_lo, exec_lo, s34
	s_delay_alu instid0(SALU_CYCLE_1)
	s_and_b32 s13, s13, exec_lo
                                        ; implicit-def: $vgpr9
	s_or_saveexec_b32 s31, s31
	v_mov_b32_e32 v8, s30
	s_xor_b32 exec_lo, exec_lo, s31
	s_cbranch_execz .LBB6_8185
.LBB6_9912:                             ;   in Loop: Header=BB6_8078 Depth=3
	v_cmp_ne_u16_e32 vcc_lo, 0, v9
	v_mov_b32_e32 v8, 0
	s_and_not1_b32 s13, s13, exec_lo
	s_and_b32 vcc_lo, vcc_lo, exec_lo
	s_delay_alu instid0(SALU_CYCLE_1)
	s_or_b32 s13, s13, vcc_lo
	s_or_b32 exec_lo, exec_lo, s31
	s_and_saveexec_b32 s30, s13
	s_cbranch_execnz .LBB6_8186
	s_branch .LBB6_8187
.LBB6_9913:                             ;   in Loop: Header=BB6_8078 Depth=3
	s_mov_b32 s13, -1
	s_mov_b32 s34, exec_lo
                                        ; implicit-def: $sgpr30
	v_cmpx_eq_u16_e32 0x80, v8
; %bb.9914:                             ;   in Loop: Header=BB6_8078 Depth=3
	s_mov_b32 s30, 0x7f800001
	s_xor_b32 s13, exec_lo, -1
; %bb.9915:                             ;   in Loop: Header=BB6_8078 Depth=3
	s_or_b32 exec_lo, exec_lo, s34
	s_delay_alu instid0(SALU_CYCLE_1)
	s_and_b32 s13, s13, exec_lo
	s_or_saveexec_b32 s31, s31
	v_mov_b32_e32 v9, s30
	s_xor_b32 exec_lo, exec_lo, s31
	s_cbranch_execz .LBB6_8197
.LBB6_9916:                             ;   in Loop: Header=BB6_8078 Depth=3
	v_cmp_ne_u16_e32 vcc_lo, 0, v8
	v_mov_b32_e32 v9, 0
	s_and_not1_b32 s13, s13, exec_lo
	s_and_b32 vcc_lo, vcc_lo, exec_lo
	s_delay_alu instid0(SALU_CYCLE_1)
	s_or_b32 s13, s13, vcc_lo
	s_or_b32 exec_lo, exec_lo, s31
	s_and_saveexec_b32 s30, s13
	s_cbranch_execnz .LBB6_8198
	s_branch .LBB6_8199
.LBB6_9917:                             ;   in Loop: Header=BB6_8078 Depth=3
	s_mov_b32 s13, -1
	s_mov_b32 s34, exec_lo
                                        ; implicit-def: $sgpr30
	v_cmpx_eq_u16_e32 0x80, v12
; %bb.9918:                             ;   in Loop: Header=BB6_8078 Depth=3
	s_mov_b32 s30, 0x7f800001
	s_xor_b32 s13, exec_lo, -1
; %bb.9919:                             ;   in Loop: Header=BB6_8078 Depth=3
	s_or_b32 exec_lo, exec_lo, s34
	s_delay_alu instid0(SALU_CYCLE_1)
	s_and_b32 s13, s13, exec_lo
                                        ; implicit-def: $vgpr12
	s_or_saveexec_b32 s31, s31
	v_mov_b32_e32 v9, s30
	s_xor_b32 exec_lo, exec_lo, s31
	s_cbranch_execz .LBB6_8209
.LBB6_9920:                             ;   in Loop: Header=BB6_8078 Depth=3
	v_cmp_ne_u16_e32 vcc_lo, 0, v12
	v_mov_b32_e32 v9, 0
	s_and_not1_b32 s13, s13, exec_lo
	s_and_b32 vcc_lo, vcc_lo, exec_lo
	s_delay_alu instid0(SALU_CYCLE_1)
	s_or_b32 s13, s13, vcc_lo
	s_or_b32 exec_lo, exec_lo, s31
	s_and_saveexec_b32 s30, s13
	s_cbranch_execnz .LBB6_8210
	s_branch .LBB6_8211
.LBB6_9921:                             ;   in Loop: Header=BB6_8078 Depth=3
	s_mov_b32 s13, -1
	s_mov_b32 s34, exec_lo
                                        ; implicit-def: $sgpr30
	v_cmpx_eq_u16_e32 0x80, v8
; %bb.9922:                             ;   in Loop: Header=BB6_8078 Depth=3
	s_mov_b32 s30, 0x7f800001
	s_xor_b32 s13, exec_lo, -1
; %bb.9923:                             ;   in Loop: Header=BB6_8078 Depth=3
	s_or_b32 exec_lo, exec_lo, s34
	s_delay_alu instid0(SALU_CYCLE_1)
	s_and_b32 s13, s13, exec_lo
	s_or_saveexec_b32 s31, s31
	v_mov_b32_e32 v9, s30
	s_xor_b32 exec_lo, exec_lo, s31
	s_cbranch_execz .LBB6_8221
.LBB6_9924:                             ;   in Loop: Header=BB6_8078 Depth=3
	v_cmp_ne_u16_e32 vcc_lo, 0, v8
	v_mov_b32_e32 v9, 0
	s_and_not1_b32 s13, s13, exec_lo
	s_and_b32 vcc_lo, vcc_lo, exec_lo
	s_delay_alu instid0(SALU_CYCLE_1)
	s_or_b32 s13, s13, vcc_lo
	s_or_b32 exec_lo, exec_lo, s31
	s_and_saveexec_b32 s30, s13
	s_cbranch_execnz .LBB6_8222
	s_branch .LBB6_8223
.LBB6_9925:                             ;   in Loop: Header=BB6_8078 Depth=3
	s_mov_b32 s13, -1
	s_mov_b32 s34, exec_lo
                                        ; implicit-def: $sgpr30
	v_cmpx_eq_u16_e32 0x80, v9
; %bb.9926:                             ;   in Loop: Header=BB6_8078 Depth=3
	s_mov_b32 s30, 0x7f800001
	s_xor_b32 s13, exec_lo, -1
; %bb.9927:                             ;   in Loop: Header=BB6_8078 Depth=3
	s_or_b32 exec_lo, exec_lo, s34
	s_delay_alu instid0(SALU_CYCLE_1)
	s_and_b32 s13, s13, exec_lo
                                        ; implicit-def: $vgpr9
	s_or_saveexec_b32 s31, s31
	v_mov_b32_e32 v8, s30
	s_xor_b32 exec_lo, exec_lo, s31
	s_cbranch_execz .LBB6_8233
.LBB6_9928:                             ;   in Loop: Header=BB6_8078 Depth=3
	v_cmp_ne_u16_e32 vcc_lo, 0, v9
	v_mov_b32_e32 v8, 0
	s_and_not1_b32 s13, s13, exec_lo
	s_and_b32 vcc_lo, vcc_lo, exec_lo
	s_delay_alu instid0(SALU_CYCLE_1)
	s_or_b32 s13, s13, vcc_lo
	s_or_b32 exec_lo, exec_lo, s31
	s_and_saveexec_b32 s30, s13
	s_cbranch_execnz .LBB6_8234
	s_branch .LBB6_8235
.LBB6_9929:                             ;   in Loop: Header=BB6_8078 Depth=3
	s_mov_b32 s13, -1
	s_mov_b32 s34, exec_lo
                                        ; implicit-def: $sgpr30
	v_cmpx_eq_u16_e32 0x80, v8
; %bb.9930:                             ;   in Loop: Header=BB6_8078 Depth=3
	s_mov_b32 s30, 0x7f800001
	s_xor_b32 s13, exec_lo, -1
; %bb.9931:                             ;   in Loop: Header=BB6_8078 Depth=3
	s_or_b32 exec_lo, exec_lo, s34
	s_delay_alu instid0(SALU_CYCLE_1)
	s_and_b32 s13, s13, exec_lo
	s_or_saveexec_b32 s31, s31
	v_mov_b32_e32 v9, s30
	s_xor_b32 exec_lo, exec_lo, s31
	s_cbranch_execz .LBB6_8245
.LBB6_9932:                             ;   in Loop: Header=BB6_8078 Depth=3
	v_cmp_ne_u16_e32 vcc_lo, 0, v8
	v_mov_b32_e32 v9, 0
	s_and_not1_b32 s13, s13, exec_lo
	s_and_b32 vcc_lo, vcc_lo, exec_lo
	s_delay_alu instid0(SALU_CYCLE_1)
	s_or_b32 s13, s13, vcc_lo
	s_or_b32 exec_lo, exec_lo, s31
	s_and_saveexec_b32 s30, s13
	s_cbranch_execnz .LBB6_8246
	s_branch .LBB6_8247
.LBB6_9933:                             ;   in Loop: Header=BB6_8078 Depth=3
	s_mov_b32 s13, -1
	s_mov_b32 s34, exec_lo
                                        ; implicit-def: $sgpr30
	v_cmpx_eq_u16_e32 0x80, v10
; %bb.9934:                             ;   in Loop: Header=BB6_8078 Depth=3
	s_mov_b32 s30, 0x7f800001
	s_xor_b32 s13, exec_lo, -1
; %bb.9935:                             ;   in Loop: Header=BB6_8078 Depth=3
	s_or_b32 exec_lo, exec_lo, s34
	s_delay_alu instid0(SALU_CYCLE_1)
	s_and_b32 s13, s13, exec_lo
                                        ; implicit-def: $vgpr10
	s_or_saveexec_b32 s31, s31
	v_mov_b32_e32 v9, s30
	s_xor_b32 exec_lo, exec_lo, s31
	s_cbranch_execz .LBB6_8257
.LBB6_9936:                             ;   in Loop: Header=BB6_8078 Depth=3
	v_cmp_ne_u16_e32 vcc_lo, 0, v10
	v_mov_b32_e32 v9, 0
	s_and_not1_b32 s13, s13, exec_lo
	s_and_b32 vcc_lo, vcc_lo, exec_lo
	s_delay_alu instid0(SALU_CYCLE_1)
	s_or_b32 s13, s13, vcc_lo
	s_or_b32 exec_lo, exec_lo, s31
	s_and_saveexec_b32 s30, s13
	s_cbranch_execnz .LBB6_8258
	s_branch .LBB6_8259
.LBB6_9937:                             ;   in Loop: Header=BB6_8078 Depth=3
	s_mov_b32 s13, -1
	s_mov_b32 s34, exec_lo
                                        ; implicit-def: $sgpr30
	v_cmpx_eq_u16_e32 0x80, v8
; %bb.9938:                             ;   in Loop: Header=BB6_8078 Depth=3
	s_mov_b32 s30, 0x7f800001
	s_xor_b32 s13, exec_lo, -1
; %bb.9939:                             ;   in Loop: Header=BB6_8078 Depth=3
	s_or_b32 exec_lo, exec_lo, s34
	s_delay_alu instid0(SALU_CYCLE_1)
	s_and_b32 s13, s13, exec_lo
	s_or_saveexec_b32 s31, s31
	v_mov_b32_e32 v9, s30
	s_xor_b32 exec_lo, exec_lo, s31
	s_cbranch_execz .LBB6_8269
.LBB6_9940:                             ;   in Loop: Header=BB6_8078 Depth=3
	v_cmp_ne_u16_e32 vcc_lo, 0, v8
	v_mov_b32_e32 v9, 0
	s_and_not1_b32 s13, s13, exec_lo
	s_and_b32 vcc_lo, vcc_lo, exec_lo
	s_delay_alu instid0(SALU_CYCLE_1)
	s_or_b32 s13, s13, vcc_lo
	s_or_b32 exec_lo, exec_lo, s31
	s_and_saveexec_b32 s30, s13
	s_cbranch_execnz .LBB6_8270
	s_branch .LBB6_8271
.LBB6_9941:                             ;   in Loop: Header=BB6_8078 Depth=3
	s_mov_b32 s13, -1
	s_mov_b32 s34, exec_lo
                                        ; implicit-def: $sgpr30
	v_cmpx_eq_u16_e32 0x80, v13
; %bb.9942:                             ;   in Loop: Header=BB6_8078 Depth=3
	s_mov_b32 s30, 0x7f800001
	s_xor_b32 s13, exec_lo, -1
; %bb.9943:                             ;   in Loop: Header=BB6_8078 Depth=3
	s_or_b32 exec_lo, exec_lo, s34
	s_delay_alu instid0(SALU_CYCLE_1)
	s_and_b32 s13, s13, exec_lo
                                        ; implicit-def: $vgpr13
	s_or_saveexec_b32 s31, s31
	v_mov_b32_e32 v12, s30
	s_xor_b32 exec_lo, exec_lo, s31
	s_cbranch_execz .LBB6_8281
.LBB6_9944:                             ;   in Loop: Header=BB6_8078 Depth=3
	v_cmp_ne_u16_e32 vcc_lo, 0, v13
	v_mov_b32_e32 v12, 0
	s_and_not1_b32 s13, s13, exec_lo
	s_and_b32 vcc_lo, vcc_lo, exec_lo
	s_delay_alu instid0(SALU_CYCLE_1)
	s_or_b32 s13, s13, vcc_lo
	s_or_b32 exec_lo, exec_lo, s31
	s_and_saveexec_b32 s30, s13
	s_cbranch_execnz .LBB6_8282
	s_branch .LBB6_8283
.LBB6_9945:                             ;   in Loop: Header=BB6_8078 Depth=3
	s_mov_b32 s13, -1
	s_mov_b32 s34, exec_lo
                                        ; implicit-def: $sgpr30
	v_cmpx_eq_u16_e32 0x80, v12
; %bb.9946:                             ;   in Loop: Header=BB6_8078 Depth=3
	s_mov_b32 s30, 0x7f800001
	s_xor_b32 s13, exec_lo, -1
; %bb.9947:                             ;   in Loop: Header=BB6_8078 Depth=3
	s_or_b32 exec_lo, exec_lo, s34
	s_delay_alu instid0(SALU_CYCLE_1)
	s_and_b32 s13, s13, exec_lo
	s_or_saveexec_b32 s31, s31
	v_mov_b32_e32 v13, s30
	s_xor_b32 exec_lo, exec_lo, s31
	s_cbranch_execz .LBB6_8293
.LBB6_9948:                             ;   in Loop: Header=BB6_8078 Depth=3
	v_cmp_ne_u16_e32 vcc_lo, 0, v12
	v_mov_b32_e32 v13, 0
	s_and_not1_b32 s13, s13, exec_lo
	s_and_b32 vcc_lo, vcc_lo, exec_lo
	s_delay_alu instid0(SALU_CYCLE_1)
	s_or_b32 s13, s13, vcc_lo
	s_or_b32 exec_lo, exec_lo, s31
	s_and_saveexec_b32 s30, s13
	s_cbranch_execnz .LBB6_8294
	s_branch .LBB6_8295
.LBB6_9949:                             ;   in Loop: Header=BB6_8078 Depth=3
	s_mov_b32 s13, -1
	s_mov_b32 s34, exec_lo
                                        ; implicit-def: $sgpr30
	v_cmpx_eq_u16_e32 0x80, v14
; %bb.9950:                             ;   in Loop: Header=BB6_8078 Depth=3
	s_mov_b32 s30, 0x7f800001
	s_xor_b32 s13, exec_lo, -1
; %bb.9951:                             ;   in Loop: Header=BB6_8078 Depth=3
	s_or_b32 exec_lo, exec_lo, s34
	s_delay_alu instid0(SALU_CYCLE_1)
	s_and_b32 s13, s13, exec_lo
                                        ; implicit-def: $vgpr14
	s_or_saveexec_b32 s31, s31
	v_mov_b32_e32 v13, s30
	s_xor_b32 exec_lo, exec_lo, s31
	s_cbranch_execz .LBB6_8305
.LBB6_9952:                             ;   in Loop: Header=BB6_8078 Depth=3
	v_cmp_ne_u16_e32 vcc_lo, 0, v14
	v_mov_b32_e32 v13, 0
	s_and_not1_b32 s13, s13, exec_lo
	s_and_b32 vcc_lo, vcc_lo, exec_lo
	s_delay_alu instid0(SALU_CYCLE_1)
	s_or_b32 s13, s13, vcc_lo
	s_or_b32 exec_lo, exec_lo, s31
	s_and_saveexec_b32 s30, s13
	s_cbranch_execnz .LBB6_8306
	s_branch .LBB6_8307
.LBB6_9953:                             ;   in Loop: Header=BB6_8078 Depth=3
	s_mov_b32 s13, -1
	s_mov_b32 s34, exec_lo
                                        ; implicit-def: $sgpr30
	v_cmpx_eq_u16_e32 0x80, v12
; %bb.9954:                             ;   in Loop: Header=BB6_8078 Depth=3
	s_mov_b32 s30, 0x7f800001
	s_xor_b32 s13, exec_lo, -1
; %bb.9955:                             ;   in Loop: Header=BB6_8078 Depth=3
	s_or_b32 exec_lo, exec_lo, s34
	s_delay_alu instid0(SALU_CYCLE_1)
	s_and_b32 s13, s13, exec_lo
	s_or_saveexec_b32 s31, s31
	v_mov_b32_e32 v13, s30
	s_xor_b32 exec_lo, exec_lo, s31
	s_cbranch_execz .LBB6_8317
.LBB6_9956:                             ;   in Loop: Header=BB6_8078 Depth=3
	v_cmp_ne_u16_e32 vcc_lo, 0, v12
	v_mov_b32_e32 v13, 0
	s_and_not1_b32 s13, s13, exec_lo
	s_and_b32 vcc_lo, vcc_lo, exec_lo
	s_delay_alu instid0(SALU_CYCLE_1)
	s_or_b32 s13, s13, vcc_lo
	s_or_b32 exec_lo, exec_lo, s31
	s_and_saveexec_b32 s30, s13
	s_cbranch_execnz .LBB6_8318
	s_branch .LBB6_8319
.LBB6_9957:                             ;   in Loop: Header=BB6_8078 Depth=3
	s_mov_b32 s13, -1
	s_mov_b32 s34, exec_lo
                                        ; implicit-def: $sgpr30
	v_cmpx_eq_u16_e32 0x80, v12
; %bb.9958:                             ;   in Loop: Header=BB6_8078 Depth=3
	s_mov_b32 s30, 0x7f800001
	s_xor_b32 s13, exec_lo, -1
; %bb.9959:                             ;   in Loop: Header=BB6_8078 Depth=3
	s_or_b32 exec_lo, exec_lo, s34
	s_delay_alu instid0(SALU_CYCLE_1)
	s_and_b32 s13, s13, exec_lo
                                        ; implicit-def: $vgpr12
	s_or_saveexec_b32 s31, s31
	v_mov_b32_e32 v8, s30
	s_xor_b32 exec_lo, exec_lo, s31
	s_cbranch_execz .LBB6_8329
.LBB6_9960:                             ;   in Loop: Header=BB6_8078 Depth=3
	v_cmp_ne_u16_e32 vcc_lo, 0, v12
	v_mov_b32_e32 v8, 0
	s_and_not1_b32 s13, s13, exec_lo
	s_and_b32 vcc_lo, vcc_lo, exec_lo
	s_delay_alu instid0(SALU_CYCLE_1)
	s_or_b32 s13, s13, vcc_lo
	s_or_b32 exec_lo, exec_lo, s31
	s_and_saveexec_b32 s30, s13
	s_cbranch_execnz .LBB6_8330
	s_branch .LBB6_8331
.LBB6_9961:                             ;   in Loop: Header=BB6_8078 Depth=3
	s_mov_b32 s13, -1
	s_mov_b32 s34, exec_lo
                                        ; implicit-def: $sgpr30
	v_cmpx_eq_u16_e32 0x80, v8
; %bb.9962:                             ;   in Loop: Header=BB6_8078 Depth=3
	s_mov_b32 s30, 0x7f800001
	s_xor_b32 s13, exec_lo, -1
; %bb.9963:                             ;   in Loop: Header=BB6_8078 Depth=3
	s_or_b32 exec_lo, exec_lo, s34
	s_delay_alu instid0(SALU_CYCLE_1)
	s_and_b32 s13, s13, exec_lo
	s_or_saveexec_b32 s31, s31
	v_mov_b32_e32 v12, s30
	s_xor_b32 exec_lo, exec_lo, s31
	s_cbranch_execz .LBB6_8341
.LBB6_9964:                             ;   in Loop: Header=BB6_8078 Depth=3
	v_cmp_ne_u16_e32 vcc_lo, 0, v8
	v_mov_b32_e32 v12, 0
	s_and_not1_b32 s13, s13, exec_lo
	s_and_b32 vcc_lo, vcc_lo, exec_lo
	s_delay_alu instid0(SALU_CYCLE_1)
	s_or_b32 s13, s13, vcc_lo
	s_or_b32 exec_lo, exec_lo, s31
	s_and_saveexec_b32 s30, s13
	s_cbranch_execnz .LBB6_8342
	s_branch .LBB6_8343
.LBB6_9965:                             ;   in Loop: Header=BB6_8078 Depth=3
	s_mov_b32 s13, -1
	s_mov_b32 s34, exec_lo
                                        ; implicit-def: $sgpr30
	v_cmpx_eq_u16_e32 0x80, v13
; %bb.9966:                             ;   in Loop: Header=BB6_8078 Depth=3
	s_mov_b32 s30, 0x7f800001
	s_xor_b32 s13, exec_lo, -1
; %bb.9967:                             ;   in Loop: Header=BB6_8078 Depth=3
	s_or_b32 exec_lo, exec_lo, s34
	s_delay_alu instid0(SALU_CYCLE_1)
	s_and_b32 s13, s13, exec_lo
                                        ; implicit-def: $vgpr13
	s_or_saveexec_b32 s31, s31
	v_mov_b32_e32 v12, s30
	s_xor_b32 exec_lo, exec_lo, s31
	s_cbranch_execz .LBB6_8353
.LBB6_9968:                             ;   in Loop: Header=BB6_8078 Depth=3
	v_cmp_ne_u16_e32 vcc_lo, 0, v13
	v_mov_b32_e32 v12, 0
	s_and_not1_b32 s13, s13, exec_lo
	s_and_b32 vcc_lo, vcc_lo, exec_lo
	s_delay_alu instid0(SALU_CYCLE_1)
	s_or_b32 s13, s13, vcc_lo
	s_or_b32 exec_lo, exec_lo, s31
	s_and_saveexec_b32 s30, s13
	s_cbranch_execnz .LBB6_8354
	s_branch .LBB6_8355
.LBB6_9969:                             ;   in Loop: Header=BB6_8078 Depth=3
	s_mov_b32 s13, -1
	s_mov_b32 s34, exec_lo
                                        ; implicit-def: $sgpr30
	v_cmpx_eq_u16_e32 0x80, v8
; %bb.9970:                             ;   in Loop: Header=BB6_8078 Depth=3
	s_mov_b32 s30, 0x7f800001
	s_xor_b32 s13, exec_lo, -1
; %bb.9971:                             ;   in Loop: Header=BB6_8078 Depth=3
	s_or_b32 exec_lo, exec_lo, s34
	s_delay_alu instid0(SALU_CYCLE_1)
	s_and_b32 s13, s13, exec_lo
	s_or_saveexec_b32 s31, s31
	v_mov_b32_e32 v12, s30
	s_xor_b32 exec_lo, exec_lo, s31
	s_cbranch_execz .LBB6_8365
.LBB6_9972:                             ;   in Loop: Header=BB6_8078 Depth=3
	v_cmp_ne_u16_e32 vcc_lo, 0, v8
	v_mov_b32_e32 v12, 0
	s_and_not1_b32 s13, s13, exec_lo
	s_and_b32 vcc_lo, vcc_lo, exec_lo
	s_delay_alu instid0(SALU_CYCLE_1)
	s_or_b32 s13, s13, vcc_lo
	s_or_b32 exec_lo, exec_lo, s31
	s_and_saveexec_b32 s30, s13
	s_cbranch_execnz .LBB6_8366
	s_branch .LBB6_8367
.LBB6_9973:                             ;   in Loop: Header=BB6_8078 Depth=3
	s_mov_b32 s13, -1
	s_mov_b32 s34, exec_lo
                                        ; implicit-def: $sgpr30
	v_cmpx_eq_u16_e32 0x80, v9
; %bb.9974:                             ;   in Loop: Header=BB6_8078 Depth=3
	s_mov_b32 s30, 0x7f800001
	s_xor_b32 s13, exec_lo, -1
; %bb.9975:                             ;   in Loop: Header=BB6_8078 Depth=3
	s_or_b32 exec_lo, exec_lo, s34
	s_delay_alu instid0(SALU_CYCLE_1)
	s_and_b32 s13, s13, exec_lo
                                        ; implicit-def: $vgpr9
	s_or_saveexec_b32 s31, s31
	v_mov_b32_e32 v8, s30
	s_xor_b32 exec_lo, exec_lo, s31
	s_cbranch_execz .LBB6_8377
.LBB6_9976:                             ;   in Loop: Header=BB6_8078 Depth=3
	v_cmp_ne_u16_e32 vcc_lo, 0, v9
	v_mov_b32_e32 v8, 0
	s_and_not1_b32 s13, s13, exec_lo
	s_and_b32 vcc_lo, vcc_lo, exec_lo
	s_delay_alu instid0(SALU_CYCLE_1)
	s_or_b32 s13, s13, vcc_lo
	s_or_b32 exec_lo, exec_lo, s31
	s_and_saveexec_b32 s30, s13
	s_cbranch_execnz .LBB6_8378
	s_branch .LBB6_8379
.LBB6_9977:                             ;   in Loop: Header=BB6_8078 Depth=3
	s_mov_b32 s13, -1
	s_mov_b32 s34, exec_lo
                                        ; implicit-def: $sgpr30
	v_cmpx_eq_u16_e32 0x80, v8
; %bb.9978:                             ;   in Loop: Header=BB6_8078 Depth=3
	s_mov_b32 s30, 0x7f800001
	s_xor_b32 s13, exec_lo, -1
; %bb.9979:                             ;   in Loop: Header=BB6_8078 Depth=3
	s_or_b32 exec_lo, exec_lo, s34
	s_delay_alu instid0(SALU_CYCLE_1)
	s_and_b32 s13, s13, exec_lo
	s_or_saveexec_b32 s31, s31
	v_mov_b32_e32 v9, s30
	s_xor_b32 exec_lo, exec_lo, s31
	s_cbranch_execz .LBB6_8389
.LBB6_9980:                             ;   in Loop: Header=BB6_8078 Depth=3
	v_cmp_ne_u16_e32 vcc_lo, 0, v8
	v_mov_b32_e32 v9, 0
	s_and_not1_b32 s13, s13, exec_lo
	s_and_b32 vcc_lo, vcc_lo, exec_lo
	s_delay_alu instid0(SALU_CYCLE_1)
	s_or_b32 s13, s13, vcc_lo
	s_or_b32 exec_lo, exec_lo, s31
	s_and_saveexec_b32 s30, s13
	s_cbranch_execnz .LBB6_8390
	s_branch .LBB6_8391
.LBB6_9981:                             ;   in Loop: Header=BB6_8078 Depth=3
	s_mov_b32 s13, -1
	s_mov_b32 s34, exec_lo
                                        ; implicit-def: $sgpr30
	v_cmpx_eq_u16_e32 0x80, v12
; %bb.9982:                             ;   in Loop: Header=BB6_8078 Depth=3
	s_mov_b32 s30, 0x7f800001
	s_xor_b32 s13, exec_lo, -1
; %bb.9983:                             ;   in Loop: Header=BB6_8078 Depth=3
	s_or_b32 exec_lo, exec_lo, s34
	s_delay_alu instid0(SALU_CYCLE_1)
	s_and_b32 s13, s13, exec_lo
                                        ; implicit-def: $vgpr12
	s_or_saveexec_b32 s31, s31
	v_mov_b32_e32 v9, s30
	s_xor_b32 exec_lo, exec_lo, s31
	s_cbranch_execz .LBB6_8401
.LBB6_9984:                             ;   in Loop: Header=BB6_8078 Depth=3
	v_cmp_ne_u16_e32 vcc_lo, 0, v12
	v_mov_b32_e32 v9, 0
	s_and_not1_b32 s13, s13, exec_lo
	s_and_b32 vcc_lo, vcc_lo, exec_lo
	s_delay_alu instid0(SALU_CYCLE_1)
	s_or_b32 s13, s13, vcc_lo
	s_or_b32 exec_lo, exec_lo, s31
	s_and_saveexec_b32 s30, s13
	s_cbranch_execnz .LBB6_8402
	s_branch .LBB6_8403
.LBB6_9985:                             ;   in Loop: Header=BB6_8078 Depth=3
	s_mov_b32 s13, -1
	s_mov_b32 s34, exec_lo
                                        ; implicit-def: $sgpr30
	v_cmpx_eq_u16_e32 0x80, v8
; %bb.9986:                             ;   in Loop: Header=BB6_8078 Depth=3
	s_mov_b32 s30, 0x7f800001
	s_xor_b32 s13, exec_lo, -1
; %bb.9987:                             ;   in Loop: Header=BB6_8078 Depth=3
	s_or_b32 exec_lo, exec_lo, s34
	s_delay_alu instid0(SALU_CYCLE_1)
	s_and_b32 s13, s13, exec_lo
	s_or_saveexec_b32 s31, s31
	v_mov_b32_e32 v9, s30
	s_xor_b32 exec_lo, exec_lo, s31
	s_cbranch_execz .LBB6_8413
.LBB6_9988:                             ;   in Loop: Header=BB6_8078 Depth=3
	v_cmp_ne_u16_e32 vcc_lo, 0, v8
	v_mov_b32_e32 v9, 0
	s_and_not1_b32 s13, s13, exec_lo
	s_and_b32 vcc_lo, vcc_lo, exec_lo
	s_delay_alu instid0(SALU_CYCLE_1)
	s_or_b32 s13, s13, vcc_lo
	s_or_b32 exec_lo, exec_lo, s31
	s_and_saveexec_b32 s30, s13
	s_cbranch_execnz .LBB6_8414
	s_branch .LBB6_8415
.LBB6_9989:                             ;   in Loop: Header=BB6_8078 Depth=3
	s_mov_b32 s13, -1
	s_mov_b32 s34, exec_lo
                                        ; implicit-def: $sgpr30
	v_cmpx_eq_u16_e32 0x80, v9
; %bb.9990:                             ;   in Loop: Header=BB6_8078 Depth=3
	s_mov_b32 s30, 0x7f800001
	s_xor_b32 s13, exec_lo, -1
; %bb.9991:                             ;   in Loop: Header=BB6_8078 Depth=3
	s_or_b32 exec_lo, exec_lo, s34
	s_delay_alu instid0(SALU_CYCLE_1)
	s_and_b32 s13, s13, exec_lo
                                        ; implicit-def: $vgpr9
	s_or_saveexec_b32 s31, s31
	v_mov_b32_e32 v8, s30
	s_xor_b32 exec_lo, exec_lo, s31
	s_cbranch_execz .LBB6_8425
.LBB6_9992:                             ;   in Loop: Header=BB6_8078 Depth=3
	v_cmp_ne_u16_e32 vcc_lo, 0, v9
	v_mov_b32_e32 v8, 0
	s_and_not1_b32 s13, s13, exec_lo
	s_and_b32 vcc_lo, vcc_lo, exec_lo
	s_delay_alu instid0(SALU_CYCLE_1)
	s_or_b32 s13, s13, vcc_lo
	s_or_b32 exec_lo, exec_lo, s31
	s_and_saveexec_b32 s30, s13
	s_cbranch_execnz .LBB6_8426
	s_branch .LBB6_8427
.LBB6_9993:                             ;   in Loop: Header=BB6_8078 Depth=3
	s_mov_b32 s13, -1
	s_mov_b32 s34, exec_lo
                                        ; implicit-def: $sgpr30
	v_cmpx_eq_u16_e32 0x80, v8
; %bb.9994:                             ;   in Loop: Header=BB6_8078 Depth=3
	s_mov_b32 s30, 0x7f800001
	s_xor_b32 s13, exec_lo, -1
; %bb.9995:                             ;   in Loop: Header=BB6_8078 Depth=3
	s_or_b32 exec_lo, exec_lo, s34
	s_delay_alu instid0(SALU_CYCLE_1)
	s_and_b32 s13, s13, exec_lo
	s_or_saveexec_b32 s31, s31
	v_mov_b32_e32 v9, s30
	s_xor_b32 exec_lo, exec_lo, s31
	s_cbranch_execz .LBB6_8437
.LBB6_9996:                             ;   in Loop: Header=BB6_8078 Depth=3
	v_cmp_ne_u16_e32 vcc_lo, 0, v8
	v_mov_b32_e32 v9, 0
	s_and_not1_b32 s13, s13, exec_lo
	s_and_b32 vcc_lo, vcc_lo, exec_lo
	s_delay_alu instid0(SALU_CYCLE_1)
	s_or_b32 s13, s13, vcc_lo
	s_or_b32 exec_lo, exec_lo, s31
	s_and_saveexec_b32 s30, s13
	s_cbranch_execnz .LBB6_8438
	s_branch .LBB6_8439
.LBB6_9997:                             ;   in Loop: Header=BB6_8078 Depth=3
	s_mov_b32 s13, -1
	s_mov_b32 s34, exec_lo
                                        ; implicit-def: $sgpr30
	v_cmpx_eq_u16_e32 0x80, v10
; %bb.9998:                             ;   in Loop: Header=BB6_8078 Depth=3
	s_mov_b32 s30, 0x7f800001
	s_xor_b32 s13, exec_lo, -1
; %bb.9999:                             ;   in Loop: Header=BB6_8078 Depth=3
	s_or_b32 exec_lo, exec_lo, s34
	s_delay_alu instid0(SALU_CYCLE_1)
	s_and_b32 s13, s13, exec_lo
                                        ; implicit-def: $vgpr10
	s_or_saveexec_b32 s31, s31
	v_mov_b32_e32 v9, s30
	s_xor_b32 exec_lo, exec_lo, s31
	s_cbranch_execz .LBB6_8449
.LBB6_10000:                            ;   in Loop: Header=BB6_8078 Depth=3
	v_cmp_ne_u16_e32 vcc_lo, 0, v10
	v_mov_b32_e32 v9, 0
	s_and_not1_b32 s13, s13, exec_lo
	s_and_b32 vcc_lo, vcc_lo, exec_lo
	s_delay_alu instid0(SALU_CYCLE_1)
	s_or_b32 s13, s13, vcc_lo
	s_or_b32 exec_lo, exec_lo, s31
	s_and_saveexec_b32 s30, s13
	s_cbranch_execnz .LBB6_8450
	s_branch .LBB6_8451
.LBB6_10001:                            ;   in Loop: Header=BB6_8078 Depth=3
	s_mov_b32 s13, -1
	s_mov_b32 s34, exec_lo
                                        ; implicit-def: $sgpr30
	v_cmpx_eq_u16_e32 0x80, v8
; %bb.10002:                            ;   in Loop: Header=BB6_8078 Depth=3
	s_mov_b32 s30, 0x7f800001
	s_xor_b32 s13, exec_lo, -1
; %bb.10003:                            ;   in Loop: Header=BB6_8078 Depth=3
	s_or_b32 exec_lo, exec_lo, s34
	s_delay_alu instid0(SALU_CYCLE_1)
	s_and_b32 s13, s13, exec_lo
	s_or_saveexec_b32 s31, s31
	v_mov_b32_e32 v9, s30
	s_xor_b32 exec_lo, exec_lo, s31
	s_cbranch_execz .LBB6_8461
.LBB6_10004:                            ;   in Loop: Header=BB6_8078 Depth=3
	v_cmp_ne_u16_e32 vcc_lo, 0, v8
	v_mov_b32_e32 v9, 0
	s_and_not1_b32 s13, s13, exec_lo
	s_and_b32 vcc_lo, vcc_lo, exec_lo
	s_delay_alu instid0(SALU_CYCLE_1)
	s_or_b32 s13, s13, vcc_lo
	s_or_b32 exec_lo, exec_lo, s31
	s_and_saveexec_b32 s30, s13
	s_cbranch_execnz .LBB6_8462
	s_branch .LBB6_8463
.LBB6_10005:                            ;   in Loop: Header=BB6_8078 Depth=3
	s_mov_b32 s13, -1
	s_mov_b32 s34, exec_lo
                                        ; implicit-def: $sgpr30
	v_cmpx_eq_u16_e32 0x80, v13
; %bb.10006:                            ;   in Loop: Header=BB6_8078 Depth=3
	s_mov_b32 s30, 0x7f800001
	s_xor_b32 s13, exec_lo, -1
; %bb.10007:                            ;   in Loop: Header=BB6_8078 Depth=3
	s_or_b32 exec_lo, exec_lo, s34
	s_delay_alu instid0(SALU_CYCLE_1)
	s_and_b32 s13, s13, exec_lo
                                        ; implicit-def: $vgpr13
	s_or_saveexec_b32 s31, s31
	v_mov_b32_e32 v12, s30
	s_xor_b32 exec_lo, exec_lo, s31
	s_cbranch_execz .LBB6_8473
.LBB6_10008:                            ;   in Loop: Header=BB6_8078 Depth=3
	v_cmp_ne_u16_e32 vcc_lo, 0, v13
	v_mov_b32_e32 v12, 0
	s_and_not1_b32 s13, s13, exec_lo
	s_and_b32 vcc_lo, vcc_lo, exec_lo
	s_delay_alu instid0(SALU_CYCLE_1)
	s_or_b32 s13, s13, vcc_lo
	s_or_b32 exec_lo, exec_lo, s31
	s_and_saveexec_b32 s30, s13
	s_cbranch_execnz .LBB6_8474
	s_branch .LBB6_8475
.LBB6_10009:                            ;   in Loop: Header=BB6_8078 Depth=3
	s_mov_b32 s13, -1
	s_mov_b32 s34, exec_lo
                                        ; implicit-def: $sgpr30
	v_cmpx_eq_u16_e32 0x80, v12
; %bb.10010:                            ;   in Loop: Header=BB6_8078 Depth=3
	s_mov_b32 s30, 0x7f800001
	s_xor_b32 s13, exec_lo, -1
; %bb.10011:                            ;   in Loop: Header=BB6_8078 Depth=3
	s_or_b32 exec_lo, exec_lo, s34
	s_delay_alu instid0(SALU_CYCLE_1)
	s_and_b32 s13, s13, exec_lo
	s_or_saveexec_b32 s31, s31
	v_mov_b32_e32 v13, s30
	s_xor_b32 exec_lo, exec_lo, s31
	s_cbranch_execz .LBB6_8485
.LBB6_10012:                            ;   in Loop: Header=BB6_8078 Depth=3
	v_cmp_ne_u16_e32 vcc_lo, 0, v12
	v_mov_b32_e32 v13, 0
	s_and_not1_b32 s13, s13, exec_lo
	s_and_b32 vcc_lo, vcc_lo, exec_lo
	s_delay_alu instid0(SALU_CYCLE_1)
	s_or_b32 s13, s13, vcc_lo
	s_or_b32 exec_lo, exec_lo, s31
	s_and_saveexec_b32 s30, s13
	s_cbranch_execnz .LBB6_8486
	s_branch .LBB6_8487
.LBB6_10013:                            ;   in Loop: Header=BB6_8078 Depth=3
	s_mov_b32 s13, -1
	s_mov_b32 s34, exec_lo
                                        ; implicit-def: $sgpr30
	v_cmpx_eq_u16_e32 0x80, v14
; %bb.10014:                            ;   in Loop: Header=BB6_8078 Depth=3
	s_mov_b32 s30, 0x7f800001
	s_xor_b32 s13, exec_lo, -1
; %bb.10015:                            ;   in Loop: Header=BB6_8078 Depth=3
	s_or_b32 exec_lo, exec_lo, s34
	s_delay_alu instid0(SALU_CYCLE_1)
	s_and_b32 s13, s13, exec_lo
                                        ; implicit-def: $vgpr14
	s_or_saveexec_b32 s31, s31
	v_mov_b32_e32 v13, s30
	s_xor_b32 exec_lo, exec_lo, s31
	s_cbranch_execz .LBB6_8497
.LBB6_10016:                            ;   in Loop: Header=BB6_8078 Depth=3
	v_cmp_ne_u16_e32 vcc_lo, 0, v14
	v_mov_b32_e32 v13, 0
	s_and_not1_b32 s13, s13, exec_lo
	s_and_b32 vcc_lo, vcc_lo, exec_lo
	s_delay_alu instid0(SALU_CYCLE_1)
	s_or_b32 s13, s13, vcc_lo
	s_or_b32 exec_lo, exec_lo, s31
	s_and_saveexec_b32 s30, s13
	s_cbranch_execnz .LBB6_8498
	s_branch .LBB6_8499
.LBB6_10017:                            ;   in Loop: Header=BB6_8078 Depth=3
	s_mov_b32 s13, -1
	s_mov_b32 s34, exec_lo
                                        ; implicit-def: $sgpr30
	v_cmpx_eq_u16_e32 0x80, v12
; %bb.10018:                            ;   in Loop: Header=BB6_8078 Depth=3
	s_mov_b32 s30, 0x7f800001
	s_xor_b32 s13, exec_lo, -1
; %bb.10019:                            ;   in Loop: Header=BB6_8078 Depth=3
	s_or_b32 exec_lo, exec_lo, s34
	s_delay_alu instid0(SALU_CYCLE_1)
	s_and_b32 s13, s13, exec_lo
	s_or_saveexec_b32 s31, s31
	v_mov_b32_e32 v13, s30
	s_xor_b32 exec_lo, exec_lo, s31
	s_cbranch_execz .LBB6_8509
.LBB6_10020:                            ;   in Loop: Header=BB6_8078 Depth=3
	v_cmp_ne_u16_e32 vcc_lo, 0, v12
	v_mov_b32_e32 v13, 0
	s_and_not1_b32 s13, s13, exec_lo
	s_and_b32 vcc_lo, vcc_lo, exec_lo
	s_delay_alu instid0(SALU_CYCLE_1)
	s_or_b32 s13, s13, vcc_lo
	s_or_b32 exec_lo, exec_lo, s31
	s_and_saveexec_b32 s30, s13
	s_cbranch_execnz .LBB6_8510
	s_branch .LBB6_8511
.LBB6_10021:                            ;   in Loop: Header=BB6_8078 Depth=3
	s_mov_b32 s13, -1
	s_mov_b32 s34, exec_lo
                                        ; implicit-def: $sgpr30
	v_cmpx_eq_u16_e32 0x80, v12
; %bb.10022:                            ;   in Loop: Header=BB6_8078 Depth=3
	s_mov_b32 s30, 0x7f800001
	s_xor_b32 s13, exec_lo, -1
; %bb.10023:                            ;   in Loop: Header=BB6_8078 Depth=3
	s_or_b32 exec_lo, exec_lo, s34
	s_delay_alu instid0(SALU_CYCLE_1)
	s_and_b32 s13, s13, exec_lo
                                        ; implicit-def: $vgpr12
	s_or_saveexec_b32 s31, s31
	v_mov_b32_e32 v8, s30
	s_xor_b32 exec_lo, exec_lo, s31
	s_cbranch_execz .LBB6_8521
.LBB6_10024:                            ;   in Loop: Header=BB6_8078 Depth=3
	v_cmp_ne_u16_e32 vcc_lo, 0, v12
	v_mov_b32_e32 v8, 0
	s_and_not1_b32 s13, s13, exec_lo
	s_and_b32 vcc_lo, vcc_lo, exec_lo
	s_delay_alu instid0(SALU_CYCLE_1)
	s_or_b32 s13, s13, vcc_lo
	s_or_b32 exec_lo, exec_lo, s31
	s_and_saveexec_b32 s30, s13
	s_cbranch_execnz .LBB6_8522
	s_branch .LBB6_8523
.LBB6_10025:                            ;   in Loop: Header=BB6_8078 Depth=3
	s_mov_b32 s13, -1
	s_mov_b32 s34, exec_lo
                                        ; implicit-def: $sgpr30
	v_cmpx_eq_u16_e32 0x80, v8
; %bb.10026:                            ;   in Loop: Header=BB6_8078 Depth=3
	s_mov_b32 s30, 0x7f800001
	s_xor_b32 s13, exec_lo, -1
; %bb.10027:                            ;   in Loop: Header=BB6_8078 Depth=3
	s_or_b32 exec_lo, exec_lo, s34
	s_delay_alu instid0(SALU_CYCLE_1)
	s_and_b32 s13, s13, exec_lo
	s_or_saveexec_b32 s31, s31
	v_mov_b32_e32 v12, s30
	s_xor_b32 exec_lo, exec_lo, s31
	s_cbranch_execz .LBB6_8533
.LBB6_10028:                            ;   in Loop: Header=BB6_8078 Depth=3
	v_cmp_ne_u16_e32 vcc_lo, 0, v8
	v_mov_b32_e32 v12, 0
	s_and_not1_b32 s13, s13, exec_lo
	s_and_b32 vcc_lo, vcc_lo, exec_lo
	s_delay_alu instid0(SALU_CYCLE_1)
	s_or_b32 s13, s13, vcc_lo
	s_or_b32 exec_lo, exec_lo, s31
	s_and_saveexec_b32 s30, s13
	s_cbranch_execnz .LBB6_8534
	s_branch .LBB6_8535
.LBB6_10029:                            ;   in Loop: Header=BB6_8078 Depth=3
	s_mov_b32 s13, -1
	s_mov_b32 s34, exec_lo
                                        ; implicit-def: $sgpr30
	v_cmpx_eq_u16_e32 0x80, v13
; %bb.10030:                            ;   in Loop: Header=BB6_8078 Depth=3
	s_mov_b32 s30, 0x7f800001
	s_xor_b32 s13, exec_lo, -1
; %bb.10031:                            ;   in Loop: Header=BB6_8078 Depth=3
	s_or_b32 exec_lo, exec_lo, s34
	s_delay_alu instid0(SALU_CYCLE_1)
	s_and_b32 s13, s13, exec_lo
                                        ; implicit-def: $vgpr13
	s_or_saveexec_b32 s31, s31
	v_mov_b32_e32 v12, s30
	s_xor_b32 exec_lo, exec_lo, s31
	s_cbranch_execz .LBB6_8545
.LBB6_10032:                            ;   in Loop: Header=BB6_8078 Depth=3
	v_cmp_ne_u16_e32 vcc_lo, 0, v13
	v_mov_b32_e32 v12, 0
	s_and_not1_b32 s13, s13, exec_lo
	s_and_b32 vcc_lo, vcc_lo, exec_lo
	s_delay_alu instid0(SALU_CYCLE_1)
	s_or_b32 s13, s13, vcc_lo
	s_or_b32 exec_lo, exec_lo, s31
	s_and_saveexec_b32 s30, s13
	s_cbranch_execnz .LBB6_8546
	s_branch .LBB6_8547
.LBB6_10033:                            ;   in Loop: Header=BB6_8078 Depth=3
	s_mov_b32 s13, -1
	s_mov_b32 s34, exec_lo
                                        ; implicit-def: $sgpr30
	v_cmpx_eq_u16_e32 0x80, v8
; %bb.10034:                            ;   in Loop: Header=BB6_8078 Depth=3
	s_mov_b32 s30, 0x7f800001
	s_xor_b32 s13, exec_lo, -1
; %bb.10035:                            ;   in Loop: Header=BB6_8078 Depth=3
	s_or_b32 exec_lo, exec_lo, s34
	s_delay_alu instid0(SALU_CYCLE_1)
	s_and_b32 s13, s13, exec_lo
	s_or_saveexec_b32 s31, s31
	v_mov_b32_e32 v12, s30
	s_xor_b32 exec_lo, exec_lo, s31
	s_cbranch_execz .LBB6_8557
.LBB6_10036:                            ;   in Loop: Header=BB6_8078 Depth=3
	v_cmp_ne_u16_e32 vcc_lo, 0, v8
	v_mov_b32_e32 v12, 0
	s_and_not1_b32 s13, s13, exec_lo
	s_and_b32 vcc_lo, vcc_lo, exec_lo
	s_delay_alu instid0(SALU_CYCLE_1)
	s_or_b32 s13, s13, vcc_lo
	s_or_b32 exec_lo, exec_lo, s31
	s_and_saveexec_b32 s30, s13
	s_cbranch_execnz .LBB6_8558
	s_branch .LBB6_8559
.LBB6_10037:                            ;   in Loop: Header=BB6_8078 Depth=3
	s_mov_b32 s13, -1
	s_mov_b32 s34, exec_lo
                                        ; implicit-def: $sgpr30
	v_cmpx_eq_u16_e32 0x80, v9
; %bb.10038:                            ;   in Loop: Header=BB6_8078 Depth=3
	s_mov_b32 s30, 0x7f800001
	s_xor_b32 s13, exec_lo, -1
; %bb.10039:                            ;   in Loop: Header=BB6_8078 Depth=3
	s_or_b32 exec_lo, exec_lo, s34
	s_delay_alu instid0(SALU_CYCLE_1)
	s_and_b32 s13, s13, exec_lo
                                        ; implicit-def: $vgpr9
	s_or_saveexec_b32 s31, s31
	v_mov_b32_e32 v8, s30
	s_xor_b32 exec_lo, exec_lo, s31
	s_cbranch_execz .LBB6_8569
.LBB6_10040:                            ;   in Loop: Header=BB6_8078 Depth=3
	v_cmp_ne_u16_e32 vcc_lo, 0, v9
	v_mov_b32_e32 v8, 0
	s_and_not1_b32 s13, s13, exec_lo
	s_and_b32 vcc_lo, vcc_lo, exec_lo
	s_delay_alu instid0(SALU_CYCLE_1)
	s_or_b32 s13, s13, vcc_lo
	s_or_b32 exec_lo, exec_lo, s31
	s_and_saveexec_b32 s30, s13
	s_cbranch_execnz .LBB6_8570
	s_branch .LBB6_8571
.LBB6_10041:                            ;   in Loop: Header=BB6_8078 Depth=3
	s_mov_b32 s13, -1
	s_mov_b32 s34, exec_lo
                                        ; implicit-def: $sgpr30
	v_cmpx_eq_u16_e32 0x80, v8
; %bb.10042:                            ;   in Loop: Header=BB6_8078 Depth=3
	s_mov_b32 s30, 0x7f800001
	s_xor_b32 s13, exec_lo, -1
; %bb.10043:                            ;   in Loop: Header=BB6_8078 Depth=3
	s_or_b32 exec_lo, exec_lo, s34
	s_delay_alu instid0(SALU_CYCLE_1)
	s_and_b32 s13, s13, exec_lo
	s_or_saveexec_b32 s31, s31
	v_mov_b32_e32 v9, s30
	s_xor_b32 exec_lo, exec_lo, s31
	s_cbranch_execz .LBB6_8581
.LBB6_10044:                            ;   in Loop: Header=BB6_8078 Depth=3
	v_cmp_ne_u16_e32 vcc_lo, 0, v8
	v_mov_b32_e32 v9, 0
	s_and_not1_b32 s13, s13, exec_lo
	s_and_b32 vcc_lo, vcc_lo, exec_lo
	s_delay_alu instid0(SALU_CYCLE_1)
	s_or_b32 s13, s13, vcc_lo
	s_or_b32 exec_lo, exec_lo, s31
	s_and_saveexec_b32 s30, s13
	s_cbranch_execnz .LBB6_8582
	s_branch .LBB6_8583
.LBB6_10045:                            ;   in Loop: Header=BB6_8078 Depth=3
	s_mov_b32 s13, -1
	s_mov_b32 s34, exec_lo
                                        ; implicit-def: $sgpr30
	v_cmpx_eq_u16_e32 0x80, v12
; %bb.10046:                            ;   in Loop: Header=BB6_8078 Depth=3
	s_mov_b32 s30, 0x7f800001
	s_xor_b32 s13, exec_lo, -1
; %bb.10047:                            ;   in Loop: Header=BB6_8078 Depth=3
	s_or_b32 exec_lo, exec_lo, s34
	s_delay_alu instid0(SALU_CYCLE_1)
	s_and_b32 s13, s13, exec_lo
                                        ; implicit-def: $vgpr12
	s_or_saveexec_b32 s31, s31
	v_mov_b32_e32 v9, s30
	s_xor_b32 exec_lo, exec_lo, s31
	s_cbranch_execz .LBB6_8593
.LBB6_10048:                            ;   in Loop: Header=BB6_8078 Depth=3
	v_cmp_ne_u16_e32 vcc_lo, 0, v12
	v_mov_b32_e32 v9, 0
	s_and_not1_b32 s13, s13, exec_lo
	s_and_b32 vcc_lo, vcc_lo, exec_lo
	s_delay_alu instid0(SALU_CYCLE_1)
	s_or_b32 s13, s13, vcc_lo
	s_or_b32 exec_lo, exec_lo, s31
	s_and_saveexec_b32 s30, s13
	s_cbranch_execnz .LBB6_8594
	s_branch .LBB6_8595
.LBB6_10049:                            ;   in Loop: Header=BB6_8078 Depth=3
	s_mov_b32 s13, -1
	s_mov_b32 s34, exec_lo
                                        ; implicit-def: $sgpr30
	v_cmpx_eq_u16_e32 0x80, v8
; %bb.10050:                            ;   in Loop: Header=BB6_8078 Depth=3
	s_mov_b32 s30, 0x7f800001
	s_xor_b32 s13, exec_lo, -1
; %bb.10051:                            ;   in Loop: Header=BB6_8078 Depth=3
	s_or_b32 exec_lo, exec_lo, s34
	s_delay_alu instid0(SALU_CYCLE_1)
	s_and_b32 s13, s13, exec_lo
	s_or_saveexec_b32 s31, s31
	v_mov_b32_e32 v9, s30
	s_xor_b32 exec_lo, exec_lo, s31
	s_cbranch_execz .LBB6_8605
.LBB6_10052:                            ;   in Loop: Header=BB6_8078 Depth=3
	v_cmp_ne_u16_e32 vcc_lo, 0, v8
	v_mov_b32_e32 v9, 0
	s_and_not1_b32 s13, s13, exec_lo
	s_and_b32 vcc_lo, vcc_lo, exec_lo
	s_delay_alu instid0(SALU_CYCLE_1)
	s_or_b32 s13, s13, vcc_lo
	s_or_b32 exec_lo, exec_lo, s31
	s_and_saveexec_b32 s30, s13
	s_cbranch_execnz .LBB6_8606
	s_branch .LBB6_8607
.LBB6_10053:                            ;   in Loop: Header=BB6_8078 Depth=3
	s_mov_b32 s13, -1
	s_mov_b32 s34, exec_lo
                                        ; implicit-def: $sgpr30
	v_cmpx_eq_u16_e32 0x80, v9
; %bb.10054:                            ;   in Loop: Header=BB6_8078 Depth=3
	s_mov_b32 s30, 0x7f800001
	s_xor_b32 s13, exec_lo, -1
; %bb.10055:                            ;   in Loop: Header=BB6_8078 Depth=3
	s_or_b32 exec_lo, exec_lo, s34
	s_delay_alu instid0(SALU_CYCLE_1)
	s_and_b32 s13, s13, exec_lo
                                        ; implicit-def: $vgpr9
	s_or_saveexec_b32 s31, s31
	v_mov_b32_e32 v8, s30
	s_xor_b32 exec_lo, exec_lo, s31
	s_cbranch_execz .LBB6_8617
.LBB6_10056:                            ;   in Loop: Header=BB6_8078 Depth=3
	v_cmp_ne_u16_e32 vcc_lo, 0, v9
	v_mov_b32_e32 v8, 0
	s_and_not1_b32 s13, s13, exec_lo
	s_and_b32 vcc_lo, vcc_lo, exec_lo
	s_delay_alu instid0(SALU_CYCLE_1)
	s_or_b32 s13, s13, vcc_lo
	s_or_b32 exec_lo, exec_lo, s31
	s_and_saveexec_b32 s30, s13
	s_cbranch_execnz .LBB6_8618
	s_branch .LBB6_8619
.LBB6_10057:                            ;   in Loop: Header=BB6_8078 Depth=3
	s_mov_b32 s13, -1
	s_mov_b32 s34, exec_lo
                                        ; implicit-def: $sgpr30
	v_cmpx_eq_u16_e32 0x80, v8
; %bb.10058:                            ;   in Loop: Header=BB6_8078 Depth=3
	s_mov_b32 s30, 0x7f800001
	s_xor_b32 s13, exec_lo, -1
; %bb.10059:                            ;   in Loop: Header=BB6_8078 Depth=3
	s_or_b32 exec_lo, exec_lo, s34
	s_delay_alu instid0(SALU_CYCLE_1)
	s_and_b32 s13, s13, exec_lo
	s_or_saveexec_b32 s31, s31
	v_mov_b32_e32 v9, s30
	s_xor_b32 exec_lo, exec_lo, s31
	s_cbranch_execz .LBB6_8629
.LBB6_10060:                            ;   in Loop: Header=BB6_8078 Depth=3
	v_cmp_ne_u16_e32 vcc_lo, 0, v8
	v_mov_b32_e32 v9, 0
	s_and_not1_b32 s13, s13, exec_lo
	s_and_b32 vcc_lo, vcc_lo, exec_lo
	s_delay_alu instid0(SALU_CYCLE_1)
	s_or_b32 s13, s13, vcc_lo
	s_or_b32 exec_lo, exec_lo, s31
	s_and_saveexec_b32 s30, s13
	s_cbranch_execnz .LBB6_8630
	s_branch .LBB6_8631
.LBB6_10061:                            ;   in Loop: Header=BB6_8078 Depth=3
	s_mov_b32 s13, -1
	s_mov_b32 s34, exec_lo
                                        ; implicit-def: $sgpr30
	v_cmpx_eq_u16_e32 0x80, v10
; %bb.10062:                            ;   in Loop: Header=BB6_8078 Depth=3
	s_mov_b32 s30, 0x7f800001
	s_xor_b32 s13, exec_lo, -1
; %bb.10063:                            ;   in Loop: Header=BB6_8078 Depth=3
	s_or_b32 exec_lo, exec_lo, s34
	s_delay_alu instid0(SALU_CYCLE_1)
	s_and_b32 s13, s13, exec_lo
                                        ; implicit-def: $vgpr10
	s_or_saveexec_b32 s31, s31
	v_mov_b32_e32 v9, s30
	s_xor_b32 exec_lo, exec_lo, s31
	s_cbranch_execz .LBB6_8641
.LBB6_10064:                            ;   in Loop: Header=BB6_8078 Depth=3
	v_cmp_ne_u16_e32 vcc_lo, 0, v10
	v_mov_b32_e32 v9, 0
	s_and_not1_b32 s13, s13, exec_lo
	s_and_b32 vcc_lo, vcc_lo, exec_lo
	s_delay_alu instid0(SALU_CYCLE_1)
	s_or_b32 s13, s13, vcc_lo
	s_or_b32 exec_lo, exec_lo, s31
	s_and_saveexec_b32 s30, s13
	s_cbranch_execnz .LBB6_8642
	s_branch .LBB6_8643
.LBB6_10065:                            ;   in Loop: Header=BB6_8078 Depth=3
	s_mov_b32 s13, -1
	s_mov_b32 s34, exec_lo
                                        ; implicit-def: $sgpr30
	v_cmpx_eq_u16_e32 0x80, v8
; %bb.10066:                            ;   in Loop: Header=BB6_8078 Depth=3
	s_mov_b32 s30, 0x7f800001
	s_xor_b32 s13, exec_lo, -1
; %bb.10067:                            ;   in Loop: Header=BB6_8078 Depth=3
	s_or_b32 exec_lo, exec_lo, s34
	s_delay_alu instid0(SALU_CYCLE_1)
	s_and_b32 s13, s13, exec_lo
	s_or_saveexec_b32 s31, s31
	v_mov_b32_e32 v9, s30
	s_xor_b32 exec_lo, exec_lo, s31
	s_cbranch_execz .LBB6_8653
.LBB6_10068:                            ;   in Loop: Header=BB6_8078 Depth=3
	v_cmp_ne_u16_e32 vcc_lo, 0, v8
	v_mov_b32_e32 v9, 0
	s_and_not1_b32 s13, s13, exec_lo
	s_and_b32 vcc_lo, vcc_lo, exec_lo
	s_delay_alu instid0(SALU_CYCLE_1)
	s_or_b32 s13, s13, vcc_lo
	s_or_b32 exec_lo, exec_lo, s31
	s_and_saveexec_b32 s30, s13
	s_cbranch_execnz .LBB6_8654
	s_branch .LBB6_8655
.LBB6_10069:                            ;   in Loop: Header=BB6_8078 Depth=3
	s_mov_b32 s13, -1
	s_mov_b32 s34, exec_lo
                                        ; implicit-def: $sgpr30
	v_cmpx_eq_u16_e32 0x80, v13
; %bb.10070:                            ;   in Loop: Header=BB6_8078 Depth=3
	s_mov_b32 s30, 0x7f800001
	s_xor_b32 s13, exec_lo, -1
; %bb.10071:                            ;   in Loop: Header=BB6_8078 Depth=3
	s_or_b32 exec_lo, exec_lo, s34
	s_delay_alu instid0(SALU_CYCLE_1)
	s_and_b32 s13, s13, exec_lo
                                        ; implicit-def: $vgpr13
	s_or_saveexec_b32 s31, s31
	v_mov_b32_e32 v12, s30
	s_xor_b32 exec_lo, exec_lo, s31
	s_cbranch_execz .LBB6_8665
.LBB6_10072:                            ;   in Loop: Header=BB6_8078 Depth=3
	v_cmp_ne_u16_e32 vcc_lo, 0, v13
	v_mov_b32_e32 v12, 0
	s_and_not1_b32 s13, s13, exec_lo
	s_and_b32 vcc_lo, vcc_lo, exec_lo
	s_delay_alu instid0(SALU_CYCLE_1)
	s_or_b32 s13, s13, vcc_lo
	s_or_b32 exec_lo, exec_lo, s31
	s_and_saveexec_b32 s30, s13
	s_cbranch_execnz .LBB6_8666
	s_branch .LBB6_8667
.LBB6_10073:                            ;   in Loop: Header=BB6_8078 Depth=3
	s_mov_b32 s13, -1
	s_mov_b32 s34, exec_lo
                                        ; implicit-def: $sgpr30
	v_cmpx_eq_u16_e32 0x80, v12
; %bb.10074:                            ;   in Loop: Header=BB6_8078 Depth=3
	s_mov_b32 s30, 0x7f800001
	s_xor_b32 s13, exec_lo, -1
; %bb.10075:                            ;   in Loop: Header=BB6_8078 Depth=3
	s_or_b32 exec_lo, exec_lo, s34
	s_delay_alu instid0(SALU_CYCLE_1)
	s_and_b32 s13, s13, exec_lo
	s_or_saveexec_b32 s31, s31
	v_mov_b32_e32 v13, s30
	s_xor_b32 exec_lo, exec_lo, s31
	s_cbranch_execz .LBB6_8677
.LBB6_10076:                            ;   in Loop: Header=BB6_8078 Depth=3
	v_cmp_ne_u16_e32 vcc_lo, 0, v12
	v_mov_b32_e32 v13, 0
	s_and_not1_b32 s13, s13, exec_lo
	s_and_b32 vcc_lo, vcc_lo, exec_lo
	s_delay_alu instid0(SALU_CYCLE_1)
	s_or_b32 s13, s13, vcc_lo
	s_or_b32 exec_lo, exec_lo, s31
	s_and_saveexec_b32 s30, s13
	s_cbranch_execnz .LBB6_8678
	s_branch .LBB6_8679
.LBB6_10077:                            ;   in Loop: Header=BB6_8078 Depth=3
	s_mov_b32 s13, -1
	s_mov_b32 s34, exec_lo
                                        ; implicit-def: $sgpr30
	v_cmpx_eq_u16_e32 0x80, v14
; %bb.10078:                            ;   in Loop: Header=BB6_8078 Depth=3
	s_mov_b32 s30, 0x7f800001
	s_xor_b32 s13, exec_lo, -1
; %bb.10079:                            ;   in Loop: Header=BB6_8078 Depth=3
	s_or_b32 exec_lo, exec_lo, s34
	s_delay_alu instid0(SALU_CYCLE_1)
	s_and_b32 s13, s13, exec_lo
                                        ; implicit-def: $vgpr14
	s_or_saveexec_b32 s31, s31
	v_mov_b32_e32 v13, s30
	s_xor_b32 exec_lo, exec_lo, s31
	s_cbranch_execz .LBB6_8689
.LBB6_10080:                            ;   in Loop: Header=BB6_8078 Depth=3
	v_cmp_ne_u16_e32 vcc_lo, 0, v14
	v_mov_b32_e32 v13, 0
	s_and_not1_b32 s13, s13, exec_lo
	s_and_b32 vcc_lo, vcc_lo, exec_lo
	s_delay_alu instid0(SALU_CYCLE_1)
	s_or_b32 s13, s13, vcc_lo
	s_or_b32 exec_lo, exec_lo, s31
	s_and_saveexec_b32 s30, s13
	s_cbranch_execnz .LBB6_8690
	s_branch .LBB6_8691
.LBB6_10081:                            ;   in Loop: Header=BB6_8078 Depth=3
	s_mov_b32 s13, -1
	s_mov_b32 s34, exec_lo
                                        ; implicit-def: $sgpr30
	v_cmpx_eq_u16_e32 0x80, v12
; %bb.10082:                            ;   in Loop: Header=BB6_8078 Depth=3
	s_mov_b32 s30, 0x7f800001
	s_xor_b32 s13, exec_lo, -1
; %bb.10083:                            ;   in Loop: Header=BB6_8078 Depth=3
	s_or_b32 exec_lo, exec_lo, s34
	s_delay_alu instid0(SALU_CYCLE_1)
	s_and_b32 s13, s13, exec_lo
	s_or_saveexec_b32 s31, s31
	v_mov_b32_e32 v13, s30
	s_xor_b32 exec_lo, exec_lo, s31
	s_cbranch_execz .LBB6_8701
.LBB6_10084:                            ;   in Loop: Header=BB6_8078 Depth=3
	v_cmp_ne_u16_e32 vcc_lo, 0, v12
	v_mov_b32_e32 v13, 0
	s_and_not1_b32 s13, s13, exec_lo
	s_and_b32 vcc_lo, vcc_lo, exec_lo
	s_delay_alu instid0(SALU_CYCLE_1)
	s_or_b32 s13, s13, vcc_lo
	s_or_b32 exec_lo, exec_lo, s31
	s_and_saveexec_b32 s30, s13
	s_cbranch_execnz .LBB6_8702
	s_branch .LBB6_8703
.LBB6_10085:                            ;   in Loop: Header=BB6_8078 Depth=3
	s_mov_b32 s13, -1
	s_mov_b32 s34, exec_lo
                                        ; implicit-def: $sgpr30
	v_cmpx_eq_u16_e32 0x80, v12
; %bb.10086:                            ;   in Loop: Header=BB6_8078 Depth=3
	s_mov_b32 s30, 0x7f800001
	s_xor_b32 s13, exec_lo, -1
; %bb.10087:                            ;   in Loop: Header=BB6_8078 Depth=3
	s_or_b32 exec_lo, exec_lo, s34
	s_delay_alu instid0(SALU_CYCLE_1)
	s_and_b32 s13, s13, exec_lo
                                        ; implicit-def: $vgpr12
	s_or_saveexec_b32 s31, s31
	v_mov_b32_e32 v8, s30
	s_xor_b32 exec_lo, exec_lo, s31
	s_cbranch_execz .LBB6_8713
.LBB6_10088:                            ;   in Loop: Header=BB6_8078 Depth=3
	v_cmp_ne_u16_e32 vcc_lo, 0, v12
	v_mov_b32_e32 v8, 0
	s_and_not1_b32 s13, s13, exec_lo
	s_and_b32 vcc_lo, vcc_lo, exec_lo
	s_delay_alu instid0(SALU_CYCLE_1)
	s_or_b32 s13, s13, vcc_lo
	s_or_b32 exec_lo, exec_lo, s31
	s_and_saveexec_b32 s30, s13
	s_cbranch_execnz .LBB6_8714
	s_branch .LBB6_8715
.LBB6_10089:                            ;   in Loop: Header=BB6_8078 Depth=3
	s_mov_b32 s13, -1
	s_mov_b32 s34, exec_lo
                                        ; implicit-def: $sgpr30
	v_cmpx_eq_u16_e32 0x80, v8
; %bb.10090:                            ;   in Loop: Header=BB6_8078 Depth=3
	s_mov_b32 s30, 0x7f800001
	s_xor_b32 s13, exec_lo, -1
; %bb.10091:                            ;   in Loop: Header=BB6_8078 Depth=3
	s_or_b32 exec_lo, exec_lo, s34
	s_delay_alu instid0(SALU_CYCLE_1)
	s_and_b32 s13, s13, exec_lo
	s_or_saveexec_b32 s31, s31
	v_mov_b32_e32 v12, s30
	s_xor_b32 exec_lo, exec_lo, s31
	s_cbranch_execz .LBB6_8725
.LBB6_10092:                            ;   in Loop: Header=BB6_8078 Depth=3
	v_cmp_ne_u16_e32 vcc_lo, 0, v8
	v_mov_b32_e32 v12, 0
	s_and_not1_b32 s13, s13, exec_lo
	s_and_b32 vcc_lo, vcc_lo, exec_lo
	s_delay_alu instid0(SALU_CYCLE_1)
	s_or_b32 s13, s13, vcc_lo
	s_or_b32 exec_lo, exec_lo, s31
	s_and_saveexec_b32 s30, s13
	s_cbranch_execnz .LBB6_8726
	s_branch .LBB6_8727
.LBB6_10093:                            ;   in Loop: Header=BB6_8078 Depth=3
	s_mov_b32 s13, -1
	s_mov_b32 s34, exec_lo
                                        ; implicit-def: $sgpr30
	v_cmpx_eq_u16_e32 0x80, v13
; %bb.10094:                            ;   in Loop: Header=BB6_8078 Depth=3
	s_mov_b32 s30, 0x7f800001
	s_xor_b32 s13, exec_lo, -1
; %bb.10095:                            ;   in Loop: Header=BB6_8078 Depth=3
	s_or_b32 exec_lo, exec_lo, s34
	s_delay_alu instid0(SALU_CYCLE_1)
	s_and_b32 s13, s13, exec_lo
                                        ; implicit-def: $vgpr13
	s_or_saveexec_b32 s31, s31
	v_mov_b32_e32 v12, s30
	s_xor_b32 exec_lo, exec_lo, s31
	s_cbranch_execz .LBB6_8737
.LBB6_10096:                            ;   in Loop: Header=BB6_8078 Depth=3
	v_cmp_ne_u16_e32 vcc_lo, 0, v13
	v_mov_b32_e32 v12, 0
	s_and_not1_b32 s13, s13, exec_lo
	s_and_b32 vcc_lo, vcc_lo, exec_lo
	s_delay_alu instid0(SALU_CYCLE_1)
	s_or_b32 s13, s13, vcc_lo
	s_or_b32 exec_lo, exec_lo, s31
	s_and_saveexec_b32 s30, s13
	s_cbranch_execnz .LBB6_8738
	s_branch .LBB6_8739
.LBB6_10097:                            ;   in Loop: Header=BB6_8078 Depth=3
	s_mov_b32 s13, -1
	s_mov_b32 s34, exec_lo
                                        ; implicit-def: $sgpr30
	v_cmpx_eq_u16_e32 0x80, v8
; %bb.10098:                            ;   in Loop: Header=BB6_8078 Depth=3
	s_mov_b32 s30, 0x7f800001
	s_xor_b32 s13, exec_lo, -1
; %bb.10099:                            ;   in Loop: Header=BB6_8078 Depth=3
	s_or_b32 exec_lo, exec_lo, s34
	s_delay_alu instid0(SALU_CYCLE_1)
	s_and_b32 s13, s13, exec_lo
	s_or_saveexec_b32 s31, s31
	v_mov_b32_e32 v12, s30
	s_xor_b32 exec_lo, exec_lo, s31
	s_cbranch_execz .LBB6_8749
.LBB6_10100:                            ;   in Loop: Header=BB6_8078 Depth=3
	v_cmp_ne_u16_e32 vcc_lo, 0, v8
	v_mov_b32_e32 v12, 0
	s_and_not1_b32 s13, s13, exec_lo
	s_and_b32 vcc_lo, vcc_lo, exec_lo
	s_delay_alu instid0(SALU_CYCLE_1)
	s_or_b32 s13, s13, vcc_lo
	s_or_b32 exec_lo, exec_lo, s31
	s_and_saveexec_b32 s30, s13
	s_cbranch_execnz .LBB6_8750
	s_branch .LBB6_8751
.LBB6_10101:                            ;   in Loop: Header=BB6_8078 Depth=3
	s_mov_b32 s13, -1
	s_mov_b32 s34, exec_lo
                                        ; implicit-def: $sgpr30
	v_cmpx_eq_u16_e32 0x80, v9
; %bb.10102:                            ;   in Loop: Header=BB6_8078 Depth=3
	s_mov_b32 s30, 0x7f800001
	s_xor_b32 s13, exec_lo, -1
; %bb.10103:                            ;   in Loop: Header=BB6_8078 Depth=3
	s_or_b32 exec_lo, exec_lo, s34
	s_delay_alu instid0(SALU_CYCLE_1)
	s_and_b32 s13, s13, exec_lo
                                        ; implicit-def: $vgpr9
	s_or_saveexec_b32 s31, s31
	v_mov_b32_e32 v8, s30
	s_xor_b32 exec_lo, exec_lo, s31
	s_cbranch_execz .LBB6_8761
.LBB6_10104:                            ;   in Loop: Header=BB6_8078 Depth=3
	v_cmp_ne_u16_e32 vcc_lo, 0, v9
	v_mov_b32_e32 v8, 0
	s_and_not1_b32 s13, s13, exec_lo
	s_and_b32 vcc_lo, vcc_lo, exec_lo
	s_delay_alu instid0(SALU_CYCLE_1)
	s_or_b32 s13, s13, vcc_lo
	s_or_b32 exec_lo, exec_lo, s31
	s_and_saveexec_b32 s30, s13
	s_cbranch_execnz .LBB6_8762
	s_branch .LBB6_8763
.LBB6_10105:                            ;   in Loop: Header=BB6_8078 Depth=3
	s_mov_b32 s13, -1
	s_mov_b32 s34, exec_lo
                                        ; implicit-def: $sgpr30
	v_cmpx_eq_u16_e32 0x80, v8
; %bb.10106:                            ;   in Loop: Header=BB6_8078 Depth=3
	s_mov_b32 s30, 0x7f800001
	s_xor_b32 s13, exec_lo, -1
; %bb.10107:                            ;   in Loop: Header=BB6_8078 Depth=3
	s_or_b32 exec_lo, exec_lo, s34
	s_delay_alu instid0(SALU_CYCLE_1)
	s_and_b32 s13, s13, exec_lo
	s_or_saveexec_b32 s31, s31
	v_mov_b32_e32 v9, s30
	s_xor_b32 exec_lo, exec_lo, s31
	s_cbranch_execz .LBB6_8773
.LBB6_10108:                            ;   in Loop: Header=BB6_8078 Depth=3
	v_cmp_ne_u16_e32 vcc_lo, 0, v8
	v_mov_b32_e32 v9, 0
	s_and_not1_b32 s13, s13, exec_lo
	s_and_b32 vcc_lo, vcc_lo, exec_lo
	s_delay_alu instid0(SALU_CYCLE_1)
	s_or_b32 s13, s13, vcc_lo
	s_or_b32 exec_lo, exec_lo, s31
	s_and_saveexec_b32 s30, s13
	s_cbranch_execnz .LBB6_8774
	s_branch .LBB6_8775
.LBB6_10109:                            ;   in Loop: Header=BB6_8078 Depth=3
	s_mov_b32 s13, -1
	s_mov_b32 s34, exec_lo
                                        ; implicit-def: $sgpr30
	v_cmpx_eq_u16_e32 0x80, v12
; %bb.10110:                            ;   in Loop: Header=BB6_8078 Depth=3
	s_mov_b32 s30, 0x7f800001
	s_xor_b32 s13, exec_lo, -1
; %bb.10111:                            ;   in Loop: Header=BB6_8078 Depth=3
	s_or_b32 exec_lo, exec_lo, s34
	s_delay_alu instid0(SALU_CYCLE_1)
	s_and_b32 s13, s13, exec_lo
                                        ; implicit-def: $vgpr12
	s_or_saveexec_b32 s31, s31
	v_mov_b32_e32 v9, s30
	s_xor_b32 exec_lo, exec_lo, s31
	s_cbranch_execz .LBB6_8785
.LBB6_10112:                            ;   in Loop: Header=BB6_8078 Depth=3
	v_cmp_ne_u16_e32 vcc_lo, 0, v12
	v_mov_b32_e32 v9, 0
	s_and_not1_b32 s13, s13, exec_lo
	s_and_b32 vcc_lo, vcc_lo, exec_lo
	s_delay_alu instid0(SALU_CYCLE_1)
	s_or_b32 s13, s13, vcc_lo
	s_or_b32 exec_lo, exec_lo, s31
	s_and_saveexec_b32 s30, s13
	s_cbranch_execnz .LBB6_8786
	s_branch .LBB6_8787
.LBB6_10113:                            ;   in Loop: Header=BB6_8078 Depth=3
	s_mov_b32 s13, -1
	s_mov_b32 s34, exec_lo
                                        ; implicit-def: $sgpr30
	v_cmpx_eq_u16_e32 0x80, v8
; %bb.10114:                            ;   in Loop: Header=BB6_8078 Depth=3
	s_mov_b32 s30, 0x7f800001
	s_xor_b32 s13, exec_lo, -1
; %bb.10115:                            ;   in Loop: Header=BB6_8078 Depth=3
	s_or_b32 exec_lo, exec_lo, s34
	s_delay_alu instid0(SALU_CYCLE_1)
	s_and_b32 s13, s13, exec_lo
	s_or_saveexec_b32 s31, s31
	v_mov_b32_e32 v9, s30
	s_xor_b32 exec_lo, exec_lo, s31
	s_cbranch_execz .LBB6_8797
.LBB6_10116:                            ;   in Loop: Header=BB6_8078 Depth=3
	v_cmp_ne_u16_e32 vcc_lo, 0, v8
	v_mov_b32_e32 v9, 0
	s_and_not1_b32 s13, s13, exec_lo
	s_and_b32 vcc_lo, vcc_lo, exec_lo
	s_delay_alu instid0(SALU_CYCLE_1)
	s_or_b32 s13, s13, vcc_lo
	s_or_b32 exec_lo, exec_lo, s31
	s_and_saveexec_b32 s30, s13
	s_cbranch_execnz .LBB6_8798
	s_branch .LBB6_8799
.LBB6_10117:                            ;   in Loop: Header=BB6_8078 Depth=3
	s_mov_b32 s13, -1
	s_mov_b32 s34, exec_lo
                                        ; implicit-def: $sgpr30
	v_cmpx_eq_u16_e32 0x80, v9
; %bb.10118:                            ;   in Loop: Header=BB6_8078 Depth=3
	s_mov_b32 s30, 0x7f800001
	s_xor_b32 s13, exec_lo, -1
; %bb.10119:                            ;   in Loop: Header=BB6_8078 Depth=3
	s_or_b32 exec_lo, exec_lo, s34
	s_delay_alu instid0(SALU_CYCLE_1)
	s_and_b32 s13, s13, exec_lo
                                        ; implicit-def: $vgpr9
	s_or_saveexec_b32 s31, s31
	v_mov_b32_e32 v8, s30
	s_xor_b32 exec_lo, exec_lo, s31
	s_cbranch_execz .LBB6_8809
.LBB6_10120:                            ;   in Loop: Header=BB6_8078 Depth=3
	v_cmp_ne_u16_e32 vcc_lo, 0, v9
	v_mov_b32_e32 v8, 0
	s_and_not1_b32 s13, s13, exec_lo
	s_and_b32 vcc_lo, vcc_lo, exec_lo
	s_delay_alu instid0(SALU_CYCLE_1)
	s_or_b32 s13, s13, vcc_lo
	s_or_b32 exec_lo, exec_lo, s31
	s_and_saveexec_b32 s30, s13
	s_cbranch_execnz .LBB6_8810
	s_branch .LBB6_8811
.LBB6_10121:                            ;   in Loop: Header=BB6_8078 Depth=3
	s_mov_b32 s13, -1
	s_mov_b32 s34, exec_lo
                                        ; implicit-def: $sgpr30
	v_cmpx_eq_u16_e32 0x80, v8
; %bb.10122:                            ;   in Loop: Header=BB6_8078 Depth=3
	s_mov_b32 s30, 0x7f800001
	s_xor_b32 s13, exec_lo, -1
; %bb.10123:                            ;   in Loop: Header=BB6_8078 Depth=3
	s_or_b32 exec_lo, exec_lo, s34
	s_delay_alu instid0(SALU_CYCLE_1)
	s_and_b32 s13, s13, exec_lo
	s_or_saveexec_b32 s31, s31
	v_mov_b32_e32 v9, s30
	s_xor_b32 exec_lo, exec_lo, s31
	s_cbranch_execz .LBB6_8821
.LBB6_10124:                            ;   in Loop: Header=BB6_8078 Depth=3
	v_cmp_ne_u16_e32 vcc_lo, 0, v8
	v_mov_b32_e32 v9, 0
	s_and_not1_b32 s13, s13, exec_lo
	s_and_b32 vcc_lo, vcc_lo, exec_lo
	s_delay_alu instid0(SALU_CYCLE_1)
	s_or_b32 s13, s13, vcc_lo
	s_or_b32 exec_lo, exec_lo, s31
	s_and_saveexec_b32 s30, s13
	s_cbranch_execnz .LBB6_8822
	s_branch .LBB6_8823
.LBB6_10125:                            ;   in Loop: Header=BB6_8078 Depth=3
	s_mov_b32 s13, -1
	s_mov_b32 s34, exec_lo
                                        ; implicit-def: $sgpr30
	v_cmpx_eq_u16_e32 0x80, v10
; %bb.10126:                            ;   in Loop: Header=BB6_8078 Depth=3
	s_mov_b32 s30, 0x7f800001
	s_xor_b32 s13, exec_lo, -1
; %bb.10127:                            ;   in Loop: Header=BB6_8078 Depth=3
	s_or_b32 exec_lo, exec_lo, s34
	s_delay_alu instid0(SALU_CYCLE_1)
	s_and_b32 s13, s13, exec_lo
                                        ; implicit-def: $vgpr10
	s_or_saveexec_b32 s31, s31
	v_mov_b32_e32 v9, s30
	s_xor_b32 exec_lo, exec_lo, s31
	s_cbranch_execz .LBB6_8833
.LBB6_10128:                            ;   in Loop: Header=BB6_8078 Depth=3
	v_cmp_ne_u16_e32 vcc_lo, 0, v10
	v_mov_b32_e32 v9, 0
	s_and_not1_b32 s13, s13, exec_lo
	s_and_b32 vcc_lo, vcc_lo, exec_lo
	s_delay_alu instid0(SALU_CYCLE_1)
	s_or_b32 s13, s13, vcc_lo
	s_or_b32 exec_lo, exec_lo, s31
	s_and_saveexec_b32 s30, s13
	s_cbranch_execnz .LBB6_8834
	s_branch .LBB6_8835
.LBB6_10129:                            ;   in Loop: Header=BB6_8078 Depth=3
	s_mov_b32 s13, -1
	s_mov_b32 s34, exec_lo
                                        ; implicit-def: $sgpr30
	v_cmpx_eq_u16_e32 0x80, v8
; %bb.10130:                            ;   in Loop: Header=BB6_8078 Depth=3
	s_mov_b32 s30, 0x7f800001
	s_xor_b32 s13, exec_lo, -1
; %bb.10131:                            ;   in Loop: Header=BB6_8078 Depth=3
	s_or_b32 exec_lo, exec_lo, s34
	s_delay_alu instid0(SALU_CYCLE_1)
	s_and_b32 s13, s13, exec_lo
	s_or_saveexec_b32 s31, s31
	v_mov_b32_e32 v9, s30
	s_xor_b32 exec_lo, exec_lo, s31
	s_cbranch_execz .LBB6_8845
.LBB6_10132:                            ;   in Loop: Header=BB6_8078 Depth=3
	v_cmp_ne_u16_e32 vcc_lo, 0, v8
	v_mov_b32_e32 v9, 0
	s_and_not1_b32 s13, s13, exec_lo
	s_and_b32 vcc_lo, vcc_lo, exec_lo
	s_delay_alu instid0(SALU_CYCLE_1)
	s_or_b32 s13, s13, vcc_lo
	s_or_b32 exec_lo, exec_lo, s31
	s_and_saveexec_b32 s30, s13
	s_cbranch_execnz .LBB6_8846
	s_branch .LBB6_8847
.LBB6_10133:                            ;   in Loop: Header=BB6_8078 Depth=3
	s_mov_b32 s13, -1
	s_mov_b32 s31, exec_lo
                                        ; implicit-def: $sgpr17
	v_cmpx_eq_u16_e32 0x80, v27
; %bb.10134:                            ;   in Loop: Header=BB6_8078 Depth=3
	s_mov_b32 s17, 0x7f800001
	s_xor_b32 s13, exec_lo, -1
; %bb.10135:                            ;   in Loop: Header=BB6_8078 Depth=3
	s_or_b32 exec_lo, exec_lo, s31
	s_delay_alu instid0(SALU_CYCLE_1)
	s_and_b32 s13, s13, exec_lo
                                        ; implicit-def: $vgpr27
	s_or_saveexec_b32 s30, s30
	v_mov_b32_e32 v26, s17
	s_xor_b32 exec_lo, exec_lo, s30
	s_cbranch_execz .LBB6_8857
.LBB6_10136:                            ;   in Loop: Header=BB6_8078 Depth=3
	v_cmp_ne_u16_e32 vcc_lo, 0, v27
	v_mov_b32_e32 v26, 0
	s_and_not1_b32 s13, s13, exec_lo
	s_and_b32 s17, vcc_lo, exec_lo
	s_delay_alu instid0(SALU_CYCLE_1)
	s_or_b32 s13, s13, s17
	s_or_b32 exec_lo, exec_lo, s30
	s_and_saveexec_b32 s17, s13
	s_cbranch_execnz .LBB6_8858
	s_branch .LBB6_8859
.LBB6_10137:                            ;   in Loop: Header=BB6_8078 Depth=3
	s_mov_b32 s13, -1
	s_mov_b32 s31, exec_lo
                                        ; implicit-def: $sgpr17
	v_cmpx_eq_u16_e32 0x80, v36
; %bb.10138:                            ;   in Loop: Header=BB6_8078 Depth=3
	s_mov_b32 s17, 0x7f800001
	s_xor_b32 s13, exec_lo, -1
; %bb.10139:                            ;   in Loop: Header=BB6_8078 Depth=3
	s_or_b32 exec_lo, exec_lo, s31
	s_delay_alu instid0(SALU_CYCLE_1)
	s_and_b32 s13, s13, exec_lo
                                        ; implicit-def: $vgpr36
	s_or_saveexec_b32 s30, s30
	v_mov_b32_e32 v27, s17
	s_xor_b32 exec_lo, exec_lo, s30
	s_cbranch_execz .LBB6_8861
.LBB6_10140:                            ;   in Loop: Header=BB6_8078 Depth=3
	v_cmp_ne_u16_e32 vcc_lo, 0, v36
	v_mov_b32_e32 v27, 0
	s_and_not1_b32 s13, s13, exec_lo
	s_and_b32 s17, vcc_lo, exec_lo
	s_delay_alu instid0(SALU_CYCLE_1)
	s_or_b32 s13, s13, s17
	s_or_b32 exec_lo, exec_lo, s30
	s_and_saveexec_b32 s17, s13
	s_cbranch_execnz .LBB6_8862
	s_branch .LBB6_8863
.LBB6_10141:                            ;   in Loop: Header=BB6_8078 Depth=3
	s_mov_b32 s13, -1
	s_mov_b32 s31, exec_lo
                                        ; implicit-def: $sgpr17
	v_cmpx_eq_u16_e32 0x80, v27
; %bb.10142:                            ;   in Loop: Header=BB6_8078 Depth=3
	s_mov_b32 s17, 0x7f800001
	s_xor_b32 s13, exec_lo, -1
; %bb.10143:                            ;   in Loop: Header=BB6_8078 Depth=3
	s_or_b32 exec_lo, exec_lo, s31
	s_delay_alu instid0(SALU_CYCLE_1)
	s_and_b32 s13, s13, exec_lo
                                        ; implicit-def: $vgpr27
	s_or_saveexec_b32 s30, s30
	v_mov_b32_e32 v26, s17
	s_xor_b32 exec_lo, exec_lo, s30
	s_cbranch_execz .LBB6_8873
.LBB6_10144:                            ;   in Loop: Header=BB6_8078 Depth=3
	v_cmp_ne_u16_e32 vcc_lo, 0, v27
	v_mov_b32_e32 v26, 0
	s_and_not1_b32 s13, s13, exec_lo
	s_and_b32 s17, vcc_lo, exec_lo
	s_delay_alu instid0(SALU_CYCLE_1)
	s_or_b32 s13, s13, s17
	s_or_b32 exec_lo, exec_lo, s30
	s_and_saveexec_b32 s17, s13
	s_cbranch_execnz .LBB6_8874
	s_branch .LBB6_8875
.LBB6_10145:                            ;   in Loop: Header=BB6_8078 Depth=3
	s_mov_b32 s13, -1
	s_mov_b32 s31, exec_lo
                                        ; implicit-def: $sgpr17
	v_cmpx_eq_u16_e32 0x80, v27
; %bb.10146:                            ;   in Loop: Header=BB6_8078 Depth=3
	s_mov_b32 s17, 0x7f800001
	s_xor_b32 s13, exec_lo, -1
; %bb.10147:                            ;   in Loop: Header=BB6_8078 Depth=3
	s_or_b32 exec_lo, exec_lo, s31
	s_delay_alu instid0(SALU_CYCLE_1)
	s_and_b32 s13, s13, exec_lo
	s_or_saveexec_b32 s30, s30
	v_mov_b32_e32 v36, s17
	s_xor_b32 exec_lo, exec_lo, s30
	s_cbranch_execz .LBB6_8877
.LBB6_10148:                            ;   in Loop: Header=BB6_8078 Depth=3
	v_cmp_ne_u16_e32 vcc_lo, 0, v27
	v_mov_b32_e32 v36, 0
	s_and_not1_b32 s13, s13, exec_lo
	s_and_b32 s17, vcc_lo, exec_lo
	s_delay_alu instid0(SALU_CYCLE_1)
	s_or_b32 s13, s13, s17
	s_or_b32 exec_lo, exec_lo, s30
	s_and_saveexec_b32 s17, s13
	s_cbranch_execnz .LBB6_8878
	s_branch .LBB6_8879
.LBB6_10149:                            ;   in Loop: Header=BB6_8078 Depth=3
	s_mov_b32 s13, -1
	s_mov_b32 s31, exec_lo
                                        ; implicit-def: $sgpr17
	v_cmpx_eq_u16_e32 0x80, v27
; %bb.10150:                            ;   in Loop: Header=BB6_8078 Depth=3
	s_mov_b32 s17, 0x7f800001
	s_xor_b32 s13, exec_lo, -1
; %bb.10151:                            ;   in Loop: Header=BB6_8078 Depth=3
	s_or_b32 exec_lo, exec_lo, s31
	s_delay_alu instid0(SALU_CYCLE_1)
	s_and_b32 s13, s13, exec_lo
                                        ; implicit-def: $vgpr27
	s_or_saveexec_b32 s30, s30
	v_mov_b32_e32 v26, s17
	s_xor_b32 exec_lo, exec_lo, s30
	s_cbranch_execz .LBB6_8889
.LBB6_10152:                            ;   in Loop: Header=BB6_8078 Depth=3
	v_cmp_ne_u16_e32 vcc_lo, 0, v27
	v_mov_b32_e32 v26, 0
	s_and_not1_b32 s13, s13, exec_lo
	s_and_b32 s17, vcc_lo, exec_lo
	s_delay_alu instid0(SALU_CYCLE_1)
	s_or_b32 s13, s13, s17
	s_or_b32 exec_lo, exec_lo, s30
	s_and_saveexec_b32 s17, s13
	s_cbranch_execnz .LBB6_8890
	s_branch .LBB6_8891
.LBB6_10153:                            ;   in Loop: Header=BB6_8078 Depth=3
	s_mov_b32 s13, -1
	s_mov_b32 s31, exec_lo
                                        ; implicit-def: $sgpr17
	v_cmpx_eq_u16_e32 0x80, v37
; %bb.10154:                            ;   in Loop: Header=BB6_8078 Depth=3
	s_mov_b32 s17, 0x7f800001
	s_xor_b32 s13, exec_lo, -1
; %bb.10155:                            ;   in Loop: Header=BB6_8078 Depth=3
	s_or_b32 exec_lo, exec_lo, s31
	s_delay_alu instid0(SALU_CYCLE_1)
	s_and_b32 s13, s13, exec_lo
                                        ; implicit-def: $vgpr37
	s_or_saveexec_b32 s30, s30
	v_mov_b32_e32 v36, s17
	s_xor_b32 exec_lo, exec_lo, s30
	s_cbranch_execz .LBB6_8893
.LBB6_10156:                            ;   in Loop: Header=BB6_8078 Depth=3
	v_cmp_ne_u16_e32 vcc_lo, 0, v37
	v_mov_b32_e32 v36, 0
	s_and_not1_b32 s13, s13, exec_lo
	s_and_b32 s17, vcc_lo, exec_lo
	s_delay_alu instid0(SALU_CYCLE_1)
	s_or_b32 s13, s13, s17
	s_or_b32 exec_lo, exec_lo, s30
	s_and_saveexec_b32 s17, s13
	s_cbranch_execnz .LBB6_8894
	s_branch .LBB6_8895
.LBB6_10157:                            ;   in Loop: Header=BB6_8078 Depth=3
	s_mov_b32 s13, -1
	s_mov_b32 s31, exec_lo
                                        ; implicit-def: $sgpr17
	v_cmpx_eq_u16_e32 0x80, v27
; %bb.10158:                            ;   in Loop: Header=BB6_8078 Depth=3
	s_mov_b32 s17, 0x7f800001
	s_xor_b32 s13, exec_lo, -1
; %bb.10159:                            ;   in Loop: Header=BB6_8078 Depth=3
	s_or_b32 exec_lo, exec_lo, s31
	s_delay_alu instid0(SALU_CYCLE_1)
	s_and_b32 s13, s13, exec_lo
	s_or_saveexec_b32 s30, s30
	v_mov_b32_e32 v26, s17
	s_xor_b32 exec_lo, exec_lo, s30
	s_cbranch_execz .LBB6_8905
.LBB6_10160:                            ;   in Loop: Header=BB6_8078 Depth=3
	v_cmp_ne_u16_e32 vcc_lo, 0, v27
	v_mov_b32_e32 v26, 0
	s_and_not1_b32 s13, s13, exec_lo
	s_and_b32 s17, vcc_lo, exec_lo
	s_delay_alu instid0(SALU_CYCLE_1)
	s_or_b32 s13, s13, s17
	s_or_b32 exec_lo, exec_lo, s30
	s_and_saveexec_b32 s17, s13
	s_cbranch_execnz .LBB6_8906
	s_branch .LBB6_8907
.LBB6_10161:                            ;   in Loop: Header=BB6_8078 Depth=3
	s_mov_b32 s13, -1
	s_mov_b32 s31, exec_lo
                                        ; implicit-def: $sgpr17
	v_cmpx_eq_u16_e32 0x80, v27
; %bb.10162:                            ;   in Loop: Header=BB6_8078 Depth=3
	s_mov_b32 s17, 0x7f800001
	s_xor_b32 s13, exec_lo, -1
; %bb.10163:                            ;   in Loop: Header=BB6_8078 Depth=3
	s_or_b32 exec_lo, exec_lo, s31
	s_delay_alu instid0(SALU_CYCLE_1)
	s_and_b32 s13, s13, exec_lo
	s_or_saveexec_b32 s30, s30
	v_mov_b32_e32 v36, s17
	s_xor_b32 exec_lo, exec_lo, s30
	s_cbranch_execz .LBB6_8909
.LBB6_10164:                            ;   in Loop: Header=BB6_8078 Depth=3
	v_cmp_ne_u16_e32 vcc_lo, 0, v27
	v_mov_b32_e32 v36, 0
	s_and_not1_b32 s13, s13, exec_lo
	s_and_b32 s17, vcc_lo, exec_lo
	s_delay_alu instid0(SALU_CYCLE_1)
	s_or_b32 s13, s13, s17
	s_or_b32 exec_lo, exec_lo, s30
	s_and_saveexec_b32 s17, s13
	s_cbranch_execnz .LBB6_8910
	s_branch .LBB6_8911
.LBB6_10165:                            ;   in Loop: Header=BB6_8078 Depth=3
	s_mov_b32 s13, -1
	s_mov_b32 s31, exec_lo
                                        ; implicit-def: $sgpr17
	v_cmpx_eq_u16_e32 0x80, v36
; %bb.10166:                            ;   in Loop: Header=BB6_8078 Depth=3
	s_mov_b32 s17, 0x7f800001
	s_xor_b32 s13, exec_lo, -1
; %bb.10167:                            ;   in Loop: Header=BB6_8078 Depth=3
	s_or_b32 exec_lo, exec_lo, s31
	s_delay_alu instid0(SALU_CYCLE_1)
	s_and_b32 s13, s13, exec_lo
                                        ; implicit-def: $vgpr36
	s_or_saveexec_b32 s30, s30
	v_mov_b32_e32 v27, s17
	s_xor_b32 exec_lo, exec_lo, s30
	s_cbranch_execz .LBB6_8921
.LBB6_10168:                            ;   in Loop: Header=BB6_8078 Depth=3
	v_cmp_ne_u16_e32 vcc_lo, 0, v36
	v_mov_b32_e32 v27, 0
	s_and_not1_b32 s13, s13, exec_lo
	s_and_b32 s17, vcc_lo, exec_lo
	s_delay_alu instid0(SALU_CYCLE_1)
	s_or_b32 s13, s13, s17
	s_or_b32 exec_lo, exec_lo, s30
	s_and_saveexec_b32 s17, s13
	s_cbranch_execnz .LBB6_8922
	s_branch .LBB6_8923
.LBB6_10169:                            ;   in Loop: Header=BB6_8078 Depth=3
	s_mov_b32 s13, -1
	s_mov_b32 s31, exec_lo
                                        ; implicit-def: $sgpr17
	v_cmpx_eq_u16_e32 0x80, v37
; %bb.10170:                            ;   in Loop: Header=BB6_8078 Depth=3
	s_mov_b32 s17, 0x7f800001
	s_xor_b32 s13, exec_lo, -1
; %bb.10171:                            ;   in Loop: Header=BB6_8078 Depth=3
	s_or_b32 exec_lo, exec_lo, s31
	s_delay_alu instid0(SALU_CYCLE_1)
	s_and_b32 s13, s13, exec_lo
                                        ; implicit-def: $vgpr37
	s_or_saveexec_b32 s30, s30
	v_mov_b32_e32 v36, s17
	s_xor_b32 exec_lo, exec_lo, s30
	s_cbranch_execz .LBB6_8925
.LBB6_10172:                            ;   in Loop: Header=BB6_8078 Depth=3
	v_cmp_ne_u16_e32 vcc_lo, 0, v37
	v_mov_b32_e32 v36, 0
	s_and_not1_b32 s13, s13, exec_lo
	s_and_b32 s17, vcc_lo, exec_lo
	s_delay_alu instid0(SALU_CYCLE_1)
	s_or_b32 s13, s13, s17
	s_or_b32 exec_lo, exec_lo, s30
	s_and_saveexec_b32 s17, s13
	s_cbranch_execnz .LBB6_8926
	s_branch .LBB6_8927
.LBB6_10173:                            ;   in Loop: Header=BB6_8078 Depth=3
	s_mov_b32 s13, -1
	s_mov_b32 s31, exec_lo
                                        ; implicit-def: $sgpr17
	v_cmpx_eq_u16_e32 0x80, v36
; %bb.10174:                            ;   in Loop: Header=BB6_8078 Depth=3
	s_mov_b32 s17, 0x7f800001
	s_xor_b32 s13, exec_lo, -1
; %bb.10175:                            ;   in Loop: Header=BB6_8078 Depth=3
	s_or_b32 exec_lo, exec_lo, s31
	s_delay_alu instid0(SALU_CYCLE_1)
	s_and_b32 s13, s13, exec_lo
	s_or_saveexec_b32 s30, s30
	v_mov_b32_e32 v27, s17
	s_xor_b32 exec_lo, exec_lo, s30
	s_cbranch_execz .LBB6_8937
.LBB6_10176:                            ;   in Loop: Header=BB6_8078 Depth=3
	v_cmp_ne_u16_e32 vcc_lo, 0, v36
	v_mov_b32_e32 v27, 0
	s_and_not1_b32 s13, s13, exec_lo
	s_and_b32 s17, vcc_lo, exec_lo
	s_delay_alu instid0(SALU_CYCLE_1)
	s_or_b32 s13, s13, s17
	s_or_b32 exec_lo, exec_lo, s30
	s_and_saveexec_b32 s17, s13
	s_cbranch_execnz .LBB6_8938
	s_branch .LBB6_8939
.LBB6_10177:                            ;   in Loop: Header=BB6_8078 Depth=3
	s_mov_b32 s13, -1
	s_mov_b32 s31, exec_lo
                                        ; implicit-def: $sgpr17
	v_cmpx_eq_u16_e32 0x80, v36
; %bb.10178:                            ;   in Loop: Header=BB6_8078 Depth=3
	s_mov_b32 s17, 0x7f800001
	s_xor_b32 s13, exec_lo, -1
; %bb.10179:                            ;   in Loop: Header=BB6_8078 Depth=3
	s_or_b32 exec_lo, exec_lo, s31
	s_delay_alu instid0(SALU_CYCLE_1)
	s_and_b32 s13, s13, exec_lo
	s_or_saveexec_b32 s30, s30
	v_mov_b32_e32 v37, s17
	s_xor_b32 exec_lo, exec_lo, s30
	s_cbranch_execz .LBB6_8941
.LBB6_10180:                            ;   in Loop: Header=BB6_8078 Depth=3
	v_cmp_ne_u16_e32 vcc_lo, 0, v36
	v_mov_b32_e32 v37, 0
	s_and_not1_b32 s13, s13, exec_lo
	s_and_b32 s17, vcc_lo, exec_lo
	s_delay_alu instid0(SALU_CYCLE_1)
	s_or_b32 s13, s13, s17
	s_or_b32 exec_lo, exec_lo, s30
	s_and_saveexec_b32 s17, s13
	s_cbranch_execnz .LBB6_8942
	s_branch .LBB6_8943
.LBB6_10181:                            ;   in Loop: Header=BB6_8078 Depth=3
	s_mov_b32 s13, -1
	s_mov_b32 s31, exec_lo
                                        ; implicit-def: $sgpr17
	v_cmpx_eq_u16_e32 0x80, v37
; %bb.10182:                            ;   in Loop: Header=BB6_8078 Depth=3
	s_mov_b32 s17, 0x7f800001
	s_xor_b32 s13, exec_lo, -1
; %bb.10183:                            ;   in Loop: Header=BB6_8078 Depth=3
	s_or_b32 exec_lo, exec_lo, s31
	s_delay_alu instid0(SALU_CYCLE_1)
	s_and_b32 s13, s13, exec_lo
                                        ; implicit-def: $vgpr37
	s_or_saveexec_b32 s30, s30
	v_mov_b32_e32 v27, s17
	s_xor_b32 exec_lo, exec_lo, s30
	s_cbranch_execz .LBB6_8953
.LBB6_10184:                            ;   in Loop: Header=BB6_8078 Depth=3
	v_cmp_ne_u16_e32 vcc_lo, 0, v37
	v_mov_b32_e32 v27, 0
	s_and_not1_b32 s13, s13, exec_lo
	s_and_b32 s17, vcc_lo, exec_lo
	s_delay_alu instid0(SALU_CYCLE_1)
	s_or_b32 s13, s13, s17
	s_or_b32 exec_lo, exec_lo, s30
	v_lshl_or_b32 v26, v36, 16, v26
	s_and_saveexec_b32 s17, s13
	s_cbranch_execnz .LBB6_8954
	s_branch .LBB6_8955
.LBB6_10185:                            ;   in Loop: Header=BB6_8078 Depth=3
	s_mov_b32 s13, -1
	s_mov_b32 s31, exec_lo
                                        ; implicit-def: $sgpr17
	v_cmpx_eq_u16_e32 0x80, v38
; %bb.10186:                            ;   in Loop: Header=BB6_8078 Depth=3
	s_mov_b32 s17, 0x7f800001
	s_xor_b32 s13, exec_lo, -1
; %bb.10187:                            ;   in Loop: Header=BB6_8078 Depth=3
	s_or_b32 exec_lo, exec_lo, s31
	s_delay_alu instid0(SALU_CYCLE_1)
	s_and_b32 s13, s13, exec_lo
                                        ; implicit-def: $vgpr38
	s_or_saveexec_b32 s30, s30
	v_mov_b32_e32 v37, s17
	s_xor_b32 exec_lo, exec_lo, s30
	s_cbranch_execz .LBB6_8957
.LBB6_10188:                            ;   in Loop: Header=BB6_8078 Depth=3
	v_cmp_ne_u16_e32 vcc_lo, 0, v38
	v_mov_b32_e32 v37, 0
	s_and_not1_b32 s13, s13, exec_lo
	s_and_b32 s17, vcc_lo, exec_lo
	s_delay_alu instid0(SALU_CYCLE_1)
	s_or_b32 s13, s13, s17
	s_or_b32 exec_lo, exec_lo, s30
	s_and_saveexec_b32 s17, s13
	s_cbranch_execnz .LBB6_8958
	s_branch .LBB6_8959
.LBB6_10189:                            ;   in Loop: Header=BB6_8078 Depth=3
	s_mov_b32 s13, -1
	s_mov_b32 s31, exec_lo
                                        ; implicit-def: $sgpr17
	v_cmpx_eq_u16_e32 0x80, v36
; %bb.10190:                            ;   in Loop: Header=BB6_8078 Depth=3
	s_mov_b32 s17, 0x7f800001
	s_xor_b32 s13, exec_lo, -1
; %bb.10191:                            ;   in Loop: Header=BB6_8078 Depth=3
	s_or_b32 exec_lo, exec_lo, s31
	s_delay_alu instid0(SALU_CYCLE_1)
	s_and_b32 s13, s13, exec_lo
	s_or_saveexec_b32 s30, s30
	v_mov_b32_e32 v27, s17
	s_xor_b32 exec_lo, exec_lo, s30
	s_cbranch_execz .LBB6_8969
.LBB6_10192:                            ;   in Loop: Header=BB6_8078 Depth=3
	v_cmp_ne_u16_e32 vcc_lo, 0, v36
	v_mov_b32_e32 v27, 0
	s_and_not1_b32 s13, s13, exec_lo
	s_and_b32 s17, vcc_lo, exec_lo
	s_delay_alu instid0(SALU_CYCLE_1)
	s_or_b32 s13, s13, s17
	s_or_b32 exec_lo, exec_lo, s30
	s_and_saveexec_b32 s17, s13
	s_cbranch_execnz .LBB6_8970
	s_branch .LBB6_8971
.LBB6_10193:                            ;   in Loop: Header=BB6_8078 Depth=3
	s_mov_b32 s13, -1
	s_mov_b32 s31, exec_lo
                                        ; implicit-def: $sgpr17
	v_cmpx_eq_u16_e32 0x80, v26
; %bb.10194:                            ;   in Loop: Header=BB6_8078 Depth=3
	s_mov_b32 s17, 0x7f800001
	s_xor_b32 s13, exec_lo, -1
; %bb.10195:                            ;   in Loop: Header=BB6_8078 Depth=3
	s_or_b32 exec_lo, exec_lo, s31
	s_delay_alu instid0(SALU_CYCLE_1)
	s_and_b32 s13, s13, exec_lo
	s_or_saveexec_b32 s30, s30
	v_mov_b32_e32 v36, s17
	s_xor_b32 exec_lo, exec_lo, s30
	s_cbranch_execz .LBB6_8973
.LBB6_10196:                            ;   in Loop: Header=BB6_8078 Depth=3
	v_cmp_ne_u16_e32 vcc_lo, 0, v26
	v_mov_b32_e32 v36, 0
	s_and_not1_b32 s13, s13, exec_lo
	s_and_b32 s17, vcc_lo, exec_lo
	s_delay_alu instid0(SALU_CYCLE_1)
	s_or_b32 s13, s13, s17
	s_or_b32 exec_lo, exec_lo, s30
	s_and_saveexec_b32 s17, s13
	s_cbranch_execnz .LBB6_8974
	s_branch .LBB6_8975
.LBB6_10197:                            ;   in Loop: Header=BB6_8078 Depth=3
	s_mov_b32 s13, -1
	s_mov_b32 s31, exec_lo
                                        ; implicit-def: $sgpr17
	v_cmpx_eq_u16_e32 0x80, v27
; %bb.10198:                            ;   in Loop: Header=BB6_8078 Depth=3
	s_mov_b32 s17, 0x7f800001
	s_xor_b32 s13, exec_lo, -1
; %bb.10199:                            ;   in Loop: Header=BB6_8078 Depth=3
	s_or_b32 exec_lo, exec_lo, s31
	s_delay_alu instid0(SALU_CYCLE_1)
	s_and_b32 s13, s13, exec_lo
                                        ; implicit-def: $vgpr27
	s_or_saveexec_b32 s30, s30
	v_mov_b32_e32 v26, s17
	s_xor_b32 exec_lo, exec_lo, s30
	s_cbranch_execz .LBB6_8985
.LBB6_10200:                            ;   in Loop: Header=BB6_8078 Depth=3
	v_cmp_ne_u16_e32 vcc_lo, 0, v27
	v_mov_b32_e32 v26, 0
	s_and_not1_b32 s13, s13, exec_lo
	s_and_b32 s17, vcc_lo, exec_lo
	s_delay_alu instid0(SALU_CYCLE_1)
	s_or_b32 s13, s13, s17
	s_or_b32 exec_lo, exec_lo, s30
	s_and_saveexec_b32 s17, s13
	s_cbranch_execnz .LBB6_8986
	s_branch .LBB6_8987
.LBB6_10201:                            ;   in Loop: Header=BB6_8078 Depth=3
	s_mov_b32 s13, -1
	s_mov_b32 s31, exec_lo
                                        ; implicit-def: $sgpr17
	v_cmpx_eq_u16_e32 0x80, v36
; %bb.10202:                            ;   in Loop: Header=BB6_8078 Depth=3
	s_mov_b32 s17, 0x7f800001
	s_xor_b32 s13, exec_lo, -1
; %bb.10203:                            ;   in Loop: Header=BB6_8078 Depth=3
	s_or_b32 exec_lo, exec_lo, s31
	s_delay_alu instid0(SALU_CYCLE_1)
	s_and_b32 s13, s13, exec_lo
                                        ; implicit-def: $vgpr36
	s_or_saveexec_b32 s30, s30
	v_mov_b32_e32 v27, s17
	s_xor_b32 exec_lo, exec_lo, s30
	s_cbranch_execz .LBB6_8989
.LBB6_10204:                            ;   in Loop: Header=BB6_8078 Depth=3
	v_cmp_ne_u16_e32 vcc_lo, 0, v36
	v_mov_b32_e32 v27, 0
	s_and_not1_b32 s13, s13, exec_lo
	s_and_b32 s17, vcc_lo, exec_lo
	s_delay_alu instid0(SALU_CYCLE_1)
	s_or_b32 s13, s13, s17
	s_or_b32 exec_lo, exec_lo, s30
	s_and_saveexec_b32 s17, s13
	s_cbranch_execnz .LBB6_8990
	s_branch .LBB6_8991
.LBB6_10205:                            ;   in Loop: Header=BB6_8078 Depth=3
	s_mov_b32 s13, -1
	s_mov_b32 s31, exec_lo
                                        ; implicit-def: $sgpr17
	v_cmpx_eq_u16_e32 0x80, v27
; %bb.10206:                            ;   in Loop: Header=BB6_8078 Depth=3
	s_mov_b32 s17, 0x7f800001
	s_xor_b32 s13, exec_lo, -1
; %bb.10207:                            ;   in Loop: Header=BB6_8078 Depth=3
	s_or_b32 exec_lo, exec_lo, s31
	s_delay_alu instid0(SALU_CYCLE_1)
	s_and_b32 s13, s13, exec_lo
                                        ; implicit-def: $vgpr27
	s_or_saveexec_b32 s30, s30
	v_mov_b32_e32 v26, s17
	s_xor_b32 exec_lo, exec_lo, s30
	s_cbranch_execz .LBB6_9001
.LBB6_10208:                            ;   in Loop: Header=BB6_8078 Depth=3
	v_cmp_ne_u16_e32 vcc_lo, 0, v27
	v_mov_b32_e32 v26, 0
	s_and_not1_b32 s13, s13, exec_lo
	s_and_b32 s17, vcc_lo, exec_lo
	s_delay_alu instid0(SALU_CYCLE_1)
	s_or_b32 s13, s13, s17
	s_or_b32 exec_lo, exec_lo, s30
	s_and_saveexec_b32 s17, s13
	s_cbranch_execnz .LBB6_9002
	s_branch .LBB6_9003
.LBB6_10209:                            ;   in Loop: Header=BB6_8078 Depth=3
	s_mov_b32 s13, -1
	s_mov_b32 s31, exec_lo
                                        ; implicit-def: $sgpr17
	v_cmpx_eq_u16_e32 0x80, v27
; %bb.10210:                            ;   in Loop: Header=BB6_8078 Depth=3
	s_mov_b32 s17, 0x7f800001
	s_xor_b32 s13, exec_lo, -1
; %bb.10211:                            ;   in Loop: Header=BB6_8078 Depth=3
	s_or_b32 exec_lo, exec_lo, s31
	s_delay_alu instid0(SALU_CYCLE_1)
	s_and_b32 s13, s13, exec_lo
	s_or_saveexec_b32 s30, s30
	v_mov_b32_e32 v36, s17
	s_xor_b32 exec_lo, exec_lo, s30
	s_cbranch_execz .LBB6_9005
.LBB6_10212:                            ;   in Loop: Header=BB6_8078 Depth=3
	v_cmp_ne_u16_e32 vcc_lo, 0, v27
	v_mov_b32_e32 v36, 0
	s_and_not1_b32 s13, s13, exec_lo
	s_and_b32 s17, vcc_lo, exec_lo
	s_delay_alu instid0(SALU_CYCLE_1)
	s_or_b32 s13, s13, s17
	s_or_b32 exec_lo, exec_lo, s30
	s_and_saveexec_b32 s17, s13
	s_cbranch_execnz .LBB6_9006
	s_branch .LBB6_9007
.LBB6_10213:                            ;   in Loop: Header=BB6_8078 Depth=3
	s_mov_b32 s13, -1
	s_mov_b32 s31, exec_lo
                                        ; implicit-def: $sgpr17
	v_cmpx_eq_u16_e32 0x80, v27
; %bb.10214:                            ;   in Loop: Header=BB6_8078 Depth=3
	s_mov_b32 s17, 0x7f800001
	s_xor_b32 s13, exec_lo, -1
; %bb.10215:                            ;   in Loop: Header=BB6_8078 Depth=3
	s_or_b32 exec_lo, exec_lo, s31
	s_delay_alu instid0(SALU_CYCLE_1)
	s_and_b32 s13, s13, exec_lo
                                        ; implicit-def: $vgpr27
	s_or_saveexec_b32 s30, s30
	v_mov_b32_e32 v26, s17
	s_xor_b32 exec_lo, exec_lo, s30
	s_cbranch_execz .LBB6_9017
.LBB6_10216:                            ;   in Loop: Header=BB6_8078 Depth=3
	v_cmp_ne_u16_e32 vcc_lo, 0, v27
	v_mov_b32_e32 v26, 0
	s_and_not1_b32 s13, s13, exec_lo
	s_and_b32 s17, vcc_lo, exec_lo
	s_delay_alu instid0(SALU_CYCLE_1)
	s_or_b32 s13, s13, s17
	s_or_b32 exec_lo, exec_lo, s30
	s_and_saveexec_b32 s17, s13
	s_cbranch_execnz .LBB6_9018
	s_branch .LBB6_9019
.LBB6_10217:                            ;   in Loop: Header=BB6_8078 Depth=3
	s_mov_b32 s13, -1
	s_mov_b32 s31, exec_lo
                                        ; implicit-def: $sgpr17
	v_cmpx_eq_u16_e32 0x80, v37
; %bb.10218:                            ;   in Loop: Header=BB6_8078 Depth=3
	s_mov_b32 s17, 0x7f800001
	s_xor_b32 s13, exec_lo, -1
; %bb.10219:                            ;   in Loop: Header=BB6_8078 Depth=3
	s_or_b32 exec_lo, exec_lo, s31
	s_delay_alu instid0(SALU_CYCLE_1)
	s_and_b32 s13, s13, exec_lo
                                        ; implicit-def: $vgpr37
	s_or_saveexec_b32 s30, s30
	v_mov_b32_e32 v36, s17
	s_xor_b32 exec_lo, exec_lo, s30
	s_cbranch_execz .LBB6_9021
.LBB6_10220:                            ;   in Loop: Header=BB6_8078 Depth=3
	v_cmp_ne_u16_e32 vcc_lo, 0, v37
	v_mov_b32_e32 v36, 0
	s_and_not1_b32 s13, s13, exec_lo
	s_and_b32 s17, vcc_lo, exec_lo
	s_delay_alu instid0(SALU_CYCLE_1)
	s_or_b32 s13, s13, s17
	s_or_b32 exec_lo, exec_lo, s30
	s_and_saveexec_b32 s17, s13
	s_cbranch_execnz .LBB6_9022
	s_branch .LBB6_9023
.LBB6_10221:                            ;   in Loop: Header=BB6_8078 Depth=3
	s_mov_b32 s13, -1
	s_mov_b32 s31, exec_lo
                                        ; implicit-def: $sgpr17
	v_cmpx_eq_u16_e32 0x80, v27
; %bb.10222:                            ;   in Loop: Header=BB6_8078 Depth=3
	s_mov_b32 s17, 0x7f800001
	s_xor_b32 s13, exec_lo, -1
; %bb.10223:                            ;   in Loop: Header=BB6_8078 Depth=3
	s_or_b32 exec_lo, exec_lo, s31
	s_delay_alu instid0(SALU_CYCLE_1)
	s_and_b32 s13, s13, exec_lo
	s_or_saveexec_b32 s30, s30
	v_mov_b32_e32 v26, s17
	s_xor_b32 exec_lo, exec_lo, s30
	s_cbranch_execz .LBB6_9033
.LBB6_10224:                            ;   in Loop: Header=BB6_8078 Depth=3
	v_cmp_ne_u16_e32 vcc_lo, 0, v27
	v_mov_b32_e32 v26, 0
	s_and_not1_b32 s13, s13, exec_lo
	s_and_b32 s17, vcc_lo, exec_lo
	s_delay_alu instid0(SALU_CYCLE_1)
	s_or_b32 s13, s13, s17
	s_or_b32 exec_lo, exec_lo, s30
	s_and_saveexec_b32 s17, s13
	s_cbranch_execnz .LBB6_9034
	s_branch .LBB6_9035
.LBB6_10225:                            ;   in Loop: Header=BB6_8078 Depth=3
	s_mov_b32 s13, -1
	s_mov_b32 s31, exec_lo
                                        ; implicit-def: $sgpr17
	v_cmpx_eq_u16_e32 0x80, v27
; %bb.10226:                            ;   in Loop: Header=BB6_8078 Depth=3
	s_mov_b32 s17, 0x7f800001
	s_xor_b32 s13, exec_lo, -1
; %bb.10227:                            ;   in Loop: Header=BB6_8078 Depth=3
	s_or_b32 exec_lo, exec_lo, s31
	s_delay_alu instid0(SALU_CYCLE_1)
	s_and_b32 s13, s13, exec_lo
	s_or_saveexec_b32 s30, s30
	v_mov_b32_e32 v36, s17
	s_xor_b32 exec_lo, exec_lo, s30
	s_cbranch_execz .LBB6_9037
.LBB6_10228:                            ;   in Loop: Header=BB6_8078 Depth=3
	v_cmp_ne_u16_e32 vcc_lo, 0, v27
	v_mov_b32_e32 v36, 0
	s_and_not1_b32 s13, s13, exec_lo
	s_and_b32 s17, vcc_lo, exec_lo
	s_delay_alu instid0(SALU_CYCLE_1)
	s_or_b32 s13, s13, s17
	s_or_b32 exec_lo, exec_lo, s30
	s_and_saveexec_b32 s17, s13
	s_cbranch_execnz .LBB6_9038
	s_branch .LBB6_9039
.LBB6_10229:                            ;   in Loop: Header=BB6_8078 Depth=3
	s_mov_b32 s13, -1
	s_mov_b32 s31, exec_lo
                                        ; implicit-def: $sgpr17
	v_cmpx_eq_u16_e32 0x80, v36
; %bb.10230:                            ;   in Loop: Header=BB6_8078 Depth=3
	s_mov_b32 s17, 0x7f800001
	s_xor_b32 s13, exec_lo, -1
; %bb.10231:                            ;   in Loop: Header=BB6_8078 Depth=3
	s_or_b32 exec_lo, exec_lo, s31
	s_delay_alu instid0(SALU_CYCLE_1)
	s_and_b32 s13, s13, exec_lo
                                        ; implicit-def: $vgpr36
	s_or_saveexec_b32 s30, s30
	v_mov_b32_e32 v27, s17
	s_xor_b32 exec_lo, exec_lo, s30
	s_cbranch_execz .LBB6_9049
.LBB6_10232:                            ;   in Loop: Header=BB6_8078 Depth=3
	v_cmp_ne_u16_e32 vcc_lo, 0, v36
	v_mov_b32_e32 v27, 0
	s_and_not1_b32 s13, s13, exec_lo
	s_and_b32 s17, vcc_lo, exec_lo
	s_delay_alu instid0(SALU_CYCLE_1)
	s_or_b32 s13, s13, s17
	s_or_b32 exec_lo, exec_lo, s30
	s_and_saveexec_b32 s17, s13
	s_cbranch_execnz .LBB6_9050
	s_branch .LBB6_9051
.LBB6_10233:                            ;   in Loop: Header=BB6_8078 Depth=3
	s_mov_b32 s13, -1
	s_mov_b32 s31, exec_lo
                                        ; implicit-def: $sgpr17
	v_cmpx_eq_u16_e32 0x80, v37
; %bb.10234:                            ;   in Loop: Header=BB6_8078 Depth=3
	s_mov_b32 s17, 0x7f800001
	s_xor_b32 s13, exec_lo, -1
; %bb.10235:                            ;   in Loop: Header=BB6_8078 Depth=3
	s_or_b32 exec_lo, exec_lo, s31
	s_delay_alu instid0(SALU_CYCLE_1)
	s_and_b32 s13, s13, exec_lo
                                        ; implicit-def: $vgpr37
	s_or_saveexec_b32 s30, s30
	v_mov_b32_e32 v36, s17
	s_xor_b32 exec_lo, exec_lo, s30
	s_cbranch_execz .LBB6_9053
.LBB6_10236:                            ;   in Loop: Header=BB6_8078 Depth=3
	v_cmp_ne_u16_e32 vcc_lo, 0, v37
	v_mov_b32_e32 v36, 0
	s_and_not1_b32 s13, s13, exec_lo
	s_and_b32 s17, vcc_lo, exec_lo
	s_delay_alu instid0(SALU_CYCLE_1)
	s_or_b32 s13, s13, s17
	s_or_b32 exec_lo, exec_lo, s30
	s_and_saveexec_b32 s17, s13
	s_cbranch_execnz .LBB6_9054
	s_branch .LBB6_9055
.LBB6_10237:                            ;   in Loop: Header=BB6_8078 Depth=3
	s_mov_b32 s13, -1
	s_mov_b32 s31, exec_lo
                                        ; implicit-def: $sgpr17
	v_cmpx_eq_u16_e32 0x80, v36
; %bb.10238:                            ;   in Loop: Header=BB6_8078 Depth=3
	s_mov_b32 s17, 0x7f800001
	s_xor_b32 s13, exec_lo, -1
; %bb.10239:                            ;   in Loop: Header=BB6_8078 Depth=3
	s_or_b32 exec_lo, exec_lo, s31
	s_delay_alu instid0(SALU_CYCLE_1)
	s_and_b32 s13, s13, exec_lo
	s_or_saveexec_b32 s30, s30
	v_mov_b32_e32 v27, s17
	s_xor_b32 exec_lo, exec_lo, s30
	s_cbranch_execz .LBB6_9065
.LBB6_10240:                            ;   in Loop: Header=BB6_8078 Depth=3
	v_cmp_ne_u16_e32 vcc_lo, 0, v36
	v_mov_b32_e32 v27, 0
	s_and_not1_b32 s13, s13, exec_lo
	s_and_b32 s17, vcc_lo, exec_lo
	s_delay_alu instid0(SALU_CYCLE_1)
	s_or_b32 s13, s13, s17
	s_or_b32 exec_lo, exec_lo, s30
	s_and_saveexec_b32 s17, s13
	s_cbranch_execnz .LBB6_9066
	s_branch .LBB6_9067
.LBB6_10241:                            ;   in Loop: Header=BB6_8078 Depth=3
	s_mov_b32 s13, -1
	s_mov_b32 s31, exec_lo
                                        ; implicit-def: $sgpr17
	v_cmpx_eq_u16_e32 0x80, v36
; %bb.10242:                            ;   in Loop: Header=BB6_8078 Depth=3
	s_mov_b32 s17, 0x7f800001
	s_xor_b32 s13, exec_lo, -1
; %bb.10243:                            ;   in Loop: Header=BB6_8078 Depth=3
	s_or_b32 exec_lo, exec_lo, s31
	s_delay_alu instid0(SALU_CYCLE_1)
	s_and_b32 s13, s13, exec_lo
	s_or_saveexec_b32 s30, s30
	v_mov_b32_e32 v37, s17
	s_xor_b32 exec_lo, exec_lo, s30
	s_cbranch_execz .LBB6_9069
.LBB6_10244:                            ;   in Loop: Header=BB6_8078 Depth=3
	v_cmp_ne_u16_e32 vcc_lo, 0, v36
	v_mov_b32_e32 v37, 0
	s_and_not1_b32 s13, s13, exec_lo
	s_and_b32 s17, vcc_lo, exec_lo
	s_delay_alu instid0(SALU_CYCLE_1)
	s_or_b32 s13, s13, s17
	s_or_b32 exec_lo, exec_lo, s30
	s_and_saveexec_b32 s17, s13
	s_cbranch_execnz .LBB6_9070
	s_branch .LBB6_9071
.LBB6_10245:                            ;   in Loop: Header=BB6_8078 Depth=3
	s_mov_b32 s13, -1
	s_mov_b32 s31, exec_lo
                                        ; implicit-def: $sgpr17
	v_cmpx_eq_u16_e32 0x80, v37
; %bb.10246:                            ;   in Loop: Header=BB6_8078 Depth=3
	s_mov_b32 s17, 0x7f800001
	s_xor_b32 s13, exec_lo, -1
; %bb.10247:                            ;   in Loop: Header=BB6_8078 Depth=3
	s_or_b32 exec_lo, exec_lo, s31
	s_delay_alu instid0(SALU_CYCLE_1)
	s_and_b32 s13, s13, exec_lo
                                        ; implicit-def: $vgpr37
	s_or_saveexec_b32 s30, s30
	v_mov_b32_e32 v27, s17
	s_xor_b32 exec_lo, exec_lo, s30
	s_cbranch_execz .LBB6_9081
.LBB6_10248:                            ;   in Loop: Header=BB6_8078 Depth=3
	v_cmp_ne_u16_e32 vcc_lo, 0, v37
	v_mov_b32_e32 v27, 0
	s_and_not1_b32 s13, s13, exec_lo
	s_and_b32 s17, vcc_lo, exec_lo
	s_delay_alu instid0(SALU_CYCLE_1)
	s_or_b32 s13, s13, s17
	s_or_b32 exec_lo, exec_lo, s30
	v_lshl_or_b32 v26, v36, 16, v26
	s_and_saveexec_b32 s17, s13
	s_cbranch_execnz .LBB6_9082
	s_branch .LBB6_9083
.LBB6_10249:                            ;   in Loop: Header=BB6_8078 Depth=3
	s_mov_b32 s13, -1
	s_mov_b32 s31, exec_lo
                                        ; implicit-def: $sgpr17
	v_cmpx_eq_u16_e32 0x80, v38
; %bb.10250:                            ;   in Loop: Header=BB6_8078 Depth=3
	s_mov_b32 s17, 0x7f800001
	s_xor_b32 s13, exec_lo, -1
; %bb.10251:                            ;   in Loop: Header=BB6_8078 Depth=3
	s_or_b32 exec_lo, exec_lo, s31
	s_delay_alu instid0(SALU_CYCLE_1)
	s_and_b32 s13, s13, exec_lo
                                        ; implicit-def: $vgpr38
	s_or_saveexec_b32 s30, s30
	v_mov_b32_e32 v37, s17
	s_xor_b32 exec_lo, exec_lo, s30
	s_cbranch_execz .LBB6_9085
.LBB6_10252:                            ;   in Loop: Header=BB6_8078 Depth=3
	v_cmp_ne_u16_e32 vcc_lo, 0, v38
	v_mov_b32_e32 v37, 0
	s_and_not1_b32 s13, s13, exec_lo
	s_and_b32 s17, vcc_lo, exec_lo
	s_delay_alu instid0(SALU_CYCLE_1)
	s_or_b32 s13, s13, s17
	s_or_b32 exec_lo, exec_lo, s30
	s_and_saveexec_b32 s17, s13
	s_cbranch_execnz .LBB6_9086
	s_branch .LBB6_9087
.LBB6_10253:                            ;   in Loop: Header=BB6_8078 Depth=3
	s_mov_b32 s13, -1
	s_mov_b32 s31, exec_lo
                                        ; implicit-def: $sgpr17
	v_cmpx_eq_u16_e32 0x80, v36
; %bb.10254:                            ;   in Loop: Header=BB6_8078 Depth=3
	s_mov_b32 s17, 0x7f800001
	s_xor_b32 s13, exec_lo, -1
; %bb.10255:                            ;   in Loop: Header=BB6_8078 Depth=3
	s_or_b32 exec_lo, exec_lo, s31
	s_delay_alu instid0(SALU_CYCLE_1)
	s_and_b32 s13, s13, exec_lo
	s_or_saveexec_b32 s30, s30
	v_mov_b32_e32 v27, s17
	s_xor_b32 exec_lo, exec_lo, s30
	s_cbranch_execz .LBB6_9097
.LBB6_10256:                            ;   in Loop: Header=BB6_8078 Depth=3
	v_cmp_ne_u16_e32 vcc_lo, 0, v36
	v_mov_b32_e32 v27, 0
	s_and_not1_b32 s13, s13, exec_lo
	s_and_b32 s17, vcc_lo, exec_lo
	s_delay_alu instid0(SALU_CYCLE_1)
	s_or_b32 s13, s13, s17
	s_or_b32 exec_lo, exec_lo, s30
	s_and_saveexec_b32 s17, s13
	s_cbranch_execnz .LBB6_9098
	s_branch .LBB6_9099
.LBB6_10257:                            ;   in Loop: Header=BB6_8078 Depth=3
	s_mov_b32 s13, -1
	s_mov_b32 s31, exec_lo
                                        ; implicit-def: $sgpr17
	v_cmpx_eq_u16_e32 0x80, v26
; %bb.10258:                            ;   in Loop: Header=BB6_8078 Depth=3
	s_mov_b32 s17, 0x7f800001
	s_xor_b32 s13, exec_lo, -1
; %bb.10259:                            ;   in Loop: Header=BB6_8078 Depth=3
	s_or_b32 exec_lo, exec_lo, s31
	s_delay_alu instid0(SALU_CYCLE_1)
	s_and_b32 s13, s13, exec_lo
	s_or_saveexec_b32 s30, s30
	v_mov_b32_e32 v36, s17
	s_xor_b32 exec_lo, exec_lo, s30
	s_cbranch_execz .LBB6_9101
.LBB6_10260:                            ;   in Loop: Header=BB6_8078 Depth=3
	v_cmp_ne_u16_e32 vcc_lo, 0, v26
	v_mov_b32_e32 v36, 0
	s_and_not1_b32 s13, s13, exec_lo
	s_and_b32 s17, vcc_lo, exec_lo
	s_delay_alu instid0(SALU_CYCLE_1)
	s_or_b32 s13, s13, s17
	s_or_b32 exec_lo, exec_lo, s30
	s_and_saveexec_b32 s17, s13
	s_cbranch_execnz .LBB6_9102
	s_branch .LBB6_9103
.LBB6_10261:                            ;   in Loop: Header=BB6_8078 Depth=3
	s_mov_b32 s13, -1
	s_mov_b32 s31, exec_lo
                                        ; implicit-def: $sgpr17
	v_cmpx_eq_u16_e32 0x80, v27
; %bb.10262:                            ;   in Loop: Header=BB6_8078 Depth=3
	s_mov_b32 s17, 0x7f800001
	s_xor_b32 s13, exec_lo, -1
; %bb.10263:                            ;   in Loop: Header=BB6_8078 Depth=3
	s_or_b32 exec_lo, exec_lo, s31
	s_delay_alu instid0(SALU_CYCLE_1)
	s_and_b32 s13, s13, exec_lo
                                        ; implicit-def: $vgpr27
	s_or_saveexec_b32 s30, s30
	v_mov_b32_e32 v26, s17
	s_xor_b32 exec_lo, exec_lo, s30
	s_cbranch_execz .LBB6_9113
.LBB6_10264:                            ;   in Loop: Header=BB6_8078 Depth=3
	v_cmp_ne_u16_e32 vcc_lo, 0, v27
	v_mov_b32_e32 v26, 0
	s_and_not1_b32 s13, s13, exec_lo
	s_and_b32 s17, vcc_lo, exec_lo
	s_delay_alu instid0(SALU_CYCLE_1)
	s_or_b32 s13, s13, s17
	s_or_b32 exec_lo, exec_lo, s30
	s_and_saveexec_b32 s17, s13
	s_cbranch_execnz .LBB6_9114
	s_branch .LBB6_9115
.LBB6_10265:                            ;   in Loop: Header=BB6_8078 Depth=3
	s_mov_b32 s13, -1
	s_mov_b32 s31, exec_lo
                                        ; implicit-def: $sgpr17
	v_cmpx_eq_u16_e32 0x80, v36
; %bb.10266:                            ;   in Loop: Header=BB6_8078 Depth=3
	s_mov_b32 s17, 0x7f800001
	s_xor_b32 s13, exec_lo, -1
; %bb.10267:                            ;   in Loop: Header=BB6_8078 Depth=3
	s_or_b32 exec_lo, exec_lo, s31
	s_delay_alu instid0(SALU_CYCLE_1)
	s_and_b32 s13, s13, exec_lo
                                        ; implicit-def: $vgpr36
	s_or_saveexec_b32 s30, s30
	v_mov_b32_e32 v27, s17
	s_xor_b32 exec_lo, exec_lo, s30
	s_cbranch_execz .LBB6_9117
.LBB6_10268:                            ;   in Loop: Header=BB6_8078 Depth=3
	v_cmp_ne_u16_e32 vcc_lo, 0, v36
	v_mov_b32_e32 v27, 0
	s_and_not1_b32 s13, s13, exec_lo
	s_and_b32 s17, vcc_lo, exec_lo
	s_delay_alu instid0(SALU_CYCLE_1)
	s_or_b32 s13, s13, s17
	s_or_b32 exec_lo, exec_lo, s30
	s_and_saveexec_b32 s17, s13
	s_cbranch_execnz .LBB6_9118
	s_branch .LBB6_9119
.LBB6_10269:                            ;   in Loop: Header=BB6_8078 Depth=3
	s_mov_b32 s13, -1
	s_mov_b32 s31, exec_lo
                                        ; implicit-def: $sgpr17
	v_cmpx_eq_u16_e32 0x80, v27
; %bb.10270:                            ;   in Loop: Header=BB6_8078 Depth=3
	s_mov_b32 s17, 0x7f800001
	s_xor_b32 s13, exec_lo, -1
; %bb.10271:                            ;   in Loop: Header=BB6_8078 Depth=3
	s_or_b32 exec_lo, exec_lo, s31
	s_delay_alu instid0(SALU_CYCLE_1)
	s_and_b32 s13, s13, exec_lo
                                        ; implicit-def: $vgpr27
	s_or_saveexec_b32 s30, s30
	v_mov_b32_e32 v26, s17
	s_xor_b32 exec_lo, exec_lo, s30
	s_cbranch_execz .LBB6_9129
.LBB6_10272:                            ;   in Loop: Header=BB6_8078 Depth=3
	v_cmp_ne_u16_e32 vcc_lo, 0, v27
	v_mov_b32_e32 v26, 0
	s_and_not1_b32 s13, s13, exec_lo
	s_and_b32 s17, vcc_lo, exec_lo
	s_delay_alu instid0(SALU_CYCLE_1)
	s_or_b32 s13, s13, s17
	s_or_b32 exec_lo, exec_lo, s30
	s_and_saveexec_b32 s17, s13
	s_cbranch_execnz .LBB6_9130
	s_branch .LBB6_9131
.LBB6_10273:                            ;   in Loop: Header=BB6_8078 Depth=3
	s_mov_b32 s13, -1
	s_mov_b32 s31, exec_lo
                                        ; implicit-def: $sgpr17
	v_cmpx_eq_u16_e32 0x80, v27
; %bb.10274:                            ;   in Loop: Header=BB6_8078 Depth=3
	s_mov_b32 s17, 0x7f800001
	s_xor_b32 s13, exec_lo, -1
; %bb.10275:                            ;   in Loop: Header=BB6_8078 Depth=3
	s_or_b32 exec_lo, exec_lo, s31
	s_delay_alu instid0(SALU_CYCLE_1)
	s_and_b32 s13, s13, exec_lo
	s_or_saveexec_b32 s30, s30
	v_mov_b32_e32 v36, s17
	s_xor_b32 exec_lo, exec_lo, s30
	s_cbranch_execz .LBB6_9133
.LBB6_10276:                            ;   in Loop: Header=BB6_8078 Depth=3
	v_cmp_ne_u16_e32 vcc_lo, 0, v27
	v_mov_b32_e32 v36, 0
	s_and_not1_b32 s13, s13, exec_lo
	s_and_b32 s17, vcc_lo, exec_lo
	s_delay_alu instid0(SALU_CYCLE_1)
	s_or_b32 s13, s13, s17
	s_or_b32 exec_lo, exec_lo, s30
	s_and_saveexec_b32 s17, s13
	s_cbranch_execnz .LBB6_9134
	s_branch .LBB6_9135
.LBB6_10277:                            ;   in Loop: Header=BB6_8078 Depth=3
	s_mov_b32 s13, -1
	s_mov_b32 s31, exec_lo
                                        ; implicit-def: $sgpr17
	v_cmpx_eq_u16_e32 0x80, v27
; %bb.10278:                            ;   in Loop: Header=BB6_8078 Depth=3
	s_mov_b32 s17, 0x7f800001
	s_xor_b32 s13, exec_lo, -1
; %bb.10279:                            ;   in Loop: Header=BB6_8078 Depth=3
	s_or_b32 exec_lo, exec_lo, s31
	s_delay_alu instid0(SALU_CYCLE_1)
	s_and_b32 s13, s13, exec_lo
                                        ; implicit-def: $vgpr27
	s_or_saveexec_b32 s30, s30
	v_mov_b32_e32 v26, s17
	s_xor_b32 exec_lo, exec_lo, s30
	s_cbranch_execz .LBB6_9145
.LBB6_10280:                            ;   in Loop: Header=BB6_8078 Depth=3
	v_cmp_ne_u16_e32 vcc_lo, 0, v27
	v_mov_b32_e32 v26, 0
	s_and_not1_b32 s13, s13, exec_lo
	s_and_b32 s17, vcc_lo, exec_lo
	s_delay_alu instid0(SALU_CYCLE_1)
	s_or_b32 s13, s13, s17
	s_or_b32 exec_lo, exec_lo, s30
	s_and_saveexec_b32 s17, s13
	s_cbranch_execnz .LBB6_9146
	s_branch .LBB6_9147
.LBB6_10281:                            ;   in Loop: Header=BB6_8078 Depth=3
	s_mov_b32 s13, -1
	s_mov_b32 s31, exec_lo
                                        ; implicit-def: $sgpr17
	v_cmpx_eq_u16_e32 0x80, v37
; %bb.10282:                            ;   in Loop: Header=BB6_8078 Depth=3
	s_mov_b32 s17, 0x7f800001
	s_xor_b32 s13, exec_lo, -1
; %bb.10283:                            ;   in Loop: Header=BB6_8078 Depth=3
	s_or_b32 exec_lo, exec_lo, s31
	s_delay_alu instid0(SALU_CYCLE_1)
	s_and_b32 s13, s13, exec_lo
                                        ; implicit-def: $vgpr37
	s_or_saveexec_b32 s30, s30
	v_mov_b32_e32 v36, s17
	s_xor_b32 exec_lo, exec_lo, s30
	s_cbranch_execz .LBB6_9149
.LBB6_10284:                            ;   in Loop: Header=BB6_8078 Depth=3
	v_cmp_ne_u16_e32 vcc_lo, 0, v37
	v_mov_b32_e32 v36, 0
	s_and_not1_b32 s13, s13, exec_lo
	s_and_b32 s17, vcc_lo, exec_lo
	s_delay_alu instid0(SALU_CYCLE_1)
	s_or_b32 s13, s13, s17
	s_or_b32 exec_lo, exec_lo, s30
	s_and_saveexec_b32 s17, s13
	s_cbranch_execnz .LBB6_9150
	s_branch .LBB6_9151
.LBB6_10285:                            ;   in Loop: Header=BB6_8078 Depth=3
	s_mov_b32 s13, -1
	s_mov_b32 s31, exec_lo
                                        ; implicit-def: $sgpr17
	v_cmpx_eq_u16_e32 0x80, v27
; %bb.10286:                            ;   in Loop: Header=BB6_8078 Depth=3
	s_mov_b32 s17, 0x7f800001
	s_xor_b32 s13, exec_lo, -1
; %bb.10287:                            ;   in Loop: Header=BB6_8078 Depth=3
	s_or_b32 exec_lo, exec_lo, s31
	s_delay_alu instid0(SALU_CYCLE_1)
	s_and_b32 s13, s13, exec_lo
	s_or_saveexec_b32 s30, s30
	v_mov_b32_e32 v26, s17
	s_xor_b32 exec_lo, exec_lo, s30
	s_cbranch_execz .LBB6_9161
.LBB6_10288:                            ;   in Loop: Header=BB6_8078 Depth=3
	v_cmp_ne_u16_e32 vcc_lo, 0, v27
	v_mov_b32_e32 v26, 0
	s_and_not1_b32 s13, s13, exec_lo
	s_and_b32 s17, vcc_lo, exec_lo
	s_delay_alu instid0(SALU_CYCLE_1)
	s_or_b32 s13, s13, s17
	s_or_b32 exec_lo, exec_lo, s30
	s_and_saveexec_b32 s17, s13
	s_cbranch_execnz .LBB6_9162
	s_branch .LBB6_9163
.LBB6_10289:                            ;   in Loop: Header=BB6_8078 Depth=3
	s_mov_b32 s13, -1
	s_mov_b32 s31, exec_lo
                                        ; implicit-def: $sgpr17
	v_cmpx_eq_u16_e32 0x80, v27
; %bb.10290:                            ;   in Loop: Header=BB6_8078 Depth=3
	s_mov_b32 s17, 0x7f800001
	s_xor_b32 s13, exec_lo, -1
; %bb.10291:                            ;   in Loop: Header=BB6_8078 Depth=3
	s_or_b32 exec_lo, exec_lo, s31
	s_delay_alu instid0(SALU_CYCLE_1)
	s_and_b32 s13, s13, exec_lo
	s_or_saveexec_b32 s30, s30
	v_mov_b32_e32 v36, s17
	s_xor_b32 exec_lo, exec_lo, s30
	s_cbranch_execz .LBB6_9165
.LBB6_10292:                            ;   in Loop: Header=BB6_8078 Depth=3
	v_cmp_ne_u16_e32 vcc_lo, 0, v27
	v_mov_b32_e32 v36, 0
	s_and_not1_b32 s13, s13, exec_lo
	s_and_b32 s17, vcc_lo, exec_lo
	s_delay_alu instid0(SALU_CYCLE_1)
	s_or_b32 s13, s13, s17
	s_or_b32 exec_lo, exec_lo, s30
	s_and_saveexec_b32 s17, s13
	s_cbranch_execnz .LBB6_9166
	s_branch .LBB6_9167
.LBB6_10293:                            ;   in Loop: Header=BB6_8078 Depth=3
	s_mov_b32 s13, -1
	s_mov_b32 s31, exec_lo
                                        ; implicit-def: $sgpr17
	v_cmpx_eq_u16_e32 0x80, v36
; %bb.10294:                            ;   in Loop: Header=BB6_8078 Depth=3
	s_mov_b32 s17, 0x7f800001
	s_xor_b32 s13, exec_lo, -1
; %bb.10295:                            ;   in Loop: Header=BB6_8078 Depth=3
	s_or_b32 exec_lo, exec_lo, s31
	s_delay_alu instid0(SALU_CYCLE_1)
	s_and_b32 s13, s13, exec_lo
                                        ; implicit-def: $vgpr36
	s_or_saveexec_b32 s30, s30
	v_mov_b32_e32 v27, s17
	s_xor_b32 exec_lo, exec_lo, s30
	s_cbranch_execz .LBB6_9177
.LBB6_10296:                            ;   in Loop: Header=BB6_8078 Depth=3
	v_cmp_ne_u16_e32 vcc_lo, 0, v36
	v_mov_b32_e32 v27, 0
	s_and_not1_b32 s13, s13, exec_lo
	s_and_b32 s17, vcc_lo, exec_lo
	s_delay_alu instid0(SALU_CYCLE_1)
	s_or_b32 s13, s13, s17
	s_or_b32 exec_lo, exec_lo, s30
	s_and_saveexec_b32 s17, s13
	s_cbranch_execnz .LBB6_9178
	s_branch .LBB6_9179
.LBB6_10297:                            ;   in Loop: Header=BB6_8078 Depth=3
	s_mov_b32 s13, -1
	s_mov_b32 s31, exec_lo
                                        ; implicit-def: $sgpr17
	v_cmpx_eq_u16_e32 0x80, v37
; %bb.10298:                            ;   in Loop: Header=BB6_8078 Depth=3
	s_mov_b32 s17, 0x7f800001
	s_xor_b32 s13, exec_lo, -1
; %bb.10299:                            ;   in Loop: Header=BB6_8078 Depth=3
	s_or_b32 exec_lo, exec_lo, s31
	s_delay_alu instid0(SALU_CYCLE_1)
	s_and_b32 s13, s13, exec_lo
                                        ; implicit-def: $vgpr37
	s_or_saveexec_b32 s30, s30
	v_mov_b32_e32 v36, s17
	s_xor_b32 exec_lo, exec_lo, s30
	s_cbranch_execz .LBB6_9181
.LBB6_10300:                            ;   in Loop: Header=BB6_8078 Depth=3
	v_cmp_ne_u16_e32 vcc_lo, 0, v37
	v_mov_b32_e32 v36, 0
	s_and_not1_b32 s13, s13, exec_lo
	s_and_b32 s17, vcc_lo, exec_lo
	s_delay_alu instid0(SALU_CYCLE_1)
	s_or_b32 s13, s13, s17
	s_or_b32 exec_lo, exec_lo, s30
	s_and_saveexec_b32 s17, s13
	s_cbranch_execnz .LBB6_9182
	s_branch .LBB6_9183
.LBB6_10301:                            ;   in Loop: Header=BB6_8078 Depth=3
	s_mov_b32 s13, -1
	s_mov_b32 s31, exec_lo
                                        ; implicit-def: $sgpr17
	v_cmpx_eq_u16_e32 0x80, v36
; %bb.10302:                            ;   in Loop: Header=BB6_8078 Depth=3
	s_mov_b32 s17, 0x7f800001
	s_xor_b32 s13, exec_lo, -1
; %bb.10303:                            ;   in Loop: Header=BB6_8078 Depth=3
	s_or_b32 exec_lo, exec_lo, s31
	s_delay_alu instid0(SALU_CYCLE_1)
	s_and_b32 s13, s13, exec_lo
	s_or_saveexec_b32 s30, s30
	v_mov_b32_e32 v27, s17
	s_xor_b32 exec_lo, exec_lo, s30
	s_cbranch_execz .LBB6_9193
.LBB6_10304:                            ;   in Loop: Header=BB6_8078 Depth=3
	v_cmp_ne_u16_e32 vcc_lo, 0, v36
	v_mov_b32_e32 v27, 0
	s_and_not1_b32 s13, s13, exec_lo
	s_and_b32 s17, vcc_lo, exec_lo
	s_delay_alu instid0(SALU_CYCLE_1)
	s_or_b32 s13, s13, s17
	s_or_b32 exec_lo, exec_lo, s30
	s_and_saveexec_b32 s17, s13
	s_cbranch_execnz .LBB6_9194
	s_branch .LBB6_9195
.LBB6_10305:                            ;   in Loop: Header=BB6_8078 Depth=3
	s_mov_b32 s13, -1
	s_mov_b32 s31, exec_lo
                                        ; implicit-def: $sgpr17
	v_cmpx_eq_u16_e32 0x80, v36
; %bb.10306:                            ;   in Loop: Header=BB6_8078 Depth=3
	s_mov_b32 s17, 0x7f800001
	s_xor_b32 s13, exec_lo, -1
; %bb.10307:                            ;   in Loop: Header=BB6_8078 Depth=3
	s_or_b32 exec_lo, exec_lo, s31
	s_delay_alu instid0(SALU_CYCLE_1)
	s_and_b32 s13, s13, exec_lo
	s_or_saveexec_b32 s30, s30
	v_mov_b32_e32 v37, s17
	s_xor_b32 exec_lo, exec_lo, s30
	s_cbranch_execz .LBB6_9197
.LBB6_10308:                            ;   in Loop: Header=BB6_8078 Depth=3
	v_cmp_ne_u16_e32 vcc_lo, 0, v36
	v_mov_b32_e32 v37, 0
	s_and_not1_b32 s13, s13, exec_lo
	s_and_b32 s17, vcc_lo, exec_lo
	s_delay_alu instid0(SALU_CYCLE_1)
	s_or_b32 s13, s13, s17
	s_or_b32 exec_lo, exec_lo, s30
	s_and_saveexec_b32 s17, s13
	s_cbranch_execnz .LBB6_9198
	s_branch .LBB6_9199
.LBB6_10309:                            ;   in Loop: Header=BB6_8078 Depth=3
	s_mov_b32 s13, -1
	s_mov_b32 s31, exec_lo
                                        ; implicit-def: $sgpr17
	v_cmpx_eq_u16_e32 0x80, v37
; %bb.10310:                            ;   in Loop: Header=BB6_8078 Depth=3
	s_mov_b32 s17, 0x7f800001
	s_xor_b32 s13, exec_lo, -1
; %bb.10311:                            ;   in Loop: Header=BB6_8078 Depth=3
	s_or_b32 exec_lo, exec_lo, s31
	s_delay_alu instid0(SALU_CYCLE_1)
	s_and_b32 s13, s13, exec_lo
                                        ; implicit-def: $vgpr37
	s_or_saveexec_b32 s30, s30
	v_mov_b32_e32 v27, s17
	s_xor_b32 exec_lo, exec_lo, s30
	s_cbranch_execz .LBB6_9209
.LBB6_10312:                            ;   in Loop: Header=BB6_8078 Depth=3
	v_cmp_ne_u16_e32 vcc_lo, 0, v37
	v_mov_b32_e32 v27, 0
	s_and_not1_b32 s13, s13, exec_lo
	s_and_b32 s17, vcc_lo, exec_lo
	s_delay_alu instid0(SALU_CYCLE_1)
	s_or_b32 s13, s13, s17
	s_or_b32 exec_lo, exec_lo, s30
	v_lshl_or_b32 v26, v36, 16, v26
	s_and_saveexec_b32 s17, s13
	s_cbranch_execnz .LBB6_9210
	s_branch .LBB6_9211
.LBB6_10313:                            ;   in Loop: Header=BB6_8078 Depth=3
	s_mov_b32 s13, -1
	s_mov_b32 s31, exec_lo
                                        ; implicit-def: $sgpr17
	v_cmpx_eq_u16_e32 0x80, v38
; %bb.10314:                            ;   in Loop: Header=BB6_8078 Depth=3
	s_mov_b32 s17, 0x7f800001
	s_xor_b32 s13, exec_lo, -1
; %bb.10315:                            ;   in Loop: Header=BB6_8078 Depth=3
	s_or_b32 exec_lo, exec_lo, s31
	s_delay_alu instid0(SALU_CYCLE_1)
	s_and_b32 s13, s13, exec_lo
                                        ; implicit-def: $vgpr38
	s_or_saveexec_b32 s30, s30
	v_mov_b32_e32 v37, s17
	s_xor_b32 exec_lo, exec_lo, s30
	s_cbranch_execz .LBB6_9213
.LBB6_10316:                            ;   in Loop: Header=BB6_8078 Depth=3
	v_cmp_ne_u16_e32 vcc_lo, 0, v38
	v_mov_b32_e32 v37, 0
	s_and_not1_b32 s13, s13, exec_lo
	s_and_b32 s17, vcc_lo, exec_lo
	s_delay_alu instid0(SALU_CYCLE_1)
	s_or_b32 s13, s13, s17
	s_or_b32 exec_lo, exec_lo, s30
	s_and_saveexec_b32 s17, s13
	s_cbranch_execnz .LBB6_9214
	s_branch .LBB6_9215
.LBB6_10317:                            ;   in Loop: Header=BB6_8078 Depth=3
	s_mov_b32 s13, -1
	s_mov_b32 s31, exec_lo
                                        ; implicit-def: $sgpr17
	v_cmpx_eq_u16_e32 0x80, v36
; %bb.10318:                            ;   in Loop: Header=BB6_8078 Depth=3
	s_mov_b32 s17, 0x7f800001
	s_xor_b32 s13, exec_lo, -1
; %bb.10319:                            ;   in Loop: Header=BB6_8078 Depth=3
	s_or_b32 exec_lo, exec_lo, s31
	s_delay_alu instid0(SALU_CYCLE_1)
	s_and_b32 s13, s13, exec_lo
	s_or_saveexec_b32 s30, s30
	v_mov_b32_e32 v27, s17
	s_xor_b32 exec_lo, exec_lo, s30
	s_cbranch_execz .LBB6_9225
.LBB6_10320:                            ;   in Loop: Header=BB6_8078 Depth=3
	v_cmp_ne_u16_e32 vcc_lo, 0, v36
	v_mov_b32_e32 v27, 0
	s_and_not1_b32 s13, s13, exec_lo
	s_and_b32 s17, vcc_lo, exec_lo
	s_delay_alu instid0(SALU_CYCLE_1)
	s_or_b32 s13, s13, s17
	s_or_b32 exec_lo, exec_lo, s30
	s_and_saveexec_b32 s17, s13
	s_cbranch_execnz .LBB6_9226
	s_branch .LBB6_9227
.LBB6_10321:                            ;   in Loop: Header=BB6_8078 Depth=3
	s_mov_b32 s13, -1
	s_mov_b32 s31, exec_lo
                                        ; implicit-def: $sgpr17
	v_cmpx_eq_u16_e32 0x80, v26
; %bb.10322:                            ;   in Loop: Header=BB6_8078 Depth=3
	s_mov_b32 s17, 0x7f800001
	s_xor_b32 s13, exec_lo, -1
; %bb.10323:                            ;   in Loop: Header=BB6_8078 Depth=3
	s_or_b32 exec_lo, exec_lo, s31
	s_delay_alu instid0(SALU_CYCLE_1)
	s_and_b32 s13, s13, exec_lo
	s_or_saveexec_b32 s30, s30
	v_mov_b32_e32 v36, s17
	s_xor_b32 exec_lo, exec_lo, s30
	s_cbranch_execz .LBB6_9229
.LBB6_10324:                            ;   in Loop: Header=BB6_8078 Depth=3
	v_cmp_ne_u16_e32 vcc_lo, 0, v26
	v_mov_b32_e32 v36, 0
	s_and_not1_b32 s13, s13, exec_lo
	s_and_b32 s17, vcc_lo, exec_lo
	s_delay_alu instid0(SALU_CYCLE_1)
	s_or_b32 s13, s13, s17
	s_or_b32 exec_lo, exec_lo, s30
	s_and_saveexec_b32 s17, s13
	s_cbranch_execnz .LBB6_9230
	s_branch .LBB6_9231
.LBB6_10325:                            ;   in Loop: Header=BB6_8078 Depth=3
	s_mov_b32 s13, -1
	s_mov_b32 s31, exec_lo
                                        ; implicit-def: $sgpr17
	v_cmpx_eq_u16_e32 0x80, v27
; %bb.10326:                            ;   in Loop: Header=BB6_8078 Depth=3
	s_mov_b32 s17, 0x7f800001
	s_xor_b32 s13, exec_lo, -1
; %bb.10327:                            ;   in Loop: Header=BB6_8078 Depth=3
	s_or_b32 exec_lo, exec_lo, s31
	s_delay_alu instid0(SALU_CYCLE_1)
	s_and_b32 s13, s13, exec_lo
                                        ; implicit-def: $vgpr27
	s_or_saveexec_b32 s30, s30
	v_mov_b32_e32 v26, s17
	s_xor_b32 exec_lo, exec_lo, s30
	s_cbranch_execz .LBB6_9241
.LBB6_10328:                            ;   in Loop: Header=BB6_8078 Depth=3
	v_cmp_ne_u16_e32 vcc_lo, 0, v27
	v_mov_b32_e32 v26, 0
	s_and_not1_b32 s13, s13, exec_lo
	s_and_b32 s17, vcc_lo, exec_lo
	s_delay_alu instid0(SALU_CYCLE_1)
	s_or_b32 s13, s13, s17
	s_or_b32 exec_lo, exec_lo, s30
	s_and_saveexec_b32 s17, s13
	s_cbranch_execnz .LBB6_9242
	s_branch .LBB6_9243
.LBB6_10329:                            ;   in Loop: Header=BB6_8078 Depth=3
	s_mov_b32 s13, -1
	s_mov_b32 s31, exec_lo
                                        ; implicit-def: $sgpr17
	v_cmpx_eq_u16_e32 0x80, v36
; %bb.10330:                            ;   in Loop: Header=BB6_8078 Depth=3
	s_mov_b32 s17, 0x7f800001
	s_xor_b32 s13, exec_lo, -1
; %bb.10331:                            ;   in Loop: Header=BB6_8078 Depth=3
	s_or_b32 exec_lo, exec_lo, s31
	s_delay_alu instid0(SALU_CYCLE_1)
	s_and_b32 s13, s13, exec_lo
                                        ; implicit-def: $vgpr36
	s_or_saveexec_b32 s30, s30
	v_mov_b32_e32 v27, s17
	s_xor_b32 exec_lo, exec_lo, s30
	s_cbranch_execz .LBB6_9245
.LBB6_10332:                            ;   in Loop: Header=BB6_8078 Depth=3
	v_cmp_ne_u16_e32 vcc_lo, 0, v36
	v_mov_b32_e32 v27, 0
	s_and_not1_b32 s13, s13, exec_lo
	s_and_b32 s17, vcc_lo, exec_lo
	s_delay_alu instid0(SALU_CYCLE_1)
	s_or_b32 s13, s13, s17
	s_or_b32 exec_lo, exec_lo, s30
	s_and_saveexec_b32 s17, s13
	s_cbranch_execnz .LBB6_9246
	s_branch .LBB6_9247
.LBB6_10333:                            ;   in Loop: Header=BB6_8078 Depth=3
	s_mov_b32 s13, -1
	s_mov_b32 s31, exec_lo
                                        ; implicit-def: $sgpr17
	v_cmpx_eq_u16_e32 0x80, v27
; %bb.10334:                            ;   in Loop: Header=BB6_8078 Depth=3
	s_mov_b32 s17, 0x7f800001
	s_xor_b32 s13, exec_lo, -1
; %bb.10335:                            ;   in Loop: Header=BB6_8078 Depth=3
	s_or_b32 exec_lo, exec_lo, s31
	s_delay_alu instid0(SALU_CYCLE_1)
	s_and_b32 s13, s13, exec_lo
                                        ; implicit-def: $vgpr27
	s_or_saveexec_b32 s30, s30
	v_mov_b32_e32 v26, s17
	s_xor_b32 exec_lo, exec_lo, s30
	s_cbranch_execz .LBB6_9257
.LBB6_10336:                            ;   in Loop: Header=BB6_8078 Depth=3
	v_cmp_ne_u16_e32 vcc_lo, 0, v27
	v_mov_b32_e32 v26, 0
	s_and_not1_b32 s13, s13, exec_lo
	s_and_b32 s17, vcc_lo, exec_lo
	s_delay_alu instid0(SALU_CYCLE_1)
	s_or_b32 s13, s13, s17
	s_or_b32 exec_lo, exec_lo, s30
	s_and_saveexec_b32 s17, s13
	s_cbranch_execnz .LBB6_9258
	s_branch .LBB6_9259
.LBB6_10337:                            ;   in Loop: Header=BB6_8078 Depth=3
	s_mov_b32 s13, -1
	s_mov_b32 s31, exec_lo
                                        ; implicit-def: $sgpr17
	v_cmpx_eq_u16_e32 0x80, v27
; %bb.10338:                            ;   in Loop: Header=BB6_8078 Depth=3
	s_mov_b32 s17, 0x7f800001
	s_xor_b32 s13, exec_lo, -1
; %bb.10339:                            ;   in Loop: Header=BB6_8078 Depth=3
	s_or_b32 exec_lo, exec_lo, s31
	s_delay_alu instid0(SALU_CYCLE_1)
	s_and_b32 s13, s13, exec_lo
	s_or_saveexec_b32 s30, s30
	v_mov_b32_e32 v36, s17
	s_xor_b32 exec_lo, exec_lo, s30
	s_cbranch_execz .LBB6_9261
.LBB6_10340:                            ;   in Loop: Header=BB6_8078 Depth=3
	v_cmp_ne_u16_e32 vcc_lo, 0, v27
	v_mov_b32_e32 v36, 0
	s_and_not1_b32 s13, s13, exec_lo
	s_and_b32 s17, vcc_lo, exec_lo
	s_delay_alu instid0(SALU_CYCLE_1)
	s_or_b32 s13, s13, s17
	s_or_b32 exec_lo, exec_lo, s30
	s_and_saveexec_b32 s17, s13
	s_cbranch_execnz .LBB6_9262
	s_branch .LBB6_9263
.LBB6_10341:                            ;   in Loop: Header=BB6_8078 Depth=3
	s_mov_b32 s13, -1
	s_mov_b32 s31, exec_lo
                                        ; implicit-def: $sgpr17
	v_cmpx_eq_u16_e32 0x80, v27
; %bb.10342:                            ;   in Loop: Header=BB6_8078 Depth=3
	s_mov_b32 s17, 0x7f800001
	s_xor_b32 s13, exec_lo, -1
; %bb.10343:                            ;   in Loop: Header=BB6_8078 Depth=3
	s_or_b32 exec_lo, exec_lo, s31
	s_delay_alu instid0(SALU_CYCLE_1)
	s_and_b32 s13, s13, exec_lo
                                        ; implicit-def: $vgpr27
	s_or_saveexec_b32 s30, s30
	v_mov_b32_e32 v26, s17
	s_xor_b32 exec_lo, exec_lo, s30
	s_cbranch_execz .LBB6_9273
.LBB6_10344:                            ;   in Loop: Header=BB6_8078 Depth=3
	v_cmp_ne_u16_e32 vcc_lo, 0, v27
	v_mov_b32_e32 v26, 0
	s_and_not1_b32 s13, s13, exec_lo
	s_and_b32 s17, vcc_lo, exec_lo
	s_delay_alu instid0(SALU_CYCLE_1)
	s_or_b32 s13, s13, s17
	s_or_b32 exec_lo, exec_lo, s30
	s_and_saveexec_b32 s17, s13
	s_cbranch_execnz .LBB6_9274
	s_branch .LBB6_9275
.LBB6_10345:                            ;   in Loop: Header=BB6_8078 Depth=3
	s_mov_b32 s13, -1
	s_mov_b32 s31, exec_lo
                                        ; implicit-def: $sgpr17
	v_cmpx_eq_u16_e32 0x80, v37
; %bb.10346:                            ;   in Loop: Header=BB6_8078 Depth=3
	s_mov_b32 s17, 0x7f800001
	s_xor_b32 s13, exec_lo, -1
; %bb.10347:                            ;   in Loop: Header=BB6_8078 Depth=3
	s_or_b32 exec_lo, exec_lo, s31
	s_delay_alu instid0(SALU_CYCLE_1)
	s_and_b32 s13, s13, exec_lo
                                        ; implicit-def: $vgpr37
	s_or_saveexec_b32 s30, s30
	v_mov_b32_e32 v36, s17
	s_xor_b32 exec_lo, exec_lo, s30
	s_cbranch_execz .LBB6_9277
.LBB6_10348:                            ;   in Loop: Header=BB6_8078 Depth=3
	v_cmp_ne_u16_e32 vcc_lo, 0, v37
	v_mov_b32_e32 v36, 0
	s_and_not1_b32 s13, s13, exec_lo
	s_and_b32 s17, vcc_lo, exec_lo
	s_delay_alu instid0(SALU_CYCLE_1)
	s_or_b32 s13, s13, s17
	s_or_b32 exec_lo, exec_lo, s30
	s_and_saveexec_b32 s17, s13
	s_cbranch_execnz .LBB6_9278
	s_branch .LBB6_9279
.LBB6_10349:                            ;   in Loop: Header=BB6_8078 Depth=3
	s_mov_b32 s13, -1
	s_mov_b32 s31, exec_lo
                                        ; implicit-def: $sgpr17
	v_cmpx_eq_u16_e32 0x80, v27
; %bb.10350:                            ;   in Loop: Header=BB6_8078 Depth=3
	s_mov_b32 s17, 0x7f800001
	s_xor_b32 s13, exec_lo, -1
; %bb.10351:                            ;   in Loop: Header=BB6_8078 Depth=3
	s_or_b32 exec_lo, exec_lo, s31
	s_delay_alu instid0(SALU_CYCLE_1)
	s_and_b32 s13, s13, exec_lo
	s_or_saveexec_b32 s30, s30
	v_mov_b32_e32 v26, s17
	s_xor_b32 exec_lo, exec_lo, s30
	s_cbranch_execz .LBB6_9289
.LBB6_10352:                            ;   in Loop: Header=BB6_8078 Depth=3
	v_cmp_ne_u16_e32 vcc_lo, 0, v27
	v_mov_b32_e32 v26, 0
	s_and_not1_b32 s13, s13, exec_lo
	s_and_b32 s17, vcc_lo, exec_lo
	s_delay_alu instid0(SALU_CYCLE_1)
	s_or_b32 s13, s13, s17
	s_or_b32 exec_lo, exec_lo, s30
	s_and_saveexec_b32 s17, s13
	s_cbranch_execnz .LBB6_9290
	s_branch .LBB6_9291
.LBB6_10353:                            ;   in Loop: Header=BB6_8078 Depth=3
	s_mov_b32 s13, -1
	s_mov_b32 s31, exec_lo
                                        ; implicit-def: $sgpr17
	v_cmpx_eq_u16_e32 0x80, v27
; %bb.10354:                            ;   in Loop: Header=BB6_8078 Depth=3
	s_mov_b32 s17, 0x7f800001
	s_xor_b32 s13, exec_lo, -1
; %bb.10355:                            ;   in Loop: Header=BB6_8078 Depth=3
	s_or_b32 exec_lo, exec_lo, s31
	s_delay_alu instid0(SALU_CYCLE_1)
	s_and_b32 s13, s13, exec_lo
	s_or_saveexec_b32 s30, s30
	v_mov_b32_e32 v36, s17
	s_xor_b32 exec_lo, exec_lo, s30
	s_cbranch_execz .LBB6_9293
.LBB6_10356:                            ;   in Loop: Header=BB6_8078 Depth=3
	v_cmp_ne_u16_e32 vcc_lo, 0, v27
	v_mov_b32_e32 v36, 0
	s_and_not1_b32 s13, s13, exec_lo
	s_and_b32 s17, vcc_lo, exec_lo
	s_delay_alu instid0(SALU_CYCLE_1)
	s_or_b32 s13, s13, s17
	s_or_b32 exec_lo, exec_lo, s30
	s_and_saveexec_b32 s17, s13
	s_cbranch_execnz .LBB6_9294
	s_branch .LBB6_9295
.LBB6_10357:                            ;   in Loop: Header=BB6_8078 Depth=3
	s_mov_b32 s13, -1
	s_mov_b32 s31, exec_lo
                                        ; implicit-def: $sgpr17
	v_cmpx_eq_u16_e32 0x80, v36
; %bb.10358:                            ;   in Loop: Header=BB6_8078 Depth=3
	s_mov_b32 s17, 0x7f800001
	s_xor_b32 s13, exec_lo, -1
; %bb.10359:                            ;   in Loop: Header=BB6_8078 Depth=3
	s_or_b32 exec_lo, exec_lo, s31
	s_delay_alu instid0(SALU_CYCLE_1)
	s_and_b32 s13, s13, exec_lo
                                        ; implicit-def: $vgpr36
	s_or_saveexec_b32 s30, s30
	v_mov_b32_e32 v27, s17
	s_xor_b32 exec_lo, exec_lo, s30
	s_cbranch_execz .LBB6_9305
.LBB6_10360:                            ;   in Loop: Header=BB6_8078 Depth=3
	v_cmp_ne_u16_e32 vcc_lo, 0, v36
	v_mov_b32_e32 v27, 0
	s_and_not1_b32 s13, s13, exec_lo
	s_and_b32 s17, vcc_lo, exec_lo
	s_delay_alu instid0(SALU_CYCLE_1)
	s_or_b32 s13, s13, s17
	s_or_b32 exec_lo, exec_lo, s30
	s_and_saveexec_b32 s17, s13
	s_cbranch_execnz .LBB6_9306
	s_branch .LBB6_9307
.LBB6_10361:                            ;   in Loop: Header=BB6_8078 Depth=3
	s_mov_b32 s13, -1
	s_mov_b32 s31, exec_lo
                                        ; implicit-def: $sgpr17
	v_cmpx_eq_u16_e32 0x80, v37
; %bb.10362:                            ;   in Loop: Header=BB6_8078 Depth=3
	s_mov_b32 s17, 0x7f800001
	s_xor_b32 s13, exec_lo, -1
; %bb.10363:                            ;   in Loop: Header=BB6_8078 Depth=3
	s_or_b32 exec_lo, exec_lo, s31
	s_delay_alu instid0(SALU_CYCLE_1)
	s_and_b32 s13, s13, exec_lo
                                        ; implicit-def: $vgpr37
	s_or_saveexec_b32 s30, s30
	v_mov_b32_e32 v36, s17
	s_xor_b32 exec_lo, exec_lo, s30
	s_cbranch_execz .LBB6_9309
.LBB6_10364:                            ;   in Loop: Header=BB6_8078 Depth=3
	v_cmp_ne_u16_e32 vcc_lo, 0, v37
	v_mov_b32_e32 v36, 0
	s_and_not1_b32 s13, s13, exec_lo
	s_and_b32 s17, vcc_lo, exec_lo
	s_delay_alu instid0(SALU_CYCLE_1)
	s_or_b32 s13, s13, s17
	s_or_b32 exec_lo, exec_lo, s30
	s_and_saveexec_b32 s17, s13
	s_cbranch_execnz .LBB6_9310
	s_branch .LBB6_9311
.LBB6_10365:                            ;   in Loop: Header=BB6_8078 Depth=3
	s_mov_b32 s13, -1
	s_mov_b32 s31, exec_lo
                                        ; implicit-def: $sgpr17
	v_cmpx_eq_u16_e32 0x80, v36
; %bb.10366:                            ;   in Loop: Header=BB6_8078 Depth=3
	s_mov_b32 s17, 0x7f800001
	s_xor_b32 s13, exec_lo, -1
; %bb.10367:                            ;   in Loop: Header=BB6_8078 Depth=3
	s_or_b32 exec_lo, exec_lo, s31
	s_delay_alu instid0(SALU_CYCLE_1)
	s_and_b32 s13, s13, exec_lo
	s_or_saveexec_b32 s30, s30
	v_mov_b32_e32 v27, s17
	s_xor_b32 exec_lo, exec_lo, s30
	s_cbranch_execz .LBB6_9321
.LBB6_10368:                            ;   in Loop: Header=BB6_8078 Depth=3
	v_cmp_ne_u16_e32 vcc_lo, 0, v36
	v_mov_b32_e32 v27, 0
	s_and_not1_b32 s13, s13, exec_lo
	s_and_b32 s17, vcc_lo, exec_lo
	s_delay_alu instid0(SALU_CYCLE_1)
	s_or_b32 s13, s13, s17
	s_or_b32 exec_lo, exec_lo, s30
	s_and_saveexec_b32 s17, s13
	s_cbranch_execnz .LBB6_9322
	s_branch .LBB6_9323
.LBB6_10369:                            ;   in Loop: Header=BB6_8078 Depth=3
	s_mov_b32 s13, -1
	s_mov_b32 s31, exec_lo
                                        ; implicit-def: $sgpr17
	v_cmpx_eq_u16_e32 0x80, v36
; %bb.10370:                            ;   in Loop: Header=BB6_8078 Depth=3
	s_mov_b32 s17, 0x7f800001
	s_xor_b32 s13, exec_lo, -1
; %bb.10371:                            ;   in Loop: Header=BB6_8078 Depth=3
	s_or_b32 exec_lo, exec_lo, s31
	s_delay_alu instid0(SALU_CYCLE_1)
	s_and_b32 s13, s13, exec_lo
	s_or_saveexec_b32 s30, s30
	v_mov_b32_e32 v37, s17
	s_xor_b32 exec_lo, exec_lo, s30
	s_cbranch_execz .LBB6_9325
.LBB6_10372:                            ;   in Loop: Header=BB6_8078 Depth=3
	v_cmp_ne_u16_e32 vcc_lo, 0, v36
	v_mov_b32_e32 v37, 0
	s_and_not1_b32 s13, s13, exec_lo
	s_and_b32 s17, vcc_lo, exec_lo
	s_delay_alu instid0(SALU_CYCLE_1)
	s_or_b32 s13, s13, s17
	s_or_b32 exec_lo, exec_lo, s30
	s_and_saveexec_b32 s17, s13
	s_cbranch_execnz .LBB6_9326
	s_branch .LBB6_9327
.LBB6_10373:                            ;   in Loop: Header=BB6_8078 Depth=3
	s_mov_b32 s13, -1
	s_mov_b32 s31, exec_lo
                                        ; implicit-def: $sgpr17
	v_cmpx_eq_u16_e32 0x80, v37
; %bb.10374:                            ;   in Loop: Header=BB6_8078 Depth=3
	s_mov_b32 s17, 0x7f800001
	s_xor_b32 s13, exec_lo, -1
; %bb.10375:                            ;   in Loop: Header=BB6_8078 Depth=3
	s_or_b32 exec_lo, exec_lo, s31
	s_delay_alu instid0(SALU_CYCLE_1)
	s_and_b32 s13, s13, exec_lo
                                        ; implicit-def: $vgpr37
	s_or_saveexec_b32 s30, s30
	v_mov_b32_e32 v27, s17
	s_xor_b32 exec_lo, exec_lo, s30
	s_cbranch_execz .LBB6_9337
.LBB6_10376:                            ;   in Loop: Header=BB6_8078 Depth=3
	v_cmp_ne_u16_e32 vcc_lo, 0, v37
	v_mov_b32_e32 v27, 0
	s_and_not1_b32 s13, s13, exec_lo
	s_and_b32 s17, vcc_lo, exec_lo
	s_delay_alu instid0(SALU_CYCLE_1)
	s_or_b32 s13, s13, s17
	s_or_b32 exec_lo, exec_lo, s30
	v_lshl_or_b32 v26, v36, 16, v26
	s_and_saveexec_b32 s17, s13
	s_cbranch_execnz .LBB6_9338
	s_branch .LBB6_9339
.LBB6_10377:                            ;   in Loop: Header=BB6_8078 Depth=3
	s_mov_b32 s13, -1
	s_mov_b32 s31, exec_lo
                                        ; implicit-def: $sgpr17
	v_cmpx_eq_u16_e32 0x80, v38
; %bb.10378:                            ;   in Loop: Header=BB6_8078 Depth=3
	s_mov_b32 s17, 0x7f800001
	s_xor_b32 s13, exec_lo, -1
; %bb.10379:                            ;   in Loop: Header=BB6_8078 Depth=3
	s_or_b32 exec_lo, exec_lo, s31
	s_delay_alu instid0(SALU_CYCLE_1)
	s_and_b32 s13, s13, exec_lo
                                        ; implicit-def: $vgpr38
	s_or_saveexec_b32 s30, s30
	v_mov_b32_e32 v37, s17
	s_xor_b32 exec_lo, exec_lo, s30
	s_cbranch_execz .LBB6_9341
.LBB6_10380:                            ;   in Loop: Header=BB6_8078 Depth=3
	v_cmp_ne_u16_e32 vcc_lo, 0, v38
	v_mov_b32_e32 v37, 0
	s_and_not1_b32 s13, s13, exec_lo
	s_and_b32 s17, vcc_lo, exec_lo
	s_delay_alu instid0(SALU_CYCLE_1)
	s_or_b32 s13, s13, s17
	s_or_b32 exec_lo, exec_lo, s30
	s_and_saveexec_b32 s17, s13
	s_cbranch_execnz .LBB6_9342
	s_branch .LBB6_9343
.LBB6_10381:                            ;   in Loop: Header=BB6_8078 Depth=3
	s_mov_b32 s13, -1
	s_mov_b32 s31, exec_lo
                                        ; implicit-def: $sgpr17
	v_cmpx_eq_u16_e32 0x80, v36
; %bb.10382:                            ;   in Loop: Header=BB6_8078 Depth=3
	s_mov_b32 s17, 0x7f800001
	s_xor_b32 s13, exec_lo, -1
; %bb.10383:                            ;   in Loop: Header=BB6_8078 Depth=3
	s_or_b32 exec_lo, exec_lo, s31
	s_delay_alu instid0(SALU_CYCLE_1)
	s_and_b32 s13, s13, exec_lo
	s_or_saveexec_b32 s30, s30
	v_mov_b32_e32 v27, s17
	s_xor_b32 exec_lo, exec_lo, s30
	s_cbranch_execz .LBB6_9353
.LBB6_10384:                            ;   in Loop: Header=BB6_8078 Depth=3
	v_cmp_ne_u16_e32 vcc_lo, 0, v36
	v_mov_b32_e32 v27, 0
	s_and_not1_b32 s13, s13, exec_lo
	s_and_b32 s17, vcc_lo, exec_lo
	s_delay_alu instid0(SALU_CYCLE_1)
	s_or_b32 s13, s13, s17
	s_or_b32 exec_lo, exec_lo, s30
	s_and_saveexec_b32 s17, s13
	s_cbranch_execnz .LBB6_9354
	s_branch .LBB6_9355
.LBB6_10385:                            ;   in Loop: Header=BB6_8078 Depth=3
	s_mov_b32 s13, -1
	s_mov_b32 s31, exec_lo
                                        ; implicit-def: $sgpr17
	v_cmpx_eq_u16_e32 0x80, v26
; %bb.10386:                            ;   in Loop: Header=BB6_8078 Depth=3
	s_mov_b32 s17, 0x7f800001
	s_xor_b32 s13, exec_lo, -1
; %bb.10387:                            ;   in Loop: Header=BB6_8078 Depth=3
	s_or_b32 exec_lo, exec_lo, s31
	s_delay_alu instid0(SALU_CYCLE_1)
	s_and_b32 s13, s13, exec_lo
	s_or_saveexec_b32 s30, s30
	v_mov_b32_e32 v36, s17
	s_xor_b32 exec_lo, exec_lo, s30
	s_cbranch_execz .LBB6_9357
.LBB6_10388:                            ;   in Loop: Header=BB6_8078 Depth=3
	v_cmp_ne_u16_e32 vcc_lo, 0, v26
	v_mov_b32_e32 v36, 0
	s_and_not1_b32 s13, s13, exec_lo
	s_and_b32 s17, vcc_lo, exec_lo
	s_delay_alu instid0(SALU_CYCLE_1)
	s_or_b32 s13, s13, s17
	s_or_b32 exec_lo, exec_lo, s30
	s_and_saveexec_b32 s17, s13
	s_cbranch_execnz .LBB6_9358
	s_branch .LBB6_9359
.LBB6_10389:                            ;   in Loop: Header=BB6_8078 Depth=3
	s_mov_b32 s13, -1
	s_mov_b32 s31, exec_lo
                                        ; implicit-def: $sgpr17
	v_cmpx_eq_u16_e32 0x80, v27
; %bb.10390:                            ;   in Loop: Header=BB6_8078 Depth=3
	s_mov_b32 s17, 0x7f800001
	s_xor_b32 s13, exec_lo, -1
; %bb.10391:                            ;   in Loop: Header=BB6_8078 Depth=3
	s_or_b32 exec_lo, exec_lo, s31
	s_delay_alu instid0(SALU_CYCLE_1)
	s_and_b32 s13, s13, exec_lo
                                        ; implicit-def: $vgpr27
	s_or_saveexec_b32 s30, s30
	v_mov_b32_e32 v26, s17
	s_xor_b32 exec_lo, exec_lo, s30
	s_cbranch_execz .LBB6_9369
.LBB6_10392:                            ;   in Loop: Header=BB6_8078 Depth=3
	v_cmp_ne_u16_e32 vcc_lo, 0, v27
	v_mov_b32_e32 v26, 0
	s_and_not1_b32 s13, s13, exec_lo
	s_and_b32 s17, vcc_lo, exec_lo
	s_delay_alu instid0(SALU_CYCLE_1)
	s_or_b32 s13, s13, s17
	s_or_b32 exec_lo, exec_lo, s30
	s_and_saveexec_b32 s17, s13
	s_cbranch_execnz .LBB6_9370
	s_branch .LBB6_9371
.LBB6_10393:                            ;   in Loop: Header=BB6_8078 Depth=3
	s_mov_b32 s13, -1
	s_mov_b32 s31, exec_lo
                                        ; implicit-def: $sgpr17
	v_cmpx_eq_u16_e32 0x80, v36
; %bb.10394:                            ;   in Loop: Header=BB6_8078 Depth=3
	s_mov_b32 s17, 0x7f800001
	s_xor_b32 s13, exec_lo, -1
; %bb.10395:                            ;   in Loop: Header=BB6_8078 Depth=3
	s_or_b32 exec_lo, exec_lo, s31
	s_delay_alu instid0(SALU_CYCLE_1)
	s_and_b32 s13, s13, exec_lo
                                        ; implicit-def: $vgpr36
	s_or_saveexec_b32 s30, s30
	v_mov_b32_e32 v27, s17
	s_xor_b32 exec_lo, exec_lo, s30
	s_cbranch_execz .LBB6_9373
.LBB6_10396:                            ;   in Loop: Header=BB6_8078 Depth=3
	v_cmp_ne_u16_e32 vcc_lo, 0, v36
	v_mov_b32_e32 v27, 0
	s_and_not1_b32 s13, s13, exec_lo
	s_and_b32 s17, vcc_lo, exec_lo
	s_delay_alu instid0(SALU_CYCLE_1)
	s_or_b32 s13, s13, s17
	s_or_b32 exec_lo, exec_lo, s30
	s_and_saveexec_b32 s17, s13
	s_cbranch_execnz .LBB6_9374
	s_branch .LBB6_9375
.LBB6_10397:                            ;   in Loop: Header=BB6_8078 Depth=3
	s_mov_b32 s13, -1
	s_mov_b32 s31, exec_lo
                                        ; implicit-def: $sgpr17
	v_cmpx_eq_u16_e32 0x80, v27
; %bb.10398:                            ;   in Loop: Header=BB6_8078 Depth=3
	s_mov_b32 s17, 0x7f800001
	s_xor_b32 s13, exec_lo, -1
; %bb.10399:                            ;   in Loop: Header=BB6_8078 Depth=3
	s_or_b32 exec_lo, exec_lo, s31
	s_delay_alu instid0(SALU_CYCLE_1)
	s_and_b32 s13, s13, exec_lo
                                        ; implicit-def: $vgpr27
	s_or_saveexec_b32 s30, s30
	v_mov_b32_e32 v26, s17
	s_xor_b32 exec_lo, exec_lo, s30
	s_cbranch_execz .LBB6_9385
.LBB6_10400:                            ;   in Loop: Header=BB6_8078 Depth=3
	v_cmp_ne_u16_e32 vcc_lo, 0, v27
	v_mov_b32_e32 v26, 0
	s_and_not1_b32 s13, s13, exec_lo
	s_and_b32 s17, vcc_lo, exec_lo
	s_delay_alu instid0(SALU_CYCLE_1)
	s_or_b32 s13, s13, s17
	s_or_b32 exec_lo, exec_lo, s30
	s_and_saveexec_b32 s17, s13
	s_cbranch_execnz .LBB6_9386
	s_branch .LBB6_9387
.LBB6_10401:                            ;   in Loop: Header=BB6_8078 Depth=3
	s_mov_b32 s13, -1
	s_mov_b32 s31, exec_lo
                                        ; implicit-def: $sgpr17
	v_cmpx_eq_u16_e32 0x80, v27
; %bb.10402:                            ;   in Loop: Header=BB6_8078 Depth=3
	s_mov_b32 s17, 0x7f800001
	s_xor_b32 s13, exec_lo, -1
; %bb.10403:                            ;   in Loop: Header=BB6_8078 Depth=3
	s_or_b32 exec_lo, exec_lo, s31
	s_delay_alu instid0(SALU_CYCLE_1)
	s_and_b32 s13, s13, exec_lo
	s_or_saveexec_b32 s30, s30
	v_mov_b32_e32 v36, s17
	s_xor_b32 exec_lo, exec_lo, s30
	s_cbranch_execz .LBB6_9389
.LBB6_10404:                            ;   in Loop: Header=BB6_8078 Depth=3
	v_cmp_ne_u16_e32 vcc_lo, 0, v27
	v_mov_b32_e32 v36, 0
	s_and_not1_b32 s13, s13, exec_lo
	s_and_b32 s17, vcc_lo, exec_lo
	s_delay_alu instid0(SALU_CYCLE_1)
	s_or_b32 s13, s13, s17
	s_or_b32 exec_lo, exec_lo, s30
	s_and_saveexec_b32 s17, s13
	s_cbranch_execnz .LBB6_9390
	s_branch .LBB6_9391
.LBB6_10405:                            ;   in Loop: Header=BB6_8078 Depth=3
	s_mov_b32 s13, -1
	s_mov_b32 s31, exec_lo
                                        ; implicit-def: $sgpr17
	v_cmpx_eq_u16_e32 0x80, v27
; %bb.10406:                            ;   in Loop: Header=BB6_8078 Depth=3
	s_mov_b32 s17, 0x7f800001
	s_xor_b32 s13, exec_lo, -1
; %bb.10407:                            ;   in Loop: Header=BB6_8078 Depth=3
	s_or_b32 exec_lo, exec_lo, s31
	s_delay_alu instid0(SALU_CYCLE_1)
	s_and_b32 s13, s13, exec_lo
                                        ; implicit-def: $vgpr27
	s_or_saveexec_b32 s30, s30
	v_mov_b32_e32 v26, s17
	s_xor_b32 exec_lo, exec_lo, s30
	s_cbranch_execz .LBB6_9401
.LBB6_10408:                            ;   in Loop: Header=BB6_8078 Depth=3
	v_cmp_ne_u16_e32 vcc_lo, 0, v27
	v_mov_b32_e32 v26, 0
	s_and_not1_b32 s13, s13, exec_lo
	s_and_b32 s17, vcc_lo, exec_lo
	s_delay_alu instid0(SALU_CYCLE_1)
	s_or_b32 s13, s13, s17
	s_or_b32 exec_lo, exec_lo, s30
	s_and_saveexec_b32 s17, s13
	s_cbranch_execnz .LBB6_9402
	s_branch .LBB6_9403
.LBB6_10409:                            ;   in Loop: Header=BB6_8078 Depth=3
	s_mov_b32 s13, -1
	s_mov_b32 s31, exec_lo
                                        ; implicit-def: $sgpr17
	v_cmpx_eq_u16_e32 0x80, v37
; %bb.10410:                            ;   in Loop: Header=BB6_8078 Depth=3
	s_mov_b32 s17, 0x7f800001
	s_xor_b32 s13, exec_lo, -1
; %bb.10411:                            ;   in Loop: Header=BB6_8078 Depth=3
	s_or_b32 exec_lo, exec_lo, s31
	s_delay_alu instid0(SALU_CYCLE_1)
	s_and_b32 s13, s13, exec_lo
                                        ; implicit-def: $vgpr37
	s_or_saveexec_b32 s30, s30
	v_mov_b32_e32 v36, s17
	s_xor_b32 exec_lo, exec_lo, s30
	s_cbranch_execz .LBB6_9405
.LBB6_10412:                            ;   in Loop: Header=BB6_8078 Depth=3
	v_cmp_ne_u16_e32 vcc_lo, 0, v37
	v_mov_b32_e32 v36, 0
	s_and_not1_b32 s13, s13, exec_lo
	s_and_b32 s17, vcc_lo, exec_lo
	s_delay_alu instid0(SALU_CYCLE_1)
	s_or_b32 s13, s13, s17
	s_or_b32 exec_lo, exec_lo, s30
	s_and_saveexec_b32 s17, s13
	s_cbranch_execnz .LBB6_9406
	s_branch .LBB6_9407
.LBB6_10413:                            ;   in Loop: Header=BB6_8078 Depth=3
	s_mov_b32 s13, -1
	s_mov_b32 s31, exec_lo
                                        ; implicit-def: $sgpr17
	v_cmpx_eq_u16_e32 0x80, v27
; %bb.10414:                            ;   in Loop: Header=BB6_8078 Depth=3
	s_mov_b32 s17, 0x7f800001
	s_xor_b32 s13, exec_lo, -1
; %bb.10415:                            ;   in Loop: Header=BB6_8078 Depth=3
	s_or_b32 exec_lo, exec_lo, s31
	s_delay_alu instid0(SALU_CYCLE_1)
	s_and_b32 s13, s13, exec_lo
	s_or_saveexec_b32 s30, s30
	v_mov_b32_e32 v26, s17
	s_xor_b32 exec_lo, exec_lo, s30
	s_cbranch_execz .LBB6_9417
.LBB6_10416:                            ;   in Loop: Header=BB6_8078 Depth=3
	v_cmp_ne_u16_e32 vcc_lo, 0, v27
	v_mov_b32_e32 v26, 0
	s_and_not1_b32 s13, s13, exec_lo
	s_and_b32 s17, vcc_lo, exec_lo
	s_delay_alu instid0(SALU_CYCLE_1)
	s_or_b32 s13, s13, s17
	s_or_b32 exec_lo, exec_lo, s30
	s_and_saveexec_b32 s17, s13
	s_cbranch_execnz .LBB6_9418
	s_branch .LBB6_9419
.LBB6_10417:                            ;   in Loop: Header=BB6_8078 Depth=3
	s_mov_b32 s13, -1
	s_mov_b32 s31, exec_lo
                                        ; implicit-def: $sgpr17
	v_cmpx_eq_u16_e32 0x80, v27
; %bb.10418:                            ;   in Loop: Header=BB6_8078 Depth=3
	s_mov_b32 s17, 0x7f800001
	s_xor_b32 s13, exec_lo, -1
; %bb.10419:                            ;   in Loop: Header=BB6_8078 Depth=3
	s_or_b32 exec_lo, exec_lo, s31
	s_delay_alu instid0(SALU_CYCLE_1)
	s_and_b32 s13, s13, exec_lo
	s_or_saveexec_b32 s30, s30
	v_mov_b32_e32 v36, s17
	s_xor_b32 exec_lo, exec_lo, s30
	s_cbranch_execz .LBB6_9421
.LBB6_10420:                            ;   in Loop: Header=BB6_8078 Depth=3
	v_cmp_ne_u16_e32 vcc_lo, 0, v27
	v_mov_b32_e32 v36, 0
	s_and_not1_b32 s13, s13, exec_lo
	s_and_b32 s17, vcc_lo, exec_lo
	s_delay_alu instid0(SALU_CYCLE_1)
	s_or_b32 s13, s13, s17
	s_or_b32 exec_lo, exec_lo, s30
	s_and_saveexec_b32 s17, s13
	s_cbranch_execnz .LBB6_9422
	s_branch .LBB6_9423
.LBB6_10421:                            ;   in Loop: Header=BB6_8078 Depth=3
	s_mov_b32 s13, -1
	s_mov_b32 s31, exec_lo
                                        ; implicit-def: $sgpr17
	v_cmpx_eq_u16_e32 0x80, v36
; %bb.10422:                            ;   in Loop: Header=BB6_8078 Depth=3
	s_mov_b32 s17, 0x7f800001
	s_xor_b32 s13, exec_lo, -1
; %bb.10423:                            ;   in Loop: Header=BB6_8078 Depth=3
	s_or_b32 exec_lo, exec_lo, s31
	s_delay_alu instid0(SALU_CYCLE_1)
	s_and_b32 s13, s13, exec_lo
                                        ; implicit-def: $vgpr36
	s_or_saveexec_b32 s30, s30
	v_mov_b32_e32 v27, s17
	s_xor_b32 exec_lo, exec_lo, s30
	s_cbranch_execz .LBB6_9433
.LBB6_10424:                            ;   in Loop: Header=BB6_8078 Depth=3
	v_cmp_ne_u16_e32 vcc_lo, 0, v36
	v_mov_b32_e32 v27, 0
	s_and_not1_b32 s13, s13, exec_lo
	s_and_b32 s17, vcc_lo, exec_lo
	s_delay_alu instid0(SALU_CYCLE_1)
	s_or_b32 s13, s13, s17
	s_or_b32 exec_lo, exec_lo, s30
	s_and_saveexec_b32 s17, s13
	s_cbranch_execnz .LBB6_9434
	s_branch .LBB6_9435
.LBB6_10425:                            ;   in Loop: Header=BB6_8078 Depth=3
	s_mov_b32 s13, -1
	s_mov_b32 s31, exec_lo
                                        ; implicit-def: $sgpr17
	v_cmpx_eq_u16_e32 0x80, v37
; %bb.10426:                            ;   in Loop: Header=BB6_8078 Depth=3
	s_mov_b32 s17, 0x7f800001
	s_xor_b32 s13, exec_lo, -1
; %bb.10427:                            ;   in Loop: Header=BB6_8078 Depth=3
	s_or_b32 exec_lo, exec_lo, s31
	s_delay_alu instid0(SALU_CYCLE_1)
	s_and_b32 s13, s13, exec_lo
                                        ; implicit-def: $vgpr37
	s_or_saveexec_b32 s30, s30
	v_mov_b32_e32 v36, s17
	s_xor_b32 exec_lo, exec_lo, s30
	s_cbranch_execz .LBB6_9437
.LBB6_10428:                            ;   in Loop: Header=BB6_8078 Depth=3
	v_cmp_ne_u16_e32 vcc_lo, 0, v37
	v_mov_b32_e32 v36, 0
	s_and_not1_b32 s13, s13, exec_lo
	s_and_b32 s17, vcc_lo, exec_lo
	s_delay_alu instid0(SALU_CYCLE_1)
	s_or_b32 s13, s13, s17
	s_or_b32 exec_lo, exec_lo, s30
	s_and_saveexec_b32 s17, s13
	s_cbranch_execnz .LBB6_9438
	s_branch .LBB6_9439
.LBB6_10429:                            ;   in Loop: Header=BB6_8078 Depth=3
	s_mov_b32 s13, -1
	s_mov_b32 s31, exec_lo
                                        ; implicit-def: $sgpr17
	v_cmpx_eq_u16_e32 0x80, v36
; %bb.10430:                            ;   in Loop: Header=BB6_8078 Depth=3
	s_mov_b32 s17, 0x7f800001
	s_xor_b32 s13, exec_lo, -1
; %bb.10431:                            ;   in Loop: Header=BB6_8078 Depth=3
	s_or_b32 exec_lo, exec_lo, s31
	s_delay_alu instid0(SALU_CYCLE_1)
	s_and_b32 s13, s13, exec_lo
	s_or_saveexec_b32 s30, s30
	v_mov_b32_e32 v27, s17
	s_xor_b32 exec_lo, exec_lo, s30
	s_cbranch_execz .LBB6_9449
.LBB6_10432:                            ;   in Loop: Header=BB6_8078 Depth=3
	v_cmp_ne_u16_e32 vcc_lo, 0, v36
	v_mov_b32_e32 v27, 0
	s_and_not1_b32 s13, s13, exec_lo
	s_and_b32 s17, vcc_lo, exec_lo
	s_delay_alu instid0(SALU_CYCLE_1)
	s_or_b32 s13, s13, s17
	s_or_b32 exec_lo, exec_lo, s30
	s_and_saveexec_b32 s17, s13
	s_cbranch_execnz .LBB6_9450
	s_branch .LBB6_9451
.LBB6_10433:                            ;   in Loop: Header=BB6_8078 Depth=3
	s_mov_b32 s13, -1
	s_mov_b32 s31, exec_lo
                                        ; implicit-def: $sgpr17
	v_cmpx_eq_u16_e32 0x80, v36
; %bb.10434:                            ;   in Loop: Header=BB6_8078 Depth=3
	s_mov_b32 s17, 0x7f800001
	s_xor_b32 s13, exec_lo, -1
; %bb.10435:                            ;   in Loop: Header=BB6_8078 Depth=3
	s_or_b32 exec_lo, exec_lo, s31
	s_delay_alu instid0(SALU_CYCLE_1)
	s_and_b32 s13, s13, exec_lo
	s_or_saveexec_b32 s30, s30
	v_mov_b32_e32 v37, s17
	s_xor_b32 exec_lo, exec_lo, s30
	s_cbranch_execz .LBB6_9453
.LBB6_10436:                            ;   in Loop: Header=BB6_8078 Depth=3
	v_cmp_ne_u16_e32 vcc_lo, 0, v36
	v_mov_b32_e32 v37, 0
	s_and_not1_b32 s13, s13, exec_lo
	s_and_b32 s17, vcc_lo, exec_lo
	s_delay_alu instid0(SALU_CYCLE_1)
	s_or_b32 s13, s13, s17
	s_or_b32 exec_lo, exec_lo, s30
	s_and_saveexec_b32 s17, s13
	s_cbranch_execnz .LBB6_9454
	s_branch .LBB6_9455
.LBB6_10437:                            ;   in Loop: Header=BB6_8078 Depth=3
	s_mov_b32 s13, -1
	s_mov_b32 s31, exec_lo
                                        ; implicit-def: $sgpr17
	v_cmpx_eq_u16_e32 0x80, v37
; %bb.10438:                            ;   in Loop: Header=BB6_8078 Depth=3
	s_mov_b32 s17, 0x7f800001
	s_xor_b32 s13, exec_lo, -1
; %bb.10439:                            ;   in Loop: Header=BB6_8078 Depth=3
	s_or_b32 exec_lo, exec_lo, s31
	s_delay_alu instid0(SALU_CYCLE_1)
	s_and_b32 s13, s13, exec_lo
                                        ; implicit-def: $vgpr37
	s_or_saveexec_b32 s30, s30
	v_mov_b32_e32 v27, s17
	s_xor_b32 exec_lo, exec_lo, s30
	s_cbranch_execz .LBB6_9465
.LBB6_10440:                            ;   in Loop: Header=BB6_8078 Depth=3
	v_cmp_ne_u16_e32 vcc_lo, 0, v37
	v_mov_b32_e32 v27, 0
	s_and_not1_b32 s13, s13, exec_lo
	s_and_b32 s17, vcc_lo, exec_lo
	s_delay_alu instid0(SALU_CYCLE_1)
	s_or_b32 s13, s13, s17
	s_or_b32 exec_lo, exec_lo, s30
	v_lshl_or_b32 v26, v36, 16, v26
	s_and_saveexec_b32 s17, s13
	s_cbranch_execnz .LBB6_9466
	s_branch .LBB6_9467
.LBB6_10441:                            ;   in Loop: Header=BB6_8078 Depth=3
	s_mov_b32 s13, -1
	s_mov_b32 s31, exec_lo
                                        ; implicit-def: $sgpr17
	v_cmpx_eq_u16_e32 0x80, v38
; %bb.10442:                            ;   in Loop: Header=BB6_8078 Depth=3
	s_mov_b32 s17, 0x7f800001
	s_xor_b32 s13, exec_lo, -1
; %bb.10443:                            ;   in Loop: Header=BB6_8078 Depth=3
	s_or_b32 exec_lo, exec_lo, s31
	s_delay_alu instid0(SALU_CYCLE_1)
	s_and_b32 s13, s13, exec_lo
                                        ; implicit-def: $vgpr38
	s_or_saveexec_b32 s30, s30
	v_mov_b32_e32 v37, s17
	s_xor_b32 exec_lo, exec_lo, s30
	s_cbranch_execz .LBB6_9469
.LBB6_10444:                            ;   in Loop: Header=BB6_8078 Depth=3
	v_cmp_ne_u16_e32 vcc_lo, 0, v38
	v_mov_b32_e32 v37, 0
	s_and_not1_b32 s13, s13, exec_lo
	s_and_b32 s17, vcc_lo, exec_lo
	s_delay_alu instid0(SALU_CYCLE_1)
	s_or_b32 s13, s13, s17
	s_or_b32 exec_lo, exec_lo, s30
	s_and_saveexec_b32 s17, s13
	s_cbranch_execnz .LBB6_9470
	s_branch .LBB6_9471
.LBB6_10445:                            ;   in Loop: Header=BB6_8078 Depth=3
	s_mov_b32 s13, -1
	s_mov_b32 s31, exec_lo
                                        ; implicit-def: $sgpr17
	v_cmpx_eq_u16_e32 0x80, v36
; %bb.10446:                            ;   in Loop: Header=BB6_8078 Depth=3
	s_mov_b32 s17, 0x7f800001
	s_xor_b32 s13, exec_lo, -1
; %bb.10447:                            ;   in Loop: Header=BB6_8078 Depth=3
	s_or_b32 exec_lo, exec_lo, s31
	s_delay_alu instid0(SALU_CYCLE_1)
	s_and_b32 s13, s13, exec_lo
	s_or_saveexec_b32 s30, s30
	v_mov_b32_e32 v27, s17
	s_xor_b32 exec_lo, exec_lo, s30
	s_cbranch_execz .LBB6_9481
.LBB6_10448:                            ;   in Loop: Header=BB6_8078 Depth=3
	v_cmp_ne_u16_e32 vcc_lo, 0, v36
	v_mov_b32_e32 v27, 0
	s_and_not1_b32 s13, s13, exec_lo
	s_and_b32 s17, vcc_lo, exec_lo
	s_delay_alu instid0(SALU_CYCLE_1)
	s_or_b32 s13, s13, s17
	s_or_b32 exec_lo, exec_lo, s30
	s_and_saveexec_b32 s17, s13
	s_cbranch_execnz .LBB6_9482
	s_branch .LBB6_9483
.LBB6_10449:                            ;   in Loop: Header=BB6_8078 Depth=3
	s_mov_b32 s13, -1
	s_mov_b32 s31, exec_lo
                                        ; implicit-def: $sgpr17
	v_cmpx_eq_u16_e32 0x80, v26
; %bb.10450:                            ;   in Loop: Header=BB6_8078 Depth=3
	s_mov_b32 s17, 0x7f800001
	s_xor_b32 s13, exec_lo, -1
; %bb.10451:                            ;   in Loop: Header=BB6_8078 Depth=3
	s_or_b32 exec_lo, exec_lo, s31
	s_delay_alu instid0(SALU_CYCLE_1)
	s_and_b32 s13, s13, exec_lo
	s_or_saveexec_b32 s30, s30
	v_mov_b32_e32 v36, s17
	s_xor_b32 exec_lo, exec_lo, s30
	s_cbranch_execz .LBB6_9485
.LBB6_10452:                            ;   in Loop: Header=BB6_8078 Depth=3
	v_cmp_ne_u16_e32 vcc_lo, 0, v26
	v_mov_b32_e32 v36, 0
	s_and_not1_b32 s13, s13, exec_lo
	s_and_b32 s17, vcc_lo, exec_lo
	s_delay_alu instid0(SALU_CYCLE_1)
	s_or_b32 s13, s13, s17
	s_or_b32 exec_lo, exec_lo, s30
	s_and_saveexec_b32 s17, s13
	s_cbranch_execnz .LBB6_9486
	s_branch .LBB6_9487
.LBB6_10453:                            ;   in Loop: Header=BB6_8078 Depth=3
	s_mov_b32 s13, -1
	s_mov_b32 s31, exec_lo
                                        ; implicit-def: $sgpr17
	v_cmpx_eq_u16_e32 0x80, v27
; %bb.10454:                            ;   in Loop: Header=BB6_8078 Depth=3
	s_mov_b32 s17, 0x7f800001
	s_xor_b32 s13, exec_lo, -1
; %bb.10455:                            ;   in Loop: Header=BB6_8078 Depth=3
	s_or_b32 exec_lo, exec_lo, s31
	s_delay_alu instid0(SALU_CYCLE_1)
	s_and_b32 s13, s13, exec_lo
                                        ; implicit-def: $vgpr27
	s_or_saveexec_b32 s30, s30
	v_mov_b32_e32 v26, s17
	s_xor_b32 exec_lo, exec_lo, s30
	s_cbranch_execz .LBB6_9497
.LBB6_10456:                            ;   in Loop: Header=BB6_8078 Depth=3
	v_cmp_ne_u16_e32 vcc_lo, 0, v27
	v_mov_b32_e32 v26, 0
	s_and_not1_b32 s13, s13, exec_lo
	s_and_b32 s17, vcc_lo, exec_lo
	s_delay_alu instid0(SALU_CYCLE_1)
	s_or_b32 s13, s13, s17
	s_or_b32 exec_lo, exec_lo, s30
	s_and_saveexec_b32 s17, s13
	s_cbranch_execnz .LBB6_9498
	s_branch .LBB6_9499
.LBB6_10457:                            ;   in Loop: Header=BB6_8078 Depth=3
	s_mov_b32 s13, -1
	s_mov_b32 s31, exec_lo
                                        ; implicit-def: $sgpr17
	v_cmpx_eq_u16_e32 0x80, v36
; %bb.10458:                            ;   in Loop: Header=BB6_8078 Depth=3
	s_mov_b32 s17, 0x7f800001
	s_xor_b32 s13, exec_lo, -1
; %bb.10459:                            ;   in Loop: Header=BB6_8078 Depth=3
	s_or_b32 exec_lo, exec_lo, s31
	s_delay_alu instid0(SALU_CYCLE_1)
	s_and_b32 s13, s13, exec_lo
                                        ; implicit-def: $vgpr36
	s_or_saveexec_b32 s30, s30
	v_mov_b32_e32 v27, s17
	s_xor_b32 exec_lo, exec_lo, s30
	s_cbranch_execz .LBB6_9501
.LBB6_10460:                            ;   in Loop: Header=BB6_8078 Depth=3
	v_cmp_ne_u16_e32 vcc_lo, 0, v36
	v_mov_b32_e32 v27, 0
	s_and_not1_b32 s13, s13, exec_lo
	s_and_b32 s17, vcc_lo, exec_lo
	s_delay_alu instid0(SALU_CYCLE_1)
	s_or_b32 s13, s13, s17
	s_or_b32 exec_lo, exec_lo, s30
	s_and_saveexec_b32 s17, s13
	s_cbranch_execnz .LBB6_9502
	s_branch .LBB6_9503
.LBB6_10461:                            ;   in Loop: Header=BB6_8078 Depth=3
	s_mov_b32 s13, -1
	s_mov_b32 s31, exec_lo
                                        ; implicit-def: $sgpr17
	v_cmpx_eq_u16_e32 0x80, v27
; %bb.10462:                            ;   in Loop: Header=BB6_8078 Depth=3
	s_mov_b32 s17, 0x7f800001
	s_xor_b32 s13, exec_lo, -1
; %bb.10463:                            ;   in Loop: Header=BB6_8078 Depth=3
	s_or_b32 exec_lo, exec_lo, s31
	s_delay_alu instid0(SALU_CYCLE_1)
	s_and_b32 s13, s13, exec_lo
                                        ; implicit-def: $vgpr27
	s_or_saveexec_b32 s30, s30
	v_mov_b32_e32 v26, s17
	s_xor_b32 exec_lo, exec_lo, s30
	s_cbranch_execz .LBB6_9513
.LBB6_10464:                            ;   in Loop: Header=BB6_8078 Depth=3
	v_cmp_ne_u16_e32 vcc_lo, 0, v27
	v_mov_b32_e32 v26, 0
	s_and_not1_b32 s13, s13, exec_lo
	s_and_b32 s17, vcc_lo, exec_lo
	s_delay_alu instid0(SALU_CYCLE_1)
	s_or_b32 s13, s13, s17
	s_or_b32 exec_lo, exec_lo, s30
	s_and_saveexec_b32 s17, s13
	s_cbranch_execnz .LBB6_9514
	s_branch .LBB6_9515
.LBB6_10465:                            ;   in Loop: Header=BB6_8078 Depth=3
	s_mov_b32 s13, -1
	s_mov_b32 s31, exec_lo
                                        ; implicit-def: $sgpr17
	v_cmpx_eq_u16_e32 0x80, v27
; %bb.10466:                            ;   in Loop: Header=BB6_8078 Depth=3
	s_mov_b32 s17, 0x7f800001
	s_xor_b32 s13, exec_lo, -1
; %bb.10467:                            ;   in Loop: Header=BB6_8078 Depth=3
	s_or_b32 exec_lo, exec_lo, s31
	s_delay_alu instid0(SALU_CYCLE_1)
	s_and_b32 s13, s13, exec_lo
	s_or_saveexec_b32 s30, s30
	v_mov_b32_e32 v36, s17
	s_xor_b32 exec_lo, exec_lo, s30
	s_cbranch_execz .LBB6_9517
.LBB6_10468:                            ;   in Loop: Header=BB6_8078 Depth=3
	v_cmp_ne_u16_e32 vcc_lo, 0, v27
	v_mov_b32_e32 v36, 0
	s_and_not1_b32 s13, s13, exec_lo
	s_and_b32 s17, vcc_lo, exec_lo
	s_delay_alu instid0(SALU_CYCLE_1)
	s_or_b32 s13, s13, s17
	s_or_b32 exec_lo, exec_lo, s30
	s_and_saveexec_b32 s17, s13
	s_cbranch_execnz .LBB6_9518
	s_branch .LBB6_9519
.LBB6_10469:                            ;   in Loop: Header=BB6_8078 Depth=3
	s_mov_b32 s13, -1
	s_mov_b32 s31, exec_lo
                                        ; implicit-def: $sgpr17
	v_cmpx_eq_u16_e32 0x80, v27
; %bb.10470:                            ;   in Loop: Header=BB6_8078 Depth=3
	s_mov_b32 s17, 0x7f800001
	s_xor_b32 s13, exec_lo, -1
; %bb.10471:                            ;   in Loop: Header=BB6_8078 Depth=3
	s_or_b32 exec_lo, exec_lo, s31
	s_delay_alu instid0(SALU_CYCLE_1)
	s_and_b32 s13, s13, exec_lo
                                        ; implicit-def: $vgpr27
	s_or_saveexec_b32 s30, s30
	v_mov_b32_e32 v26, s17
	s_xor_b32 exec_lo, exec_lo, s30
	s_cbranch_execz .LBB6_9529
.LBB6_10472:                            ;   in Loop: Header=BB6_8078 Depth=3
	v_cmp_ne_u16_e32 vcc_lo, 0, v27
	v_mov_b32_e32 v26, 0
	s_and_not1_b32 s13, s13, exec_lo
	s_and_b32 s17, vcc_lo, exec_lo
	s_delay_alu instid0(SALU_CYCLE_1)
	s_or_b32 s13, s13, s17
	s_or_b32 exec_lo, exec_lo, s30
	s_and_saveexec_b32 s17, s13
	s_cbranch_execnz .LBB6_9530
	s_branch .LBB6_9531
.LBB6_10473:                            ;   in Loop: Header=BB6_8078 Depth=3
	s_mov_b32 s13, -1
	s_mov_b32 s31, exec_lo
                                        ; implicit-def: $sgpr17
	v_cmpx_eq_u16_e32 0x80, v37
; %bb.10474:                            ;   in Loop: Header=BB6_8078 Depth=3
	s_mov_b32 s17, 0x7f800001
	s_xor_b32 s13, exec_lo, -1
; %bb.10475:                            ;   in Loop: Header=BB6_8078 Depth=3
	s_or_b32 exec_lo, exec_lo, s31
	s_delay_alu instid0(SALU_CYCLE_1)
	s_and_b32 s13, s13, exec_lo
                                        ; implicit-def: $vgpr37
	s_or_saveexec_b32 s30, s30
	v_mov_b32_e32 v36, s17
	s_xor_b32 exec_lo, exec_lo, s30
	s_cbranch_execz .LBB6_9533
.LBB6_10476:                            ;   in Loop: Header=BB6_8078 Depth=3
	v_cmp_ne_u16_e32 vcc_lo, 0, v37
	v_mov_b32_e32 v36, 0
	s_and_not1_b32 s13, s13, exec_lo
	s_and_b32 s17, vcc_lo, exec_lo
	s_delay_alu instid0(SALU_CYCLE_1)
	s_or_b32 s13, s13, s17
	s_or_b32 exec_lo, exec_lo, s30
	s_and_saveexec_b32 s17, s13
	s_cbranch_execnz .LBB6_9534
	s_branch .LBB6_9535
.LBB6_10477:                            ;   in Loop: Header=BB6_8078 Depth=3
	s_mov_b32 s13, -1
	s_mov_b32 s31, exec_lo
                                        ; implicit-def: $sgpr17
	v_cmpx_eq_u16_e32 0x80, v27
; %bb.10478:                            ;   in Loop: Header=BB6_8078 Depth=3
	s_mov_b32 s17, 0x7f800001
	s_xor_b32 s13, exec_lo, -1
; %bb.10479:                            ;   in Loop: Header=BB6_8078 Depth=3
	s_or_b32 exec_lo, exec_lo, s31
	s_delay_alu instid0(SALU_CYCLE_1)
	s_and_b32 s13, s13, exec_lo
	s_or_saveexec_b32 s30, s30
	v_mov_b32_e32 v26, s17
	s_xor_b32 exec_lo, exec_lo, s30
	s_cbranch_execz .LBB6_9545
.LBB6_10480:                            ;   in Loop: Header=BB6_8078 Depth=3
	v_cmp_ne_u16_e32 vcc_lo, 0, v27
	v_mov_b32_e32 v26, 0
	s_and_not1_b32 s13, s13, exec_lo
	s_and_b32 s17, vcc_lo, exec_lo
	s_delay_alu instid0(SALU_CYCLE_1)
	s_or_b32 s13, s13, s17
	s_or_b32 exec_lo, exec_lo, s30
	s_and_saveexec_b32 s17, s13
	s_cbranch_execnz .LBB6_9546
	s_branch .LBB6_9547
.LBB6_10481:                            ;   in Loop: Header=BB6_8078 Depth=3
	s_mov_b32 s13, -1
	s_mov_b32 s31, exec_lo
                                        ; implicit-def: $sgpr17
	v_cmpx_eq_u16_e32 0x80, v27
; %bb.10482:                            ;   in Loop: Header=BB6_8078 Depth=3
	s_mov_b32 s17, 0x7f800001
	s_xor_b32 s13, exec_lo, -1
; %bb.10483:                            ;   in Loop: Header=BB6_8078 Depth=3
	s_or_b32 exec_lo, exec_lo, s31
	s_delay_alu instid0(SALU_CYCLE_1)
	s_and_b32 s13, s13, exec_lo
	s_or_saveexec_b32 s30, s30
	v_mov_b32_e32 v36, s17
	s_xor_b32 exec_lo, exec_lo, s30
	s_cbranch_execz .LBB6_9549
.LBB6_10484:                            ;   in Loop: Header=BB6_8078 Depth=3
	v_cmp_ne_u16_e32 vcc_lo, 0, v27
	v_mov_b32_e32 v36, 0
	s_and_not1_b32 s13, s13, exec_lo
	s_and_b32 s17, vcc_lo, exec_lo
	s_delay_alu instid0(SALU_CYCLE_1)
	s_or_b32 s13, s13, s17
	s_or_b32 exec_lo, exec_lo, s30
	s_and_saveexec_b32 s17, s13
	s_cbranch_execnz .LBB6_9550
	s_branch .LBB6_9551
.LBB6_10485:                            ;   in Loop: Header=BB6_8078 Depth=3
	s_mov_b32 s13, -1
	s_mov_b32 s31, exec_lo
                                        ; implicit-def: $sgpr17
	v_cmpx_eq_u16_e32 0x80, v36
; %bb.10486:                            ;   in Loop: Header=BB6_8078 Depth=3
	s_mov_b32 s17, 0x7f800001
	s_xor_b32 s13, exec_lo, -1
; %bb.10487:                            ;   in Loop: Header=BB6_8078 Depth=3
	s_or_b32 exec_lo, exec_lo, s31
	s_delay_alu instid0(SALU_CYCLE_1)
	s_and_b32 s13, s13, exec_lo
                                        ; implicit-def: $vgpr36
	s_or_saveexec_b32 s30, s30
	v_mov_b32_e32 v27, s17
	s_xor_b32 exec_lo, exec_lo, s30
	s_cbranch_execz .LBB6_9561
.LBB6_10488:                            ;   in Loop: Header=BB6_8078 Depth=3
	v_cmp_ne_u16_e32 vcc_lo, 0, v36
	v_mov_b32_e32 v27, 0
	s_and_not1_b32 s13, s13, exec_lo
	s_and_b32 s17, vcc_lo, exec_lo
	s_delay_alu instid0(SALU_CYCLE_1)
	s_or_b32 s13, s13, s17
	s_or_b32 exec_lo, exec_lo, s30
	s_and_saveexec_b32 s17, s13
	s_cbranch_execnz .LBB6_9562
	s_branch .LBB6_9563
.LBB6_10489:                            ;   in Loop: Header=BB6_8078 Depth=3
	s_mov_b32 s13, -1
	s_mov_b32 s31, exec_lo
                                        ; implicit-def: $sgpr17
	v_cmpx_eq_u16_e32 0x80, v37
; %bb.10490:                            ;   in Loop: Header=BB6_8078 Depth=3
	s_mov_b32 s17, 0x7f800001
	s_xor_b32 s13, exec_lo, -1
; %bb.10491:                            ;   in Loop: Header=BB6_8078 Depth=3
	s_or_b32 exec_lo, exec_lo, s31
	s_delay_alu instid0(SALU_CYCLE_1)
	s_and_b32 s13, s13, exec_lo
                                        ; implicit-def: $vgpr37
	s_or_saveexec_b32 s30, s30
	v_mov_b32_e32 v36, s17
	s_xor_b32 exec_lo, exec_lo, s30
	s_cbranch_execz .LBB6_9565
.LBB6_10492:                            ;   in Loop: Header=BB6_8078 Depth=3
	v_cmp_ne_u16_e32 vcc_lo, 0, v37
	v_mov_b32_e32 v36, 0
	s_and_not1_b32 s13, s13, exec_lo
	s_and_b32 s17, vcc_lo, exec_lo
	s_delay_alu instid0(SALU_CYCLE_1)
	s_or_b32 s13, s13, s17
	s_or_b32 exec_lo, exec_lo, s30
	s_and_saveexec_b32 s17, s13
	s_cbranch_execnz .LBB6_9566
	s_branch .LBB6_9567
.LBB6_10493:                            ;   in Loop: Header=BB6_8078 Depth=3
	s_mov_b32 s13, -1
	s_mov_b32 s31, exec_lo
                                        ; implicit-def: $sgpr17
	v_cmpx_eq_u16_e32 0x80, v36
; %bb.10494:                            ;   in Loop: Header=BB6_8078 Depth=3
	s_mov_b32 s17, 0x7f800001
	s_xor_b32 s13, exec_lo, -1
; %bb.10495:                            ;   in Loop: Header=BB6_8078 Depth=3
	s_or_b32 exec_lo, exec_lo, s31
	s_delay_alu instid0(SALU_CYCLE_1)
	s_and_b32 s13, s13, exec_lo
	s_or_saveexec_b32 s30, s30
	v_mov_b32_e32 v27, s17
	s_xor_b32 exec_lo, exec_lo, s30
	s_cbranch_execz .LBB6_9577
.LBB6_10496:                            ;   in Loop: Header=BB6_8078 Depth=3
	v_cmp_ne_u16_e32 vcc_lo, 0, v36
	v_mov_b32_e32 v27, 0
	s_and_not1_b32 s13, s13, exec_lo
	s_and_b32 s17, vcc_lo, exec_lo
	s_delay_alu instid0(SALU_CYCLE_1)
	s_or_b32 s13, s13, s17
	s_or_b32 exec_lo, exec_lo, s30
	s_and_saveexec_b32 s17, s13
	s_cbranch_execnz .LBB6_9578
	s_branch .LBB6_9579
.LBB6_10497:                            ;   in Loop: Header=BB6_8078 Depth=3
	s_mov_b32 s13, -1
	s_mov_b32 s31, exec_lo
                                        ; implicit-def: $sgpr17
	v_cmpx_eq_u16_e32 0x80, v36
; %bb.10498:                            ;   in Loop: Header=BB6_8078 Depth=3
	s_mov_b32 s17, 0x7f800001
	s_xor_b32 s13, exec_lo, -1
; %bb.10499:                            ;   in Loop: Header=BB6_8078 Depth=3
	s_or_b32 exec_lo, exec_lo, s31
	s_delay_alu instid0(SALU_CYCLE_1)
	s_and_b32 s13, s13, exec_lo
	s_or_saveexec_b32 s30, s30
	v_mov_b32_e32 v37, s17
	s_xor_b32 exec_lo, exec_lo, s30
	s_cbranch_execz .LBB6_9581
.LBB6_10500:                            ;   in Loop: Header=BB6_8078 Depth=3
	v_cmp_ne_u16_e32 vcc_lo, 0, v36
	v_mov_b32_e32 v37, 0
	s_and_not1_b32 s13, s13, exec_lo
	s_and_b32 s17, vcc_lo, exec_lo
	s_delay_alu instid0(SALU_CYCLE_1)
	s_or_b32 s13, s13, s17
	s_or_b32 exec_lo, exec_lo, s30
	s_and_saveexec_b32 s17, s13
	s_cbranch_execnz .LBB6_9582
	s_branch .LBB6_9583
.LBB6_10501:                            ;   in Loop: Header=BB6_8078 Depth=3
	s_mov_b32 s13, -1
	s_mov_b32 s31, exec_lo
                                        ; implicit-def: $sgpr17
	v_cmpx_eq_u16_e32 0x80, v37
; %bb.10502:                            ;   in Loop: Header=BB6_8078 Depth=3
	s_mov_b32 s17, 0x7f800001
	s_xor_b32 s13, exec_lo, -1
; %bb.10503:                            ;   in Loop: Header=BB6_8078 Depth=3
	s_or_b32 exec_lo, exec_lo, s31
	s_delay_alu instid0(SALU_CYCLE_1)
	s_and_b32 s13, s13, exec_lo
                                        ; implicit-def: $vgpr37
	s_or_saveexec_b32 s30, s30
	v_mov_b32_e32 v27, s17
	s_xor_b32 exec_lo, exec_lo, s30
	s_cbranch_execz .LBB6_9593
.LBB6_10504:                            ;   in Loop: Header=BB6_8078 Depth=3
	v_cmp_ne_u16_e32 vcc_lo, 0, v37
	v_mov_b32_e32 v27, 0
	s_and_not1_b32 s13, s13, exec_lo
	s_and_b32 s17, vcc_lo, exec_lo
	s_delay_alu instid0(SALU_CYCLE_1)
	s_or_b32 s13, s13, s17
	s_or_b32 exec_lo, exec_lo, s30
	v_lshl_or_b32 v26, v36, 16, v26
	s_and_saveexec_b32 s17, s13
	s_cbranch_execnz .LBB6_9594
	s_branch .LBB6_9595
.LBB6_10505:                            ;   in Loop: Header=BB6_8078 Depth=3
	s_mov_b32 s13, -1
	s_mov_b32 s31, exec_lo
                                        ; implicit-def: $sgpr17
	v_cmpx_eq_u16_e32 0x80, v38
; %bb.10506:                            ;   in Loop: Header=BB6_8078 Depth=3
	s_mov_b32 s17, 0x7f800001
	s_xor_b32 s13, exec_lo, -1
; %bb.10507:                            ;   in Loop: Header=BB6_8078 Depth=3
	s_or_b32 exec_lo, exec_lo, s31
	s_delay_alu instid0(SALU_CYCLE_1)
	s_and_b32 s13, s13, exec_lo
                                        ; implicit-def: $vgpr38
	s_or_saveexec_b32 s30, s30
	v_mov_b32_e32 v37, s17
	s_xor_b32 exec_lo, exec_lo, s30
	s_cbranch_execz .LBB6_9597
.LBB6_10508:                            ;   in Loop: Header=BB6_8078 Depth=3
	v_cmp_ne_u16_e32 vcc_lo, 0, v38
	v_mov_b32_e32 v37, 0
	s_and_not1_b32 s13, s13, exec_lo
	s_and_b32 s17, vcc_lo, exec_lo
	s_delay_alu instid0(SALU_CYCLE_1)
	s_or_b32 s13, s13, s17
	s_or_b32 exec_lo, exec_lo, s30
	s_and_saveexec_b32 s17, s13
	s_cbranch_execnz .LBB6_9598
	s_branch .LBB6_9599
.LBB6_10509:                            ;   in Loop: Header=BB6_8078 Depth=3
	s_mov_b32 s13, -1
	s_mov_b32 s31, exec_lo
                                        ; implicit-def: $sgpr17
	v_cmpx_eq_u16_e32 0x80, v36
; %bb.10510:                            ;   in Loop: Header=BB6_8078 Depth=3
	s_mov_b32 s17, 0x7f800001
	s_xor_b32 s13, exec_lo, -1
; %bb.10511:                            ;   in Loop: Header=BB6_8078 Depth=3
	s_or_b32 exec_lo, exec_lo, s31
	s_delay_alu instid0(SALU_CYCLE_1)
	s_and_b32 s13, s13, exec_lo
	s_or_saveexec_b32 s30, s30
	v_mov_b32_e32 v27, s17
	s_xor_b32 exec_lo, exec_lo, s30
	s_cbranch_execz .LBB6_9609
.LBB6_10512:                            ;   in Loop: Header=BB6_8078 Depth=3
	v_cmp_ne_u16_e32 vcc_lo, 0, v36
	v_mov_b32_e32 v27, 0
	s_and_not1_b32 s13, s13, exec_lo
	s_and_b32 s17, vcc_lo, exec_lo
	s_delay_alu instid0(SALU_CYCLE_1)
	s_or_b32 s13, s13, s17
	s_or_b32 exec_lo, exec_lo, s30
	s_and_saveexec_b32 s17, s13
	s_cbranch_execnz .LBB6_9610
	s_branch .LBB6_9611
.LBB6_10513:                            ;   in Loop: Header=BB6_8078 Depth=3
	s_mov_b32 s13, -1
	s_mov_b32 s31, exec_lo
                                        ; implicit-def: $sgpr17
	v_cmpx_eq_u16_e32 0x80, v26
; %bb.10514:                            ;   in Loop: Header=BB6_8078 Depth=3
	s_mov_b32 s17, 0x7f800001
	s_xor_b32 s13, exec_lo, -1
; %bb.10515:                            ;   in Loop: Header=BB6_8078 Depth=3
	s_or_b32 exec_lo, exec_lo, s31
	s_delay_alu instid0(SALU_CYCLE_1)
	s_and_b32 s13, s13, exec_lo
	s_or_saveexec_b32 s30, s30
	v_mov_b32_e32 v36, s17
	s_xor_b32 exec_lo, exec_lo, s30
	s_cbranch_execz .LBB6_9613
.LBB6_10516:                            ;   in Loop: Header=BB6_8078 Depth=3
	v_cmp_ne_u16_e32 vcc_lo, 0, v26
	v_mov_b32_e32 v36, 0
	s_and_not1_b32 s13, s13, exec_lo
	s_and_b32 s17, vcc_lo, exec_lo
	s_delay_alu instid0(SALU_CYCLE_1)
	s_or_b32 s13, s13, s17
	s_or_b32 exec_lo, exec_lo, s30
	s_and_saveexec_b32 s17, s13
	s_cbranch_execnz .LBB6_9614
	s_branch .LBB6_9615
.LBB6_10517:                            ;   in Loop: Header=BB6_8078 Depth=3
	s_mov_b32 s13, -1
	s_mov_b32 s31, exec_lo
                                        ; implicit-def: $sgpr17
	v_cmpx_eq_u16_e32 0x80, v27
; %bb.10518:                            ;   in Loop: Header=BB6_8078 Depth=3
	s_mov_b32 s17, 0x7f800001
	s_xor_b32 s13, exec_lo, -1
; %bb.10519:                            ;   in Loop: Header=BB6_8078 Depth=3
	s_or_b32 exec_lo, exec_lo, s31
	s_delay_alu instid0(SALU_CYCLE_1)
	s_and_b32 s13, s13, exec_lo
                                        ; implicit-def: $vgpr27
	s_or_saveexec_b32 s30, s30
	v_mov_b32_e32 v26, s17
	s_xor_b32 exec_lo, exec_lo, s30
	s_cbranch_execz .LBB6_9625
.LBB6_10520:                            ;   in Loop: Header=BB6_8078 Depth=3
	v_cmp_ne_u16_e32 vcc_lo, 0, v27
	v_mov_b32_e32 v26, 0
	s_and_not1_b32 s13, s13, exec_lo
	s_and_b32 s17, vcc_lo, exec_lo
	s_delay_alu instid0(SALU_CYCLE_1)
	s_or_b32 s13, s13, s17
	s_or_b32 exec_lo, exec_lo, s30
	s_and_saveexec_b32 s17, s13
	s_cbranch_execnz .LBB6_9626
	s_branch .LBB6_9627
.LBB6_10521:                            ;   in Loop: Header=BB6_8078 Depth=3
	s_mov_b32 s13, -1
	s_mov_b32 s31, exec_lo
                                        ; implicit-def: $sgpr17
	v_cmpx_eq_u16_e32 0x80, v36
; %bb.10522:                            ;   in Loop: Header=BB6_8078 Depth=3
	s_mov_b32 s17, 0x7f800001
	s_xor_b32 s13, exec_lo, -1
; %bb.10523:                            ;   in Loop: Header=BB6_8078 Depth=3
	s_or_b32 exec_lo, exec_lo, s31
	s_delay_alu instid0(SALU_CYCLE_1)
	s_and_b32 s13, s13, exec_lo
                                        ; implicit-def: $vgpr36
	s_or_saveexec_b32 s30, s30
	v_mov_b32_e32 v27, s17
	s_xor_b32 exec_lo, exec_lo, s30
	s_cbranch_execz .LBB6_9629
.LBB6_10524:                            ;   in Loop: Header=BB6_8078 Depth=3
	v_cmp_ne_u16_e32 vcc_lo, 0, v36
	v_mov_b32_e32 v27, 0
	s_and_not1_b32 s13, s13, exec_lo
	s_and_b32 s17, vcc_lo, exec_lo
	s_delay_alu instid0(SALU_CYCLE_1)
	s_or_b32 s13, s13, s17
	s_or_b32 exec_lo, exec_lo, s30
	s_and_saveexec_b32 s17, s13
	s_cbranch_execnz .LBB6_9630
	s_branch .LBB6_9631
.LBB6_10525:                            ;   in Loop: Header=BB6_8078 Depth=3
	s_mov_b32 s13, -1
	s_mov_b32 s31, exec_lo
                                        ; implicit-def: $sgpr17
	v_cmpx_eq_u16_e32 0x80, v27
; %bb.10526:                            ;   in Loop: Header=BB6_8078 Depth=3
	s_mov_b32 s17, 0x7f800001
	s_xor_b32 s13, exec_lo, -1
; %bb.10527:                            ;   in Loop: Header=BB6_8078 Depth=3
	s_or_b32 exec_lo, exec_lo, s31
	s_delay_alu instid0(SALU_CYCLE_1)
	s_and_b32 s13, s13, exec_lo
                                        ; implicit-def: $vgpr27
	s_or_saveexec_b32 s30, s30
	v_mov_b32_e32 v26, s17
	s_xor_b32 exec_lo, exec_lo, s30
	s_cbranch_execz .LBB6_9641
.LBB6_10528:                            ;   in Loop: Header=BB6_8078 Depth=3
	v_cmp_ne_u16_e32 vcc_lo, 0, v27
	v_mov_b32_e32 v26, 0
	s_and_not1_b32 s13, s13, exec_lo
	s_and_b32 s17, vcc_lo, exec_lo
	s_delay_alu instid0(SALU_CYCLE_1)
	s_or_b32 s13, s13, s17
	s_or_b32 exec_lo, exec_lo, s30
	s_and_saveexec_b32 s17, s13
	s_cbranch_execnz .LBB6_9642
	s_branch .LBB6_9643
.LBB6_10529:                            ;   in Loop: Header=BB6_8078 Depth=3
	s_mov_b32 s13, -1
	s_mov_b32 s31, exec_lo
                                        ; implicit-def: $sgpr17
	v_cmpx_eq_u16_e32 0x80, v27
; %bb.10530:                            ;   in Loop: Header=BB6_8078 Depth=3
	s_mov_b32 s17, 0x7f800001
	s_xor_b32 s13, exec_lo, -1
; %bb.10531:                            ;   in Loop: Header=BB6_8078 Depth=3
	s_or_b32 exec_lo, exec_lo, s31
	s_delay_alu instid0(SALU_CYCLE_1)
	s_and_b32 s13, s13, exec_lo
	s_or_saveexec_b32 s30, s30
	v_mov_b32_e32 v36, s17
	s_xor_b32 exec_lo, exec_lo, s30
	s_cbranch_execz .LBB6_9645
.LBB6_10532:                            ;   in Loop: Header=BB6_8078 Depth=3
	v_cmp_ne_u16_e32 vcc_lo, 0, v27
	v_mov_b32_e32 v36, 0
	s_and_not1_b32 s13, s13, exec_lo
	s_and_b32 s17, vcc_lo, exec_lo
	s_delay_alu instid0(SALU_CYCLE_1)
	s_or_b32 s13, s13, s17
	s_or_b32 exec_lo, exec_lo, s30
	s_and_saveexec_b32 s17, s13
	s_cbranch_execnz .LBB6_9646
	s_branch .LBB6_9647
.LBB6_10533:                            ;   in Loop: Header=BB6_8078 Depth=3
	s_mov_b32 s13, -1
	s_mov_b32 s31, exec_lo
                                        ; implicit-def: $sgpr17
	v_cmpx_eq_u16_e32 0x80, v27
; %bb.10534:                            ;   in Loop: Header=BB6_8078 Depth=3
	s_mov_b32 s17, 0x7f800001
	s_xor_b32 s13, exec_lo, -1
; %bb.10535:                            ;   in Loop: Header=BB6_8078 Depth=3
	s_or_b32 exec_lo, exec_lo, s31
	s_delay_alu instid0(SALU_CYCLE_1)
	s_and_b32 s13, s13, exec_lo
                                        ; implicit-def: $vgpr27
	s_or_saveexec_b32 s30, s30
	v_mov_b32_e32 v26, s17
	s_xor_b32 exec_lo, exec_lo, s30
	s_cbranch_execz .LBB6_9657
.LBB6_10536:                            ;   in Loop: Header=BB6_8078 Depth=3
	v_cmp_ne_u16_e32 vcc_lo, 0, v27
	v_mov_b32_e32 v26, 0
	s_and_not1_b32 s13, s13, exec_lo
	s_and_b32 s17, vcc_lo, exec_lo
	s_delay_alu instid0(SALU_CYCLE_1)
	s_or_b32 s13, s13, s17
	s_or_b32 exec_lo, exec_lo, s30
	s_and_saveexec_b32 s17, s13
	s_cbranch_execnz .LBB6_9658
	s_branch .LBB6_9659
.LBB6_10537:                            ;   in Loop: Header=BB6_8078 Depth=3
	s_mov_b32 s13, -1
	s_mov_b32 s31, exec_lo
                                        ; implicit-def: $sgpr17
	v_cmpx_eq_u16_e32 0x80, v37
; %bb.10538:                            ;   in Loop: Header=BB6_8078 Depth=3
	s_mov_b32 s17, 0x7f800001
	s_xor_b32 s13, exec_lo, -1
; %bb.10539:                            ;   in Loop: Header=BB6_8078 Depth=3
	s_or_b32 exec_lo, exec_lo, s31
	s_delay_alu instid0(SALU_CYCLE_1)
	s_and_b32 s13, s13, exec_lo
                                        ; implicit-def: $vgpr37
	s_or_saveexec_b32 s30, s30
	v_mov_b32_e32 v36, s17
	s_xor_b32 exec_lo, exec_lo, s30
	s_cbranch_execz .LBB6_9661
.LBB6_10540:                            ;   in Loop: Header=BB6_8078 Depth=3
	v_cmp_ne_u16_e32 vcc_lo, 0, v37
	v_mov_b32_e32 v36, 0
	s_and_not1_b32 s13, s13, exec_lo
	s_and_b32 s17, vcc_lo, exec_lo
	s_delay_alu instid0(SALU_CYCLE_1)
	s_or_b32 s13, s13, s17
	s_or_b32 exec_lo, exec_lo, s30
	s_and_saveexec_b32 s17, s13
	s_cbranch_execnz .LBB6_9662
	s_branch .LBB6_9663
.LBB6_10541:                            ;   in Loop: Header=BB6_8078 Depth=3
	s_mov_b32 s13, -1
	s_mov_b32 s31, exec_lo
                                        ; implicit-def: $sgpr17
	v_cmpx_eq_u16_e32 0x80, v27
; %bb.10542:                            ;   in Loop: Header=BB6_8078 Depth=3
	s_mov_b32 s17, 0x7f800001
	s_xor_b32 s13, exec_lo, -1
; %bb.10543:                            ;   in Loop: Header=BB6_8078 Depth=3
	s_or_b32 exec_lo, exec_lo, s31
	s_delay_alu instid0(SALU_CYCLE_1)
	s_and_b32 s13, s13, exec_lo
	s_or_saveexec_b32 s30, s30
	v_mov_b32_e32 v26, s17
	s_xor_b32 exec_lo, exec_lo, s30
	s_cbranch_execz .LBB6_9673
.LBB6_10544:                            ;   in Loop: Header=BB6_8078 Depth=3
	v_cmp_ne_u16_e32 vcc_lo, 0, v27
	v_mov_b32_e32 v26, 0
	s_and_not1_b32 s13, s13, exec_lo
	s_and_b32 s17, vcc_lo, exec_lo
	s_delay_alu instid0(SALU_CYCLE_1)
	s_or_b32 s13, s13, s17
	s_or_b32 exec_lo, exec_lo, s30
	s_and_saveexec_b32 s17, s13
	s_cbranch_execnz .LBB6_9674
	s_branch .LBB6_9675
.LBB6_10545:                            ;   in Loop: Header=BB6_8078 Depth=3
	s_mov_b32 s13, -1
	s_mov_b32 s31, exec_lo
                                        ; implicit-def: $sgpr17
	v_cmpx_eq_u16_e32 0x80, v27
; %bb.10546:                            ;   in Loop: Header=BB6_8078 Depth=3
	s_mov_b32 s17, 0x7f800001
	s_xor_b32 s13, exec_lo, -1
; %bb.10547:                            ;   in Loop: Header=BB6_8078 Depth=3
	s_or_b32 exec_lo, exec_lo, s31
	s_delay_alu instid0(SALU_CYCLE_1)
	s_and_b32 s13, s13, exec_lo
	s_or_saveexec_b32 s30, s30
	v_mov_b32_e32 v36, s17
	s_xor_b32 exec_lo, exec_lo, s30
	s_cbranch_execz .LBB6_9677
.LBB6_10548:                            ;   in Loop: Header=BB6_8078 Depth=3
	v_cmp_ne_u16_e32 vcc_lo, 0, v27
	v_mov_b32_e32 v36, 0
	s_and_not1_b32 s13, s13, exec_lo
	s_and_b32 s17, vcc_lo, exec_lo
	s_delay_alu instid0(SALU_CYCLE_1)
	s_or_b32 s13, s13, s17
	s_or_b32 exec_lo, exec_lo, s30
	s_and_saveexec_b32 s17, s13
	s_cbranch_execnz .LBB6_9678
	s_branch .LBB6_9679
.LBB6_10549:                            ;   in Loop: Header=BB6_8078 Depth=3
	s_mov_b32 s13, -1
	s_mov_b32 s31, exec_lo
                                        ; implicit-def: $sgpr17
	v_cmpx_eq_u16_e32 0x80, v36
; %bb.10550:                            ;   in Loop: Header=BB6_8078 Depth=3
	s_mov_b32 s17, 0x7f800001
	s_xor_b32 s13, exec_lo, -1
; %bb.10551:                            ;   in Loop: Header=BB6_8078 Depth=3
	s_or_b32 exec_lo, exec_lo, s31
	s_delay_alu instid0(SALU_CYCLE_1)
	s_and_b32 s13, s13, exec_lo
                                        ; implicit-def: $vgpr36
	s_or_saveexec_b32 s30, s30
	v_mov_b32_e32 v27, s17
	s_xor_b32 exec_lo, exec_lo, s30
	s_cbranch_execz .LBB6_9689
.LBB6_10552:                            ;   in Loop: Header=BB6_8078 Depth=3
	v_cmp_ne_u16_e32 vcc_lo, 0, v36
	v_mov_b32_e32 v27, 0
	s_and_not1_b32 s13, s13, exec_lo
	s_and_b32 s17, vcc_lo, exec_lo
	s_delay_alu instid0(SALU_CYCLE_1)
	s_or_b32 s13, s13, s17
	s_or_b32 exec_lo, exec_lo, s30
	s_and_saveexec_b32 s17, s13
	s_cbranch_execnz .LBB6_9690
	s_branch .LBB6_9691
.LBB6_10553:                            ;   in Loop: Header=BB6_8078 Depth=3
	s_mov_b32 s13, -1
	s_mov_b32 s31, exec_lo
                                        ; implicit-def: $sgpr17
	v_cmpx_eq_u16_e32 0x80, v37
; %bb.10554:                            ;   in Loop: Header=BB6_8078 Depth=3
	s_mov_b32 s17, 0x7f800001
	s_xor_b32 s13, exec_lo, -1
; %bb.10555:                            ;   in Loop: Header=BB6_8078 Depth=3
	s_or_b32 exec_lo, exec_lo, s31
	s_delay_alu instid0(SALU_CYCLE_1)
	s_and_b32 s13, s13, exec_lo
                                        ; implicit-def: $vgpr37
	s_or_saveexec_b32 s30, s30
	v_mov_b32_e32 v36, s17
	s_xor_b32 exec_lo, exec_lo, s30
	s_cbranch_execz .LBB6_9693
.LBB6_10556:                            ;   in Loop: Header=BB6_8078 Depth=3
	v_cmp_ne_u16_e32 vcc_lo, 0, v37
	v_mov_b32_e32 v36, 0
	s_and_not1_b32 s13, s13, exec_lo
	s_and_b32 s17, vcc_lo, exec_lo
	s_delay_alu instid0(SALU_CYCLE_1)
	s_or_b32 s13, s13, s17
	s_or_b32 exec_lo, exec_lo, s30
	s_and_saveexec_b32 s17, s13
	s_cbranch_execnz .LBB6_9694
	s_branch .LBB6_9695
.LBB6_10557:                            ;   in Loop: Header=BB6_8078 Depth=3
	s_mov_b32 s13, -1
	s_mov_b32 s31, exec_lo
                                        ; implicit-def: $sgpr17
	v_cmpx_eq_u16_e32 0x80, v36
; %bb.10558:                            ;   in Loop: Header=BB6_8078 Depth=3
	s_mov_b32 s17, 0x7f800001
	s_xor_b32 s13, exec_lo, -1
; %bb.10559:                            ;   in Loop: Header=BB6_8078 Depth=3
	s_or_b32 exec_lo, exec_lo, s31
	s_delay_alu instid0(SALU_CYCLE_1)
	s_and_b32 s13, s13, exec_lo
	s_or_saveexec_b32 s30, s30
	v_mov_b32_e32 v27, s17
	s_xor_b32 exec_lo, exec_lo, s30
	s_cbranch_execz .LBB6_9705
.LBB6_10560:                            ;   in Loop: Header=BB6_8078 Depth=3
	v_cmp_ne_u16_e32 vcc_lo, 0, v36
	v_mov_b32_e32 v27, 0
	s_and_not1_b32 s13, s13, exec_lo
	s_and_b32 s17, vcc_lo, exec_lo
	s_delay_alu instid0(SALU_CYCLE_1)
	s_or_b32 s13, s13, s17
	s_or_b32 exec_lo, exec_lo, s30
	s_and_saveexec_b32 s17, s13
	s_cbranch_execnz .LBB6_9706
	s_branch .LBB6_9707
.LBB6_10561:                            ;   in Loop: Header=BB6_8078 Depth=3
	s_mov_b32 s13, -1
	s_mov_b32 s31, exec_lo
                                        ; implicit-def: $sgpr17
	v_cmpx_eq_u16_e32 0x80, v36
; %bb.10562:                            ;   in Loop: Header=BB6_8078 Depth=3
	s_mov_b32 s17, 0x7f800001
	s_xor_b32 s13, exec_lo, -1
; %bb.10563:                            ;   in Loop: Header=BB6_8078 Depth=3
	s_or_b32 exec_lo, exec_lo, s31
	s_delay_alu instid0(SALU_CYCLE_1)
	s_and_b32 s13, s13, exec_lo
	s_or_saveexec_b32 s30, s30
	v_mov_b32_e32 v37, s17
	s_xor_b32 exec_lo, exec_lo, s30
	s_cbranch_execz .LBB6_9709
.LBB6_10564:                            ;   in Loop: Header=BB6_8078 Depth=3
	v_cmp_ne_u16_e32 vcc_lo, 0, v36
	v_mov_b32_e32 v37, 0
	s_and_not1_b32 s13, s13, exec_lo
	s_and_b32 s17, vcc_lo, exec_lo
	s_delay_alu instid0(SALU_CYCLE_1)
	s_or_b32 s13, s13, s17
	s_or_b32 exec_lo, exec_lo, s30
	s_and_saveexec_b32 s17, s13
	s_cbranch_execnz .LBB6_9710
	s_branch .LBB6_9711
.LBB6_10565:                            ;   in Loop: Header=BB6_8078 Depth=3
	s_mov_b32 s13, -1
	s_mov_b32 s31, exec_lo
                                        ; implicit-def: $sgpr17
	v_cmpx_eq_u16_e32 0x80, v37
; %bb.10566:                            ;   in Loop: Header=BB6_8078 Depth=3
	s_mov_b32 s17, 0x7f800001
	s_xor_b32 s13, exec_lo, -1
; %bb.10567:                            ;   in Loop: Header=BB6_8078 Depth=3
	s_or_b32 exec_lo, exec_lo, s31
	s_delay_alu instid0(SALU_CYCLE_1)
	s_and_b32 s13, s13, exec_lo
                                        ; implicit-def: $vgpr37
	s_or_saveexec_b32 s30, s30
	v_mov_b32_e32 v27, s17
	s_xor_b32 exec_lo, exec_lo, s30
	s_cbranch_execz .LBB6_9721
.LBB6_10568:                            ;   in Loop: Header=BB6_8078 Depth=3
	v_cmp_ne_u16_e32 vcc_lo, 0, v37
	v_mov_b32_e32 v27, 0
	s_and_not1_b32 s13, s13, exec_lo
	s_and_b32 s17, vcc_lo, exec_lo
	s_delay_alu instid0(SALU_CYCLE_1)
	s_or_b32 s13, s13, s17
	s_or_b32 exec_lo, exec_lo, s30
	v_lshl_or_b32 v26, v36, 16, v26
	s_and_saveexec_b32 s17, s13
	s_cbranch_execnz .LBB6_9722
	s_branch .LBB6_9723
.LBB6_10569:                            ;   in Loop: Header=BB6_8078 Depth=3
	s_mov_b32 s13, -1
	s_mov_b32 s31, exec_lo
                                        ; implicit-def: $sgpr17
	v_cmpx_eq_u16_e32 0x80, v38
; %bb.10570:                            ;   in Loop: Header=BB6_8078 Depth=3
	s_mov_b32 s17, 0x7f800001
	s_xor_b32 s13, exec_lo, -1
; %bb.10571:                            ;   in Loop: Header=BB6_8078 Depth=3
	s_or_b32 exec_lo, exec_lo, s31
	s_delay_alu instid0(SALU_CYCLE_1)
	s_and_b32 s13, s13, exec_lo
                                        ; implicit-def: $vgpr38
	s_or_saveexec_b32 s30, s30
	v_mov_b32_e32 v37, s17
	s_xor_b32 exec_lo, exec_lo, s30
	s_cbranch_execz .LBB6_9725
.LBB6_10572:                            ;   in Loop: Header=BB6_8078 Depth=3
	v_cmp_ne_u16_e32 vcc_lo, 0, v38
	v_mov_b32_e32 v37, 0
	s_and_not1_b32 s13, s13, exec_lo
	s_and_b32 s17, vcc_lo, exec_lo
	s_delay_alu instid0(SALU_CYCLE_1)
	s_or_b32 s13, s13, s17
	s_or_b32 exec_lo, exec_lo, s30
	s_and_saveexec_b32 s17, s13
	s_cbranch_execnz .LBB6_9726
	s_branch .LBB6_9727
.LBB6_10573:                            ;   in Loop: Header=BB6_8078 Depth=3
	s_mov_b32 s13, -1
	s_mov_b32 s31, exec_lo
                                        ; implicit-def: $sgpr17
	v_cmpx_eq_u16_e32 0x80, v36
; %bb.10574:                            ;   in Loop: Header=BB6_8078 Depth=3
	s_mov_b32 s17, 0x7f800001
	s_xor_b32 s13, exec_lo, -1
; %bb.10575:                            ;   in Loop: Header=BB6_8078 Depth=3
	s_or_b32 exec_lo, exec_lo, s31
	s_delay_alu instid0(SALU_CYCLE_1)
	s_and_b32 s13, s13, exec_lo
	s_or_saveexec_b32 s30, s30
	v_mov_b32_e32 v27, s17
	s_xor_b32 exec_lo, exec_lo, s30
	s_cbranch_execz .LBB6_9737
.LBB6_10576:                            ;   in Loop: Header=BB6_8078 Depth=3
	v_cmp_ne_u16_e32 vcc_lo, 0, v36
	v_mov_b32_e32 v27, 0
	s_and_not1_b32 s13, s13, exec_lo
	s_and_b32 s17, vcc_lo, exec_lo
	s_delay_alu instid0(SALU_CYCLE_1)
	s_or_b32 s13, s13, s17
	s_or_b32 exec_lo, exec_lo, s30
	s_and_saveexec_b32 s17, s13
	s_cbranch_execnz .LBB6_9738
	s_branch .LBB6_9739
.LBB6_10577:                            ;   in Loop: Header=BB6_8078 Depth=3
	s_mov_b32 s13, -1
	s_mov_b32 s31, exec_lo
                                        ; implicit-def: $sgpr17
	v_cmpx_eq_u16_e32 0x80, v26
; %bb.10578:                            ;   in Loop: Header=BB6_8078 Depth=3
	s_mov_b32 s17, 0x7f800001
	s_xor_b32 s13, exec_lo, -1
; %bb.10579:                            ;   in Loop: Header=BB6_8078 Depth=3
	s_or_b32 exec_lo, exec_lo, s31
	s_delay_alu instid0(SALU_CYCLE_1)
	s_and_b32 s13, s13, exec_lo
	s_or_saveexec_b32 s30, s30
	v_mov_b32_e32 v36, s17
	s_xor_b32 exec_lo, exec_lo, s30
	s_cbranch_execz .LBB6_9741
.LBB6_10580:                            ;   in Loop: Header=BB6_8078 Depth=3
	v_cmp_ne_u16_e32 vcc_lo, 0, v26
	v_mov_b32_e32 v36, 0
	s_and_not1_b32 s13, s13, exec_lo
	s_and_b32 s17, vcc_lo, exec_lo
	s_delay_alu instid0(SALU_CYCLE_1)
	s_or_b32 s13, s13, s17
	s_or_b32 exec_lo, exec_lo, s30
	s_and_saveexec_b32 s17, s13
	s_cbranch_execnz .LBB6_9742
	s_branch .LBB6_9743
.LBB6_10581:                            ;   in Loop: Header=BB6_8078 Depth=3
	s_mov_b32 s13, -1
	s_mov_b32 s31, exec_lo
                                        ; implicit-def: $sgpr17
	v_cmpx_eq_u16_e32 0x80, v27
; %bb.10582:                            ;   in Loop: Header=BB6_8078 Depth=3
	s_mov_b32 s17, 0x7f800001
	s_xor_b32 s13, exec_lo, -1
; %bb.10583:                            ;   in Loop: Header=BB6_8078 Depth=3
	s_or_b32 exec_lo, exec_lo, s31
	s_delay_alu instid0(SALU_CYCLE_1)
	s_and_b32 s13, s13, exec_lo
                                        ; implicit-def: $vgpr27
	s_or_saveexec_b32 s30, s30
	v_mov_b32_e32 v26, s17
	s_xor_b32 exec_lo, exec_lo, s30
	s_cbranch_execz .LBB6_9753
.LBB6_10584:                            ;   in Loop: Header=BB6_8078 Depth=3
	v_cmp_ne_u16_e32 vcc_lo, 0, v27
	v_mov_b32_e32 v26, 0
	s_and_not1_b32 s13, s13, exec_lo
	s_and_b32 s17, vcc_lo, exec_lo
	s_delay_alu instid0(SALU_CYCLE_1)
	s_or_b32 s13, s13, s17
	s_or_b32 exec_lo, exec_lo, s30
	s_and_saveexec_b32 s17, s13
	s_cbranch_execnz .LBB6_9754
	s_branch .LBB6_9755
.LBB6_10585:                            ;   in Loop: Header=BB6_8078 Depth=3
	s_mov_b32 s13, -1
	s_mov_b32 s31, exec_lo
                                        ; implicit-def: $sgpr17
	v_cmpx_eq_u16_e32 0x80, v36
; %bb.10586:                            ;   in Loop: Header=BB6_8078 Depth=3
	s_mov_b32 s17, 0x7f800001
	s_xor_b32 s13, exec_lo, -1
; %bb.10587:                            ;   in Loop: Header=BB6_8078 Depth=3
	s_or_b32 exec_lo, exec_lo, s31
	s_delay_alu instid0(SALU_CYCLE_1)
	s_and_b32 s13, s13, exec_lo
                                        ; implicit-def: $vgpr36
	s_or_saveexec_b32 s30, s30
	v_mov_b32_e32 v27, s17
	s_xor_b32 exec_lo, exec_lo, s30
	s_cbranch_execz .LBB6_9757
.LBB6_10588:                            ;   in Loop: Header=BB6_8078 Depth=3
	v_cmp_ne_u16_e32 vcc_lo, 0, v36
	v_mov_b32_e32 v27, 0
	s_and_not1_b32 s13, s13, exec_lo
	s_and_b32 s17, vcc_lo, exec_lo
	s_delay_alu instid0(SALU_CYCLE_1)
	s_or_b32 s13, s13, s17
	s_or_b32 exec_lo, exec_lo, s30
	s_and_saveexec_b32 s17, s13
	s_cbranch_execnz .LBB6_9758
	s_branch .LBB6_9759
.LBB6_10589:                            ;   in Loop: Header=BB6_8078 Depth=3
	s_mov_b32 s13, -1
	s_mov_b32 s31, exec_lo
                                        ; implicit-def: $sgpr17
	v_cmpx_eq_u16_e32 0x80, v27
; %bb.10590:                            ;   in Loop: Header=BB6_8078 Depth=3
	s_mov_b32 s17, 0x7f800001
	s_xor_b32 s13, exec_lo, -1
; %bb.10591:                            ;   in Loop: Header=BB6_8078 Depth=3
	s_or_b32 exec_lo, exec_lo, s31
	s_delay_alu instid0(SALU_CYCLE_1)
	s_and_b32 s13, s13, exec_lo
                                        ; implicit-def: $vgpr27
	s_or_saveexec_b32 s30, s30
	v_mov_b32_e32 v26, s17
	s_xor_b32 exec_lo, exec_lo, s30
	s_cbranch_execz .LBB6_9769
.LBB6_10592:                            ;   in Loop: Header=BB6_8078 Depth=3
	v_cmp_ne_u16_e32 vcc_lo, 0, v27
	v_mov_b32_e32 v26, 0
	s_and_not1_b32 s13, s13, exec_lo
	s_and_b32 s17, vcc_lo, exec_lo
	s_delay_alu instid0(SALU_CYCLE_1)
	s_or_b32 s13, s13, s17
	s_or_b32 exec_lo, exec_lo, s30
	s_and_saveexec_b32 s17, s13
	s_cbranch_execnz .LBB6_9770
	s_branch .LBB6_9771
.LBB6_10593:                            ;   in Loop: Header=BB6_8078 Depth=3
	s_mov_b32 s13, -1
	s_mov_b32 s31, exec_lo
                                        ; implicit-def: $sgpr17
	v_cmpx_eq_u16_e32 0x80, v27
; %bb.10594:                            ;   in Loop: Header=BB6_8078 Depth=3
	s_mov_b32 s17, 0x7f800001
	s_xor_b32 s13, exec_lo, -1
; %bb.10595:                            ;   in Loop: Header=BB6_8078 Depth=3
	s_or_b32 exec_lo, exec_lo, s31
	s_delay_alu instid0(SALU_CYCLE_1)
	s_and_b32 s13, s13, exec_lo
	s_or_saveexec_b32 s30, s30
	v_mov_b32_e32 v36, s17
	s_xor_b32 exec_lo, exec_lo, s30
	s_cbranch_execz .LBB6_9773
.LBB6_10596:                            ;   in Loop: Header=BB6_8078 Depth=3
	v_cmp_ne_u16_e32 vcc_lo, 0, v27
	v_mov_b32_e32 v36, 0
	s_and_not1_b32 s13, s13, exec_lo
	s_and_b32 s17, vcc_lo, exec_lo
	s_delay_alu instid0(SALU_CYCLE_1)
	s_or_b32 s13, s13, s17
	s_or_b32 exec_lo, exec_lo, s30
	s_and_saveexec_b32 s17, s13
	s_cbranch_execnz .LBB6_9774
	s_branch .LBB6_9775
.LBB6_10597:                            ;   in Loop: Header=BB6_8078 Depth=3
	s_mov_b32 s13, -1
	s_mov_b32 s31, exec_lo
                                        ; implicit-def: $sgpr17
	v_cmpx_eq_u16_e32 0x80, v36
; %bb.10598:                            ;   in Loop: Header=BB6_8078 Depth=3
	s_mov_b32 s17, 0x7f800001
	s_xor_b32 s13, exec_lo, -1
; %bb.10599:                            ;   in Loop: Header=BB6_8078 Depth=3
	s_or_b32 exec_lo, exec_lo, s31
	s_delay_alu instid0(SALU_CYCLE_1)
	s_and_b32 s13, s13, exec_lo
                                        ; implicit-def: $vgpr36
	s_or_saveexec_b32 s30, s30
	v_mov_b32_e32 v27, s17
	s_xor_b32 exec_lo, exec_lo, s30
	s_cbranch_execz .LBB6_9785
.LBB6_10600:                            ;   in Loop: Header=BB6_8078 Depth=3
	v_cmp_ne_u16_e32 vcc_lo, 0, v36
	v_mov_b32_e32 v27, 0
	s_and_not1_b32 s13, s13, exec_lo
	s_and_b32 s17, vcc_lo, exec_lo
	s_delay_alu instid0(SALU_CYCLE_1)
	s_or_b32 s13, s13, s17
	s_or_b32 exec_lo, exec_lo, s30
	s_and_saveexec_b32 s17, s13
	s_cbranch_execnz .LBB6_9786
	s_branch .LBB6_9787
.LBB6_10601:                            ;   in Loop: Header=BB6_8078 Depth=3
	s_mov_b32 s13, -1
	s_mov_b32 s31, exec_lo
                                        ; implicit-def: $sgpr17
	v_cmpx_eq_u16_e32 0x80, v38
; %bb.10602:                            ;   in Loop: Header=BB6_8078 Depth=3
	s_mov_b32 s17, 0x7f800001
	s_xor_b32 s13, exec_lo, -1
; %bb.10603:                            ;   in Loop: Header=BB6_8078 Depth=3
	s_or_b32 exec_lo, exec_lo, s31
	s_delay_alu instid0(SALU_CYCLE_1)
	s_and_b32 s13, s13, exec_lo
                                        ; implicit-def: $vgpr38
	s_or_saveexec_b32 s30, s30
	v_mov_b32_e32 v37, s17
	s_xor_b32 exec_lo, exec_lo, s30
	s_cbranch_execz .LBB6_9789
.LBB6_10604:                            ;   in Loop: Header=BB6_8078 Depth=3
	v_cmp_ne_u16_e32 vcc_lo, 0, v38
	v_mov_b32_e32 v37, 0
	s_and_not1_b32 s13, s13, exec_lo
	s_and_b32 s17, vcc_lo, exec_lo
	s_delay_alu instid0(SALU_CYCLE_1)
	s_or_b32 s13, s13, s17
	s_or_b32 exec_lo, exec_lo, s30
	s_and_saveexec_b32 s17, s13
	s_cbranch_execnz .LBB6_9790
	s_branch .LBB6_9791
.LBB6_10605:                            ;   in Loop: Header=BB6_8078 Depth=3
	s_mov_b32 s13, -1
	s_mov_b32 s31, exec_lo
                                        ; implicit-def: $sgpr17
	v_cmpx_eq_u16_e32 0x80, v37
; %bb.10606:                            ;   in Loop: Header=BB6_8078 Depth=3
	s_mov_b32 s17, 0x7f800001
	s_xor_b32 s13, exec_lo, -1
; %bb.10607:                            ;   in Loop: Header=BB6_8078 Depth=3
	s_or_b32 exec_lo, exec_lo, s31
	s_delay_alu instid0(SALU_CYCLE_1)
	s_and_b32 s13, s13, exec_lo
	s_or_saveexec_b32 s30, s30
	v_mov_b32_e32 v36, s17
	s_xor_b32 exec_lo, exec_lo, s30
	s_cbranch_execz .LBB6_9801
.LBB6_10608:                            ;   in Loop: Header=BB6_8078 Depth=3
	v_cmp_ne_u16_e32 vcc_lo, 0, v37
	v_mov_b32_e32 v36, 0
	s_and_not1_b32 s13, s13, exec_lo
	s_and_b32 s17, vcc_lo, exec_lo
	s_delay_alu instid0(SALU_CYCLE_1)
	s_or_b32 s13, s13, s17
	s_or_b32 exec_lo, exec_lo, s30
	s_and_saveexec_b32 s17, s13
	s_cbranch_execnz .LBB6_9802
	s_branch .LBB6_9803
.LBB6_10609:                            ;   in Loop: Header=BB6_8078 Depth=3
	s_mov_b32 s13, -1
	s_mov_b32 s31, exec_lo
                                        ; implicit-def: $sgpr17
	v_cmpx_eq_u16_e32 0x80, v37
; %bb.10610:                            ;   in Loop: Header=BB6_8078 Depth=3
	s_mov_b32 s17, 0x7f800001
	s_xor_b32 s13, exec_lo, -1
; %bb.10611:                            ;   in Loop: Header=BB6_8078 Depth=3
	s_or_b32 exec_lo, exec_lo, s31
	s_delay_alu instid0(SALU_CYCLE_1)
	s_and_b32 s13, s13, exec_lo
	s_or_saveexec_b32 s30, s30
	v_mov_b32_e32 v38, s17
	s_xor_b32 exec_lo, exec_lo, s30
	s_cbranch_execz .LBB6_9805
.LBB6_10612:                            ;   in Loop: Header=BB6_8078 Depth=3
	v_cmp_ne_u16_e32 vcc_lo, 0, v37
	v_mov_b32_e32 v38, 0
	s_and_not1_b32 s13, s13, exec_lo
	s_and_b32 s17, vcc_lo, exec_lo
	s_delay_alu instid0(SALU_CYCLE_1)
	s_or_b32 s13, s13, s17
	s_or_b32 exec_lo, exec_lo, s30
	s_and_saveexec_b32 s17, s13
	s_cbranch_execnz .LBB6_9806
	s_branch .LBB6_9807
.LBB6_10613:                            ;   in Loop: Header=BB6_8078 Depth=3
	s_mov_b32 s13, -1
	s_mov_b32 s31, exec_lo
                                        ; implicit-def: $sgpr17
	v_cmpx_eq_u16_e32 0x80, v37
; %bb.10614:                            ;   in Loop: Header=BB6_8078 Depth=3
	s_mov_b32 s17, 0x7f800001
	s_xor_b32 s13, exec_lo, -1
; %bb.10615:                            ;   in Loop: Header=BB6_8078 Depth=3
	s_or_b32 exec_lo, exec_lo, s31
	s_delay_alu instid0(SALU_CYCLE_1)
	s_and_b32 s13, s13, exec_lo
                                        ; implicit-def: $vgpr37
	s_or_saveexec_b32 s30, s30
	v_mov_b32_e32 v36, s17
	s_xor_b32 exec_lo, exec_lo, s30
	s_cbranch_execz .LBB6_9817
.LBB6_10616:                            ;   in Loop: Header=BB6_8078 Depth=3
	v_cmp_ne_u16_e32 vcc_lo, 0, v37
	v_mov_b32_e32 v36, 0
	s_and_not1_b32 s13, s13, exec_lo
	s_and_b32 s17, vcc_lo, exec_lo
	s_delay_alu instid0(SALU_CYCLE_1)
	s_or_b32 s13, s13, s17
	s_or_b32 exec_lo, exec_lo, s30
	s_and_saveexec_b32 s17, s13
	s_cbranch_execnz .LBB6_9818
	s_branch .LBB6_9819
.LBB6_10617:                            ;   in Loop: Header=BB6_8078 Depth=3
	s_mov_b32 s13, -1
	s_mov_b32 s31, exec_lo
                                        ; implicit-def: $sgpr17
	v_cmpx_eq_u16_e32 0x80, v39
; %bb.10618:                            ;   in Loop: Header=BB6_8078 Depth=3
	s_mov_b32 s17, 0x7f800001
	s_xor_b32 s13, exec_lo, -1
; %bb.10619:                            ;   in Loop: Header=BB6_8078 Depth=3
	s_or_b32 exec_lo, exec_lo, s31
	s_delay_alu instid0(SALU_CYCLE_1)
	s_and_b32 s13, s13, exec_lo
                                        ; implicit-def: $vgpr39
	s_or_saveexec_b32 s30, s30
	v_mov_b32_e32 v37, s17
	s_xor_b32 exec_lo, exec_lo, s30
	s_cbranch_execz .LBB6_9821
.LBB6_10620:                            ;   in Loop: Header=BB6_8078 Depth=3
	v_cmp_ne_u16_e32 vcc_lo, 0, v39
	v_mov_b32_e32 v37, 0
	s_and_not1_b32 s13, s13, exec_lo
	s_and_b32 s17, vcc_lo, exec_lo
	s_delay_alu instid0(SALU_CYCLE_1)
	s_or_b32 s13, s13, s17
	s_or_b32 exec_lo, exec_lo, s30
	s_and_saveexec_b32 s17, s13
	s_cbranch_execnz .LBB6_9822
	s_branch .LBB6_9823
.LBB6_10621:                            ;   in Loop: Header=BB6_8078 Depth=3
	s_mov_b32 s13, -1
	s_mov_b32 s31, exec_lo
                                        ; implicit-def: $sgpr17
	v_cmpx_eq_u16_e32 0x80, v39
; %bb.10622:                            ;   in Loop: Header=BB6_8078 Depth=3
	s_mov_b32 s17, 0x7f800001
	s_xor_b32 s13, exec_lo, -1
; %bb.10623:                            ;   in Loop: Header=BB6_8078 Depth=3
	s_or_b32 exec_lo, exec_lo, s31
	s_delay_alu instid0(SALU_CYCLE_1)
	s_and_b32 s13, s13, exec_lo
	s_or_saveexec_b32 s30, s30
	v_mov_b32_e32 v37, s17
	s_xor_b32 exec_lo, exec_lo, s30
	s_cbranch_execz .LBB6_9833
.LBB6_10624:                            ;   in Loop: Header=BB6_8078 Depth=3
	v_cmp_ne_u16_e32 vcc_lo, 0, v39
	v_mov_b32_e32 v37, 0
	s_and_not1_b32 s13, s13, exec_lo
	s_and_b32 s17, vcc_lo, exec_lo
	s_delay_alu instid0(SALU_CYCLE_1)
	s_or_b32 s13, s13, s17
	s_or_b32 exec_lo, exec_lo, s30
	s_and_saveexec_b32 s17, s13
	s_cbranch_execnz .LBB6_9834
	s_branch .LBB6_9835
.LBB6_10625:                            ;   in Loop: Header=BB6_8078 Depth=3
	s_mov_b32 s13, -1
	s_mov_b32 s31, exec_lo
                                        ; implicit-def: $sgpr17
	v_cmpx_eq_u16_e32 0x80, v39
; %bb.10626:                            ;   in Loop: Header=BB6_8078 Depth=3
	s_mov_b32 s17, 0x7f800001
	s_xor_b32 s13, exec_lo, -1
; %bb.10627:                            ;   in Loop: Header=BB6_8078 Depth=3
	s_or_b32 exec_lo, exec_lo, s31
	s_delay_alu instid0(SALU_CYCLE_1)
	s_and_b32 s13, s13, exec_lo
	s_or_saveexec_b32 s30, s30
	v_mov_b32_e32 v48, s17
	s_xor_b32 exec_lo, exec_lo, s30
	s_cbranch_execz .LBB6_9837
.LBB6_10628:                            ;   in Loop: Header=BB6_8078 Depth=3
	v_cmp_ne_u16_e32 vcc_lo, 0, v39
	v_mov_b32_e32 v48, 0
	s_and_not1_b32 s13, s13, exec_lo
	s_and_b32 s17, vcc_lo, exec_lo
	s_delay_alu instid0(SALU_CYCLE_1)
	s_or_b32 s13, s13, s17
	s_or_b32 exec_lo, exec_lo, s30
	s_and_saveexec_b32 s17, s13
	s_cbranch_execnz .LBB6_9838
	s_branch .LBB6_9839
.LBB6_10629:                            ;   in Loop: Header=BB6_8078 Depth=3
	s_mov_b32 s13, -1
	s_mov_b32 s31, exec_lo
                                        ; implicit-def: $sgpr17
	v_cmpx_eq_u16_e32 0x80, v49
; %bb.10630:                            ;   in Loop: Header=BB6_8078 Depth=3
	s_mov_b32 s17, 0x7f800001
	s_xor_b32 s13, exec_lo, -1
; %bb.10631:                            ;   in Loop: Header=BB6_8078 Depth=3
	s_or_b32 exec_lo, exec_lo, s31
	s_delay_alu instid0(SALU_CYCLE_1)
	s_and_b32 s13, s13, exec_lo
                                        ; implicit-def: $vgpr49
	s_or_saveexec_b32 s30, s30
	v_mov_b32_e32 v48, s17
	s_xor_b32 exec_lo, exec_lo, s30
	s_cbranch_execz .LBB6_9849
.LBB6_10632:                            ;   in Loop: Header=BB6_8078 Depth=3
	v_cmp_ne_u16_e32 vcc_lo, 0, v49
	v_mov_b32_e32 v48, 0
	s_and_not1_b32 s13, s13, exec_lo
	s_and_b32 s17, vcc_lo, exec_lo
	s_delay_alu instid0(SALU_CYCLE_1)
	s_or_b32 s13, s13, s17
	s_or_b32 exec_lo, exec_lo, s30
	v_lshl_or_b32 v39, v39, 16, v38
	s_and_saveexec_b32 s17, s13
	s_cbranch_execnz .LBB6_9850
	s_branch .LBB6_9851
.LBB6_10633:                            ;   in Loop: Header=BB6_8078 Depth=3
	s_mov_b32 s13, -1
	s_mov_b32 s31, exec_lo
                                        ; implicit-def: $sgpr17
	v_cmpx_eq_u16_e32 0x80, v53
; %bb.10634:                            ;   in Loop: Header=BB6_8078 Depth=3
	s_mov_b32 s17, 0x7f800001
	s_xor_b32 s13, exec_lo, -1
; %bb.10635:                            ;   in Loop: Header=BB6_8078 Depth=3
	s_or_b32 exec_lo, exec_lo, s31
	s_delay_alu instid0(SALU_CYCLE_1)
	s_and_b32 s13, s13, exec_lo
                                        ; implicit-def: $vgpr53
	s_or_saveexec_b32 s30, s30
	v_mov_b32_e32 v49, s17
	s_xor_b32 exec_lo, exec_lo, s30
	s_cbranch_execz .LBB6_9853
.LBB6_10636:                            ;   in Loop: Header=BB6_8078 Depth=3
	v_cmp_ne_u16_e32 vcc_lo, 0, v53
	v_mov_b32_e32 v49, 0
	s_and_not1_b32 s13, s13, exec_lo
	s_and_b32 s17, vcc_lo, exec_lo
	s_delay_alu instid0(SALU_CYCLE_1)
	s_or_b32 s13, s13, s17
	s_or_b32 exec_lo, exec_lo, s30
	s_and_saveexec_b32 s17, s13
	s_cbranch_execnz .LBB6_9854
	s_branch .LBB6_9855
.LBB6_10637:                            ;   in Loop: Header=BB6_8078 Depth=3
	s_mov_b32 s13, -1
	s_mov_b32 s31, exec_lo
                                        ; implicit-def: $sgpr17
	v_cmpx_eq_u16_e32 0x80, v49
; %bb.10638:                            ;   in Loop: Header=BB6_8078 Depth=3
	s_mov_b32 s17, 0x7f800001
	s_xor_b32 s13, exec_lo, -1
; %bb.10639:                            ;   in Loop: Header=BB6_8078 Depth=3
	s_or_b32 exec_lo, exec_lo, s31
	s_delay_alu instid0(SALU_CYCLE_1)
	s_and_b32 s13, s13, exec_lo
	s_or_saveexec_b32 s30, s30
	v_mov_b32_e32 v48, s17
	s_xor_b32 exec_lo, exec_lo, s30
	s_cbranch_execz .LBB6_9865
.LBB6_10640:                            ;   in Loop: Header=BB6_8078 Depth=3
	v_cmp_ne_u16_e32 vcc_lo, 0, v49
	v_mov_b32_e32 v48, 0
	s_and_not1_b32 s13, s13, exec_lo
	s_and_b32 s17, vcc_lo, exec_lo
	s_delay_alu instid0(SALU_CYCLE_1)
	s_or_b32 s13, s13, s17
	s_or_b32 exec_lo, exec_lo, s30
	s_and_saveexec_b32 s17, s13
	s_cbranch_execnz .LBB6_9866
	s_branch .LBB6_9867
.LBB6_10641:                            ;   in Loop: Header=BB6_8078 Depth=3
	s_mov_b32 s13, -1
	s_mov_b32 s31, exec_lo
                                        ; implicit-def: $sgpr17
	v_cmpx_eq_u16_e32 0x80, v39
; %bb.10642:                            ;   in Loop: Header=BB6_8078 Depth=3
	s_mov_b32 s17, 0x7f800001
	s_xor_b32 s13, exec_lo, -1
; %bb.10643:                            ;   in Loop: Header=BB6_8078 Depth=3
	s_or_b32 exec_lo, exec_lo, s31
	s_delay_alu instid0(SALU_CYCLE_1)
	s_and_b32 s13, s13, exec_lo
	s_or_saveexec_b32 s30, s30
	v_mov_b32_e32 v49, s17
	s_xor_b32 exec_lo, exec_lo, s30
	s_cbranch_execz .LBB6_9869
.LBB6_10644:                            ;   in Loop: Header=BB6_8078 Depth=3
	v_cmp_ne_u16_e32 vcc_lo, 0, v39
	v_mov_b32_e32 v49, 0
	s_and_not1_b32 s13, s13, exec_lo
	s_and_b32 s17, vcc_lo, exec_lo
	s_delay_alu instid0(SALU_CYCLE_1)
	s_or_b32 s13, s13, s17
	s_or_b32 exec_lo, exec_lo, s30
	s_and_saveexec_b32 s17, s13
	s_cbranch_execnz .LBB6_9870
	s_branch .LBB6_9871
.LBB6_10645:                            ;   in Loop: Header=BB6_7988 Depth=2
	s_mov_b32 s13, -1
	s_branch .LBB6_12663
.LBB6_10646:                            ;   in Loop: Header=BB6_7988 Depth=2
	s_or_b32 exec_lo, exec_lo, s15
.LBB6_10647:                            ;   in Loop: Header=BB6_7988 Depth=2
	s_delay_alu instid0(SALU_CYCLE_1) | instskip(SKIP_3) | instid1(VALU_DEP_1)
	s_or_b32 exec_lo, exec_lo, s14
	v_dual_mov_b32 v18, 0 :: v_dual_lshlrev_b32 v21, 11, v151
	s_mov_b32 s13, 0
	s_mov_b32 s16, exec_lo
                                        ; implicit-def: $vgpr19
                                        ; implicit-def: $vgpr20
                                        ; implicit-def: $vgpr8
	v_cmpx_ne_u32_e64 v150, v21
	s_cbranch_execz .LBB6_11307
; %bb.10648:                            ;   in Loop: Header=BB6_7988 Depth=2
	v_lshlrev_b32_e32 v2, 5, v2
	v_sub_nc_u32_e32 v9, v150, v21
	s_mov_b32 s17, exec_lo
	s_delay_alu instid0(VALU_DEP_2) | instskip(NEXT) | instid1(VALU_DEP_2)
	v_sub_nc_u32_e32 v2, v157, v2
	v_ashrrev_i32_e32 v10, 31, v9
	s_delay_alu instid0(VALU_DEP_2) | instskip(NEXT) | instid1(VALU_DEP_2)
	v_ashrrev_i32_e32 v8, 31, v2
	v_lshrrev_b32_e32 v10, 23, v10
	s_delay_alu instid0(VALU_DEP_2) | instskip(NEXT) | instid1(VALU_DEP_2)
	v_lshrrev_b32_e32 v8, 27, v8
	v_add_nc_u32_e32 v10, v9, v10
	s_delay_alu instid0(VALU_DEP_2) | instskip(NEXT) | instid1(VALU_DEP_1)
	v_add_nc_u32_e32 v8, v2, v8
	v_and_b32_e32 v11, 0xffffffe0, v8
	s_delay_alu instid0(VALU_DEP_1) | instskip(NEXT) | instid1(VALU_DEP_4)
	v_sub_nc_u32_e32 v22, v2, v11
	v_and_b32_e32 v2, 0xfffffe00, v10
	v_ashrrev_i32_e32 v11, 5, v8
	v_ashrrev_i32_e32 v10, 9, v10
	s_delay_alu instid0(VALU_DEP_4) | instskip(NEXT) | instid1(VALU_DEP_4)
	v_lshlrev_b32_e32 v8, 4, v22
	v_sub_nc_u32_e32 v23, v9, v2
	s_delay_alu instid0(VALU_DEP_2) | instskip(NEXT) | instid1(VALU_DEP_2)
	v_lshl_add_u32 v8, v11, 9, v8
	v_cmp_lt_i32_e64 s13, 15, v23
	s_delay_alu instid0(VALU_DEP_2) | instskip(NEXT) | instid1(VALU_DEP_2)
	v_sub_nc_u32_e32 v20, v9, v8
	v_add_co_ci_u32_e64 v10, vcc_lo, 0, v10, s13
	s_delay_alu instid0(VALU_DEP_1) | instskip(NEXT) | instid1(VALU_DEP_3)
	v_sub_nc_u32_e32 v69, v10, v11
	v_cmpx_lt_i32_e32 15, v20
	s_cbranch_execz .LBB6_11304
; %bb.10649:                            ;   in Loop: Header=BB6_7988 Depth=2
	s_cbranch_execz .LBB6_10650
; %bb.18771:
	s_getpc_b64 s[48:49]
.Lpost_getpc412:
	s_add_u32 s48, s48, (.LBB6_18371-.Lpost_getpc412)&4294967295
	s_addc_u32 s49, s49, (.LBB6_18371-.Lpost_getpc412)>>32
	s_setpc_b64 s[48:49]
.LBB6_10650:                            ;   in Loop: Header=BB6_7988 Depth=2
	ds_load_b64 v[9:10], v0
	ds_load_b128 v[12:15], v0
	v_add_nc_u32_e32 v8, v8, v21
	s_waitcnt lgkmcnt(1)
	s_delay_alu instid0(VALU_DEP_1) | instskip(SKIP_3) | instid1(VALU_DEP_3)
	v_ashrrev_i32_e32 v10, 31, v8
	v_readfirstlane_b32 s14, v9
	s_waitcnt lgkmcnt(0)
	v_add_co_u32 v12, vcc_lo, v12, v8
	v_add_co_ci_u32_e32 v13, vcc_lo, v13, v10, vcc_lo
	s_delay_alu instid0(VALU_DEP_3) | instskip(SKIP_2) | instid1(VALU_DEP_1)
	s_and_b32 s15, s14, 3
	s_bfe_u32 s31, s14, 0x50002
	s_clz_i32_u32 s30, s15
	v_mov_b32_e32 v17, v13
	v_add_co_u32 v14, vcc_lo, v14, v8
	s_min_u32 s30, s30, 32
	v_add_co_ci_u32_e32 v15, vcc_lo, v15, v10, vcc_lo
	s_sub_i32 vcc_lo, s30, 29
	s_sub_i32 s30, 30, s30
	s_lshl_b32 vcc_lo, s14, vcc_lo
	s_delay_alu instid0(VALU_DEP_1)
	v_dual_mov_b32 v19, v15 :: v_dual_and_b32 v70, 0xff, v9
	s_and_b32 vcc_lo, vcc_lo, 3
	s_cmp_eq_u32 s31, 0
	v_mov_b32_e32 v16, v12
	s_cselect_b32 s30, s30, s31
	s_cselect_b32 s15, vcc_lo, s15
	s_lshl_b32 s14, s14, 24
	s_lshl_b32 vcc_lo, s30, 23
	s_and_b32 s14, s14, 0x80000000
	s_add_i32 vcc_lo, vcc_lo, 0x37800000
	v_mov_b32_e32 v18, v14
	s_lshl_b32 s15, s15, 21
	s_or_b32 s14, s14, vcc_lo
	s_mov_b32 s30, 0
	s_or_b32 s31, s14, s15
.LBB6_10651:                            ;   Parent Loop BB6_51 Depth=1
                                        ;     Parent Loop BB6_7988 Depth=2
                                        ; =>    This Loop Header: Depth=3
                                        ;         Child Loop BB6_11109 Depth 4
	v_cmp_gt_i16_e32 vcc_lo, 0x80, v70
	s_cbranch_vccnz .LBB6_10655
; %bb.10652:                            ;   in Loop: Header=BB6_10651 Depth=3
	v_cmp_eq_u16_e32 vcc_lo, 0x80, v70
	s_mov_b32 s14, -1
                                        ; implicit-def: $sgpr15
	s_cbranch_vccz .LBB6_10654
; %bb.10653:                            ;   in Loop: Header=BB6_10651 Depth=3
	s_mov_b32 s14, 0
	s_mov_b32 s15, 0x7f800001
.LBB6_10654:                            ;   in Loop: Header=BB6_10651 Depth=3
	s_mov_b32 vcc_lo, 0
	s_branch .LBB6_10656
.LBB6_10655:                            ;   in Loop: Header=BB6_10651 Depth=3
	s_mov_b32 vcc_lo, -1
	s_mov_b32 s14, 0
                                        ; implicit-def: $sgpr15
.LBB6_10656:                            ;   in Loop: Header=BB6_10651 Depth=3
	s_and_b32 vcc_lo, exec_lo, vcc_lo
	s_cbranch_vccz .LBB6_10658
; %bb.10657:                            ;   in Loop: Header=BB6_10651 Depth=3
	v_cmp_ne_u16_e64 s14, 0, v70
	s_mov_b32 s15, 0
.LBB6_10658:                            ;   in Loop: Header=BB6_10651 Depth=3
	s_delay_alu instid0(VALU_DEP_1)
	s_and_not1_b32 vcc_lo, exec_lo, s14
	s_cbranch_vccnz .LBB6_10660
; %bb.10659:                            ;   in Loop: Header=BB6_10651 Depth=3
	s_mov_b32 s15, s31
.LBB6_10660:                            ;   in Loop: Header=BB6_10651 Depth=3
	global_load_b128 v[8:11], v[16:17], off slc dlc
	s_mov_b32 s14, 0
	s_mov_b32 s35, exec_lo
                                        ; implicit-def: $sgpr34
	s_waitcnt vmcnt(0)
	v_and_b32_e32 v27, 0xff, v8
	s_delay_alu instid0(VALU_DEP_1)
	v_cmpx_lt_i16_e32 0x7f, v27
	s_xor_b32 s35, exec_lo, s35
	s_cbranch_execnz .LBB6_11111
; %bb.10661:                            ;   in Loop: Header=BB6_10651 Depth=3
	s_or_saveexec_b32 s35, s35
	v_mov_b32_e32 v26, s34
	s_xor_b32 exec_lo, exec_lo, s35
	s_cbranch_execnz .LBB6_11114
.LBB6_10662:                            ;   in Loop: Header=BB6_10651 Depth=3
	s_or_b32 exec_lo, exec_lo, s35
	s_and_saveexec_b32 s34, s14
	s_cbranch_execz .LBB6_10664
.LBB6_10663:                            ;   in Loop: Header=BB6_10651 Depth=3
	v_bfe_u32 v37, v8, 2, 5
	v_lshlrev_b32_e32 v38, 24, v8
	s_delay_alu instid0(VALU_DEP_2) | instskip(SKIP_1) | instid1(VALU_DEP_1)
	v_cmp_eq_u32_e32 vcc_lo, 0, v37
	v_and_b32_e32 v26, 3, v8
	v_clz_i32_u32_e32 v27, v26
	s_delay_alu instid0(VALU_DEP_1) | instskip(NEXT) | instid1(VALU_DEP_1)
	v_min_u32_e32 v27, 32, v27
	v_subrev_nc_u32_e32 v36, 29, v27
	v_sub_nc_u32_e32 v27, 30, v27
	s_delay_alu instid0(VALU_DEP_1) | instskip(NEXT) | instid1(VALU_DEP_1)
	v_dual_cndmask_b32 v27, v37, v27 :: v_dual_lshlrev_b32 v36, v36, v8
	v_and_b32_e32 v36, 3, v36
	s_delay_alu instid0(VALU_DEP_2) | instskip(NEXT) | instid1(VALU_DEP_2)
	v_lshl_add_u32 v27, v27, 23, 0x37800000
	v_cndmask_b32_e32 v26, v26, v36, vcc_lo
	v_and_b32_e32 v36, 0x80000000, v38
	s_delay_alu instid0(VALU_DEP_2) | instskip(NEXT) | instid1(VALU_DEP_1)
	v_lshlrev_b32_e32 v26, 21, v26
	v_or3_b32 v26, v36, v27, v26
.LBB6_10664:                            ;   in Loop: Header=BB6_10651 Depth=3
	s_or_b32 exec_lo, exec_lo, s34
	s_delay_alu instid0(VALU_DEP_1) | instskip(SKIP_2) | instid1(VALU_DEP_2)
	v_mul_f32_e32 v26, s15, v26
	v_mov_b32_e32 v80, 0x80
	s_mov_b32 s34, exec_lo
	v_and_b32_e32 v27, 0x7f800000, v26
	s_delay_alu instid0(VALU_DEP_1)
	v_cmpx_ne_u32_e32 0x7f800000, v27
	s_cbranch_execz .LBB6_10672
; %bb.10665:                            ;   in Loop: Header=BB6_10651 Depth=3
	v_mov_b32_e32 v80, 0
	s_mov_b32 s35, exec_lo
	v_cmpx_ne_u32_e32 0, v26
	s_cbranch_execz .LBB6_10671
; %bb.10666:                            ;   in Loop: Header=BB6_10651 Depth=3
	v_bfe_u32 v27, v26, 23, 8
	s_delay_alu instid0(VALU_DEP_1) | instskip(SKIP_1) | instid1(VALU_DEP_2)
	v_sub_nc_u32_e32 v37, 0x70, v27
	v_cmp_gt_u32_e32 vcc_lo, 0x71, v27
	v_dual_cndmask_b32 v37, 0, v37 :: v_dual_and_b32 v36, 0x7fffff, v26
	s_delay_alu instid0(VALU_DEP_1) | instskip(SKIP_2) | instid1(VALU_DEP_4)
	v_or_b32_e32 v38, 0x800000, v36
	v_cmp_eq_u32_e32 vcc_lo, 0, v27
	v_add_nc_u32_e32 v27, 0xffffff91, v27
	v_cndmask_b32_e64 v37, v37, 0x6f, vcc_lo
	s_delay_alu instid0(VALU_DEP_4) | instskip(NEXT) | instid1(VALU_DEP_3)
	v_cndmask_b32_e32 v36, v38, v36, vcc_lo
	v_cndmask_b32_e64 v27, v27, 0xffffff92, vcc_lo
	s_delay_alu instid0(VALU_DEP_3) | instskip(NEXT) | instid1(VALU_DEP_3)
	v_lshl_add_u32 v38, 0x200000, v37, -1
	v_lshrrev_b32_e32 v39, v37, v36
	v_lshlrev_b32_e64 v49, v37, 0x100000
	s_delay_alu instid0(VALU_DEP_4) | instskip(NEXT) | instid1(VALU_DEP_4)
	v_add_nc_u32_e32 v37, v37, v27
	v_and_b32_e32 v36, v38, v36
	s_delay_alu instid0(VALU_DEP_4) | instskip(NEXT) | instid1(VALU_DEP_2)
	v_bfe_u32 v48, v39, 21, 1
	v_cmp_eq_u32_e64 s14, v36, v49
	s_delay_alu instid0(VALU_DEP_2) | instskip(NEXT) | instid1(VALU_DEP_1)
	v_add_nc_u32_e32 v38, -1, v48
	v_cndmask_b32_e64 v36, 0, v38, s14
	v_lshrrev_b32_e32 v38, 23, v39
	s_mov_b32 s14, exec_lo
	s_delay_alu instid0(VALU_DEP_2) | instskip(NEXT) | instid1(VALU_DEP_2)
	v_add_nc_u32_e32 v36, v36, v39
	v_xor_b32_e32 v38, 1, v38
	s_delay_alu instid0(VALU_DEP_2) | instskip(NEXT) | instid1(VALU_DEP_1)
	v_and_b32_e32 v27, 0x1fffff, v36
	v_add_nc_u32_e32 v36, v27, v39
                                        ; implicit-def: $vgpr27
	s_delay_alu instid0(VALU_DEP_3)
	v_cmpx_ne_u32_e64 v37, v38
	s_xor_b32 s14, exec_lo, s14
; %bb.10667:                            ;   in Loop: Header=BB6_10651 Depth=3
	s_delay_alu instid0(VALU_DEP_2) | instskip(SKIP_2) | instid1(VALU_DEP_2)
	v_cmp_lt_u32_e32 vcc_lo, 0xffffff, v36
	v_sub_nc_u32_e32 v27, v37, v38
	v_cndmask_b32_e64 v37, 0, 1, vcc_lo
	v_add_co_ci_u32_e32 v27, vcc_lo, 0, v27, vcc_lo
	s_delay_alu instid0(VALU_DEP_2)
	v_lshrrev_b32_e32 v36, v37, v36
; %bb.10668:                            ;   in Loop: Header=BB6_10651 Depth=3
	s_and_not1_saveexec_b32 s14, s14
; %bb.10669:                            ;   in Loop: Header=BB6_10651 Depth=3
	s_delay_alu instid0(VALU_DEP_1)
	v_bfe_u32 v27, v36, 23, 1
; %bb.10670:                            ;   in Loop: Header=BB6_10651 Depth=3
	s_or_b32 exec_lo, exec_lo, s14
	v_lshrrev_b32_e32 v36, 21, v36
	s_delay_alu instid0(VALU_DEP_2) | instskip(SKIP_2) | instid1(VALU_DEP_4)
	v_cmp_gt_i32_e32 vcc_lo, 32, v27
	v_lshrrev_b32_e32 v26, 24, v26
	v_min_i32_e32 v37, 31, v27
	v_cndmask_b32_e32 v36, 3, v36, vcc_lo
	s_delay_alu instid0(VALU_DEP_3) | instskip(NEXT) | instid1(VALU_DEP_3)
	v_and_b32_e32 v26, 0x80, v26
	v_lshlrev_b32_e32 v37, 2, v37
	s_delay_alu instid0(VALU_DEP_3) | instskip(SKIP_1) | instid1(VALU_DEP_2)
	v_and_b32_e32 v38, 3, v36
	v_or_b32_e32 v27, v27, v36
	v_or3_b32 v26, v37, v26, v38
	s_delay_alu instid0(VALU_DEP_2) | instskip(NEXT) | instid1(VALU_DEP_2)
	v_cmp_ne_u32_e32 vcc_lo, 0, v27
	v_cndmask_b32_e32 v80, 0, v26, vcc_lo
.LBB6_10671:                            ;   in Loop: Header=BB6_10651 Depth=3
	s_or_b32 exec_lo, exec_lo, s35
.LBB6_10672:                            ;   in Loop: Header=BB6_10651 Depth=3
	s_delay_alu instid0(SALU_CYCLE_1) | instskip(SKIP_3) | instid1(VALU_DEP_1)
	s_or_b32 exec_lo, exec_lo, s34
	v_lshrrev_b16 v26, 8, v8
	s_mov_b32 s14, 0
	s_mov_b32 s35, exec_lo
                                        ; implicit-def: $sgpr34
	v_cmpx_lt_i16_e32 0x7f, v26
	s_xor_b32 s35, exec_lo, s35
	s_cbranch_execnz .LBB6_11115
; %bb.10673:                            ;   in Loop: Header=BB6_10651 Depth=3
	s_or_saveexec_b32 s35, s35
	v_mov_b32_e32 v27, s34
	s_xor_b32 exec_lo, exec_lo, s35
	s_cbranch_execnz .LBB6_11118
.LBB6_10674:                            ;   in Loop: Header=BB6_10651 Depth=3
	s_or_b32 exec_lo, exec_lo, s35
	s_and_saveexec_b32 s34, s14
	s_cbranch_execz .LBB6_10676
.LBB6_10675:                            ;   in Loop: Header=BB6_10651 Depth=3
	v_and_b32_e32 v27, 0xffff, v26
	v_lshlrev_b32_e32 v26, 24, v26
	s_delay_alu instid0(VALU_DEP_2) | instskip(NEXT) | instid1(VALU_DEP_2)
	v_and_b32_e32 v36, 3, v27
	v_and_b32_e32 v26, 0x80000000, v26
	s_delay_alu instid0(VALU_DEP_2) | instskip(NEXT) | instid1(VALU_DEP_1)
	v_clz_i32_u32_e32 v37, v36
	v_min_u32_e32 v37, 32, v37
	s_delay_alu instid0(VALU_DEP_1) | instskip(SKIP_1) | instid1(VALU_DEP_2)
	v_subrev_nc_u32_e32 v38, 29, v37
	v_sub_nc_u32_e32 v37, 30, v37
	v_lshlrev_b32_e32 v38, v38, v27
	v_bfe_u32 v27, v27, 2, 5
	s_delay_alu instid0(VALU_DEP_2) | instskip(NEXT) | instid1(VALU_DEP_2)
	v_and_b32_e32 v38, 3, v38
	v_cmp_eq_u32_e32 vcc_lo, 0, v27
	s_delay_alu instid0(VALU_DEP_2) | instskip(NEXT) | instid1(VALU_DEP_1)
	v_dual_cndmask_b32 v27, v27, v37 :: v_dual_cndmask_b32 v36, v36, v38
	v_lshl_add_u32 v27, v27, 23, 0x37800000
	s_delay_alu instid0(VALU_DEP_2) | instskip(NEXT) | instid1(VALU_DEP_1)
	v_lshlrev_b32_e32 v36, 21, v36
	v_or3_b32 v27, v26, v27, v36
.LBB6_10676:                            ;   in Loop: Header=BB6_10651 Depth=3
	s_or_b32 exec_lo, exec_lo, s34
	s_delay_alu instid0(VALU_DEP_1) | instskip(SKIP_2) | instid1(VALU_DEP_2)
	v_mul_f32_e32 v26, s15, v27
	v_mov_b32_e32 v84, 0x80
	s_mov_b32 s34, exec_lo
	v_and_b32_e32 v27, 0x7f800000, v26
	s_delay_alu instid0(VALU_DEP_1)
	v_cmpx_ne_u32_e32 0x7f800000, v27
	s_cbranch_execz .LBB6_10684
; %bb.10677:                            ;   in Loop: Header=BB6_10651 Depth=3
	v_mov_b32_e32 v84, 0
	s_mov_b32 s35, exec_lo
	v_cmpx_ne_u32_e32 0, v26
	s_cbranch_execz .LBB6_10683
; %bb.10678:                            ;   in Loop: Header=BB6_10651 Depth=3
	v_bfe_u32 v27, v26, 23, 8
	s_delay_alu instid0(VALU_DEP_1) | instskip(SKIP_1) | instid1(VALU_DEP_2)
	v_sub_nc_u32_e32 v37, 0x70, v27
	v_cmp_gt_u32_e32 vcc_lo, 0x71, v27
	v_dual_cndmask_b32 v37, 0, v37 :: v_dual_and_b32 v36, 0x7fffff, v26
	s_delay_alu instid0(VALU_DEP_1) | instskip(SKIP_2) | instid1(VALU_DEP_4)
	v_or_b32_e32 v38, 0x800000, v36
	v_cmp_eq_u32_e32 vcc_lo, 0, v27
	v_add_nc_u32_e32 v27, 0xffffff91, v27
	v_cndmask_b32_e64 v37, v37, 0x6f, vcc_lo
	s_delay_alu instid0(VALU_DEP_4) | instskip(NEXT) | instid1(VALU_DEP_3)
	v_cndmask_b32_e32 v36, v38, v36, vcc_lo
	v_cndmask_b32_e64 v27, v27, 0xffffff92, vcc_lo
	s_delay_alu instid0(VALU_DEP_3) | instskip(NEXT) | instid1(VALU_DEP_3)
	v_lshl_add_u32 v38, 0x200000, v37, -1
	v_lshrrev_b32_e32 v39, v37, v36
	v_lshlrev_b32_e64 v49, v37, 0x100000
	s_delay_alu instid0(VALU_DEP_4) | instskip(NEXT) | instid1(VALU_DEP_4)
	v_add_nc_u32_e32 v37, v37, v27
	v_and_b32_e32 v36, v38, v36
	s_delay_alu instid0(VALU_DEP_4) | instskip(NEXT) | instid1(VALU_DEP_2)
	v_bfe_u32 v48, v39, 21, 1
	v_cmp_eq_u32_e64 s14, v36, v49
	s_delay_alu instid0(VALU_DEP_2) | instskip(NEXT) | instid1(VALU_DEP_1)
	v_add_nc_u32_e32 v38, -1, v48
	v_cndmask_b32_e64 v36, 0, v38, s14
	v_lshrrev_b32_e32 v38, 23, v39
	s_mov_b32 s14, exec_lo
	s_delay_alu instid0(VALU_DEP_2) | instskip(NEXT) | instid1(VALU_DEP_2)
	v_add_nc_u32_e32 v36, v36, v39
	v_xor_b32_e32 v38, 1, v38
	s_delay_alu instid0(VALU_DEP_2) | instskip(NEXT) | instid1(VALU_DEP_1)
	v_and_b32_e32 v27, 0x1fffff, v36
	v_add_nc_u32_e32 v36, v27, v39
                                        ; implicit-def: $vgpr27
	s_delay_alu instid0(VALU_DEP_3)
	v_cmpx_ne_u32_e64 v37, v38
	s_xor_b32 s14, exec_lo, s14
; %bb.10679:                            ;   in Loop: Header=BB6_10651 Depth=3
	s_delay_alu instid0(VALU_DEP_2) | instskip(SKIP_2) | instid1(VALU_DEP_2)
	v_cmp_lt_u32_e32 vcc_lo, 0xffffff, v36
	v_sub_nc_u32_e32 v27, v37, v38
	v_cndmask_b32_e64 v37, 0, 1, vcc_lo
	v_add_co_ci_u32_e32 v27, vcc_lo, 0, v27, vcc_lo
	s_delay_alu instid0(VALU_DEP_2)
	v_lshrrev_b32_e32 v36, v37, v36
; %bb.10680:                            ;   in Loop: Header=BB6_10651 Depth=3
	s_and_not1_saveexec_b32 s14, s14
; %bb.10681:                            ;   in Loop: Header=BB6_10651 Depth=3
	s_delay_alu instid0(VALU_DEP_1)
	v_bfe_u32 v27, v36, 23, 1
; %bb.10682:                            ;   in Loop: Header=BB6_10651 Depth=3
	s_or_b32 exec_lo, exec_lo, s14
	v_lshrrev_b32_e32 v36, 21, v36
	s_delay_alu instid0(VALU_DEP_2) | instskip(SKIP_2) | instid1(VALU_DEP_4)
	v_cmp_gt_i32_e32 vcc_lo, 32, v27
	v_lshrrev_b32_e32 v26, 24, v26
	v_min_i32_e32 v37, 31, v27
	v_cndmask_b32_e32 v36, 3, v36, vcc_lo
	s_delay_alu instid0(VALU_DEP_3) | instskip(NEXT) | instid1(VALU_DEP_3)
	v_and_b32_e32 v26, 0x80, v26
	v_lshlrev_b32_e32 v37, 2, v37
	s_delay_alu instid0(VALU_DEP_3) | instskip(SKIP_1) | instid1(VALU_DEP_2)
	v_and_b32_e32 v38, 3, v36
	v_or_b32_e32 v27, v27, v36
	v_or3_b32 v26, v37, v26, v38
	s_delay_alu instid0(VALU_DEP_2) | instskip(NEXT) | instid1(VALU_DEP_2)
	v_cmp_ne_u32_e32 vcc_lo, 0, v27
	v_cndmask_b32_e32 v84, 0, v26, vcc_lo
.LBB6_10683:                            ;   in Loop: Header=BB6_10651 Depth=3
	s_or_b32 exec_lo, exec_lo, s35
.LBB6_10684:                            ;   in Loop: Header=BB6_10651 Depth=3
	s_delay_alu instid0(SALU_CYCLE_1) | instskip(SKIP_3) | instid1(VALU_DEP_1)
	s_or_b32 exec_lo, exec_lo, s34
	v_lshrrev_b32_e32 v26, 16, v8
	s_mov_b32 s14, 0
	s_mov_b32 s35, exec_lo
                                        ; implicit-def: $sgpr34
	v_and_b32_e32 v36, 0xff, v26
	s_delay_alu instid0(VALU_DEP_1)
	v_cmpx_lt_i16_e32 0x7f, v36
	s_xor_b32 s35, exec_lo, s35
	s_cbranch_execnz .LBB6_11119
; %bb.10685:                            ;   in Loop: Header=BB6_10651 Depth=3
	s_or_saveexec_b32 s35, s35
	v_mov_b32_e32 v27, s34
	s_xor_b32 exec_lo, exec_lo, s35
	s_cbranch_execnz .LBB6_11122
.LBB6_10686:                            ;   in Loop: Header=BB6_10651 Depth=3
	s_or_b32 exec_lo, exec_lo, s35
	s_and_saveexec_b32 s34, s14
	s_cbranch_execz .LBB6_10688
.LBB6_10687:                            ;   in Loop: Header=BB6_10651 Depth=3
	v_bfe_u32 v27, v8, 16, 2
	v_lshlrev_b32_e32 v38, 8, v8
	s_delay_alu instid0(VALU_DEP_2) | instskip(NEXT) | instid1(VALU_DEP_1)
	v_clz_i32_u32_e32 v36, v27
	v_min_u32_e32 v36, 32, v36
	s_delay_alu instid0(VALU_DEP_1) | instskip(SKIP_1) | instid1(VALU_DEP_2)
	v_subrev_nc_u32_e32 v37, 29, v36
	v_sub_nc_u32_e32 v36, 30, v36
	v_lshlrev_b32_e32 v26, v37, v26
	v_bfe_u32 v37, v8, 18, 5
	s_delay_alu instid0(VALU_DEP_2) | instskip(NEXT) | instid1(VALU_DEP_2)
	v_and_b32_e32 v26, 3, v26
	v_cmp_eq_u32_e32 vcc_lo, 0, v37
	v_cndmask_b32_e32 v36, v37, v36, vcc_lo
	s_delay_alu instid0(VALU_DEP_3) | instskip(SKIP_1) | instid1(VALU_DEP_3)
	v_cndmask_b32_e32 v26, v27, v26, vcc_lo
	v_and_b32_e32 v27, 0x80000000, v38
	v_lshl_add_u32 v36, v36, 23, 0x37800000
	s_delay_alu instid0(VALU_DEP_3) | instskip(NEXT) | instid1(VALU_DEP_1)
	v_lshlrev_b32_e32 v26, 21, v26
	v_or3_b32 v27, v27, v36, v26
.LBB6_10688:                            ;   in Loop: Header=BB6_10651 Depth=3
	s_or_b32 exec_lo, exec_lo, s34
	s_delay_alu instid0(VALU_DEP_1) | instskip(SKIP_2) | instid1(VALU_DEP_2)
	v_mul_f32_e32 v26, s15, v27
	v_mov_b32_e32 v132, 0x80
	s_mov_b32 s34, exec_lo
	v_and_b32_e32 v27, 0x7f800000, v26
	s_delay_alu instid0(VALU_DEP_1)
	v_cmpx_ne_u32_e32 0x7f800000, v27
	s_cbranch_execz .LBB6_10696
; %bb.10689:                            ;   in Loop: Header=BB6_10651 Depth=3
	v_mov_b32_e32 v132, 0
	s_mov_b32 s35, exec_lo
	v_cmpx_ne_u32_e32 0, v26
	s_cbranch_execz .LBB6_10695
; %bb.10690:                            ;   in Loop: Header=BB6_10651 Depth=3
	v_bfe_u32 v27, v26, 23, 8
	s_delay_alu instid0(VALU_DEP_1) | instskip(SKIP_1) | instid1(VALU_DEP_2)
	v_sub_nc_u32_e32 v37, 0x70, v27
	v_cmp_gt_u32_e32 vcc_lo, 0x71, v27
	v_dual_cndmask_b32 v37, 0, v37 :: v_dual_and_b32 v36, 0x7fffff, v26
	s_delay_alu instid0(VALU_DEP_1) | instskip(SKIP_2) | instid1(VALU_DEP_4)
	v_or_b32_e32 v38, 0x800000, v36
	v_cmp_eq_u32_e32 vcc_lo, 0, v27
	v_add_nc_u32_e32 v27, 0xffffff91, v27
	v_cndmask_b32_e64 v37, v37, 0x6f, vcc_lo
	s_delay_alu instid0(VALU_DEP_4) | instskip(NEXT) | instid1(VALU_DEP_3)
	v_cndmask_b32_e32 v36, v38, v36, vcc_lo
	v_cndmask_b32_e64 v27, v27, 0xffffff92, vcc_lo
	s_delay_alu instid0(VALU_DEP_3) | instskip(NEXT) | instid1(VALU_DEP_3)
	v_lshl_add_u32 v38, 0x200000, v37, -1
	v_lshrrev_b32_e32 v39, v37, v36
	v_lshlrev_b32_e64 v49, v37, 0x100000
	s_delay_alu instid0(VALU_DEP_4) | instskip(NEXT) | instid1(VALU_DEP_4)
	v_add_nc_u32_e32 v37, v37, v27
	v_and_b32_e32 v36, v38, v36
	s_delay_alu instid0(VALU_DEP_4) | instskip(NEXT) | instid1(VALU_DEP_2)
	v_bfe_u32 v48, v39, 21, 1
	v_cmp_eq_u32_e64 s14, v36, v49
	s_delay_alu instid0(VALU_DEP_2) | instskip(NEXT) | instid1(VALU_DEP_1)
	v_add_nc_u32_e32 v38, -1, v48
	v_cndmask_b32_e64 v36, 0, v38, s14
	v_lshrrev_b32_e32 v38, 23, v39
	s_mov_b32 s14, exec_lo
	s_delay_alu instid0(VALU_DEP_2) | instskip(NEXT) | instid1(VALU_DEP_2)
	v_add_nc_u32_e32 v36, v36, v39
	v_xor_b32_e32 v38, 1, v38
	s_delay_alu instid0(VALU_DEP_2) | instskip(NEXT) | instid1(VALU_DEP_1)
	v_and_b32_e32 v27, 0x1fffff, v36
	v_add_nc_u32_e32 v36, v27, v39
                                        ; implicit-def: $vgpr27
	s_delay_alu instid0(VALU_DEP_3)
	v_cmpx_ne_u32_e64 v37, v38
	s_xor_b32 s14, exec_lo, s14
; %bb.10691:                            ;   in Loop: Header=BB6_10651 Depth=3
	s_delay_alu instid0(VALU_DEP_2) | instskip(SKIP_2) | instid1(VALU_DEP_2)
	v_cmp_lt_u32_e32 vcc_lo, 0xffffff, v36
	v_sub_nc_u32_e32 v27, v37, v38
	v_cndmask_b32_e64 v37, 0, 1, vcc_lo
	v_add_co_ci_u32_e32 v27, vcc_lo, 0, v27, vcc_lo
	s_delay_alu instid0(VALU_DEP_2)
	v_lshrrev_b32_e32 v36, v37, v36
; %bb.10692:                            ;   in Loop: Header=BB6_10651 Depth=3
	s_and_not1_saveexec_b32 s14, s14
; %bb.10693:                            ;   in Loop: Header=BB6_10651 Depth=3
	s_delay_alu instid0(VALU_DEP_1)
	v_bfe_u32 v27, v36, 23, 1
; %bb.10694:                            ;   in Loop: Header=BB6_10651 Depth=3
	s_or_b32 exec_lo, exec_lo, s14
	v_lshrrev_b32_e32 v36, 21, v36
	s_delay_alu instid0(VALU_DEP_2) | instskip(SKIP_2) | instid1(VALU_DEP_4)
	v_cmp_gt_i32_e32 vcc_lo, 32, v27
	v_lshrrev_b32_e32 v26, 24, v26
	v_min_i32_e32 v37, 31, v27
	v_cndmask_b32_e32 v36, 3, v36, vcc_lo
	s_delay_alu instid0(VALU_DEP_3) | instskip(NEXT) | instid1(VALU_DEP_3)
	v_and_b32_e32 v26, 0x80, v26
	v_lshlrev_b32_e32 v37, 2, v37
	s_delay_alu instid0(VALU_DEP_3) | instskip(SKIP_1) | instid1(VALU_DEP_2)
	v_and_b32_e32 v38, 3, v36
	v_or_b32_e32 v27, v27, v36
	v_or3_b32 v26, v37, v26, v38
	s_delay_alu instid0(VALU_DEP_2) | instskip(NEXT) | instid1(VALU_DEP_2)
	v_cmp_ne_u32_e32 vcc_lo, 0, v27
	v_cndmask_b32_e32 v132, 0, v26, vcc_lo
.LBB6_10695:                            ;   in Loop: Header=BB6_10651 Depth=3
	s_or_b32 exec_lo, exec_lo, s35
.LBB6_10696:                            ;   in Loop: Header=BB6_10651 Depth=3
	s_delay_alu instid0(SALU_CYCLE_1) | instskip(SKIP_3) | instid1(VALU_DEP_1)
	s_or_b32 exec_lo, exec_lo, s34
	v_lshrrev_b32_e32 v26, 24, v8
	s_mov_b32 s14, 0
	s_mov_b32 s35, exec_lo
                                        ; implicit-def: $sgpr34
	v_cmpx_lt_i16_e32 0x7f, v26
	s_xor_b32 s35, exec_lo, s35
	s_cbranch_execnz .LBB6_11123
; %bb.10697:                            ;   in Loop: Header=BB6_10651 Depth=3
	s_or_saveexec_b32 s35, s35
	v_mov_b32_e32 v27, s34
	s_xor_b32 exec_lo, exec_lo, s35
	s_cbranch_execnz .LBB6_11126
.LBB6_10698:                            ;   in Loop: Header=BB6_10651 Depth=3
	s_or_b32 exec_lo, exec_lo, s35
	s_and_saveexec_b32 s34, s14
	s_cbranch_execz .LBB6_10700
.LBB6_10699:                            ;   in Loop: Header=BB6_10651 Depth=3
	v_bfe_u32 v27, v8, 24, 2
	s_delay_alu instid0(VALU_DEP_1) | instskip(NEXT) | instid1(VALU_DEP_1)
	v_clz_i32_u32_e32 v36, v27
	v_min_u32_e32 v36, 32, v36
	s_delay_alu instid0(VALU_DEP_1) | instskip(SKIP_1) | instid1(VALU_DEP_2)
	v_subrev_nc_u32_e32 v37, 29, v36
	v_sub_nc_u32_e32 v36, 30, v36
	v_lshlrev_b32_e32 v26, v37, v26
	v_bfe_u32 v37, v8, 26, 5
	v_and_b32_e32 v8, 0x80000000, v8
	s_delay_alu instid0(VALU_DEP_3) | instskip(NEXT) | instid1(VALU_DEP_3)
	v_and_b32_e32 v26, 3, v26
	v_cmp_eq_u32_e32 vcc_lo, 0, v37
	v_cndmask_b32_e32 v36, v37, v36, vcc_lo
	s_delay_alu instid0(VALU_DEP_3) | instskip(NEXT) | instid1(VALU_DEP_2)
	v_cndmask_b32_e32 v26, v27, v26, vcc_lo
	v_lshl_add_u32 v27, v36, 23, 0x37800000
	s_delay_alu instid0(VALU_DEP_2) | instskip(NEXT) | instid1(VALU_DEP_1)
	v_lshlrev_b32_e32 v26, 21, v26
	v_or3_b32 v27, v8, v27, v26
.LBB6_10700:                            ;   in Loop: Header=BB6_10651 Depth=3
	s_or_b32 exec_lo, exec_lo, s34
	s_delay_alu instid0(VALU_DEP_1) | instskip(SKIP_1) | instid1(VALU_DEP_1)
	v_dual_mul_f32 v8, s15, v27 :: v_dual_mov_b32 v161, 0x80
	s_mov_b32 s34, exec_lo
	v_and_b32_e32 v26, 0x7f800000, v8
	s_delay_alu instid0(VALU_DEP_1)
	v_cmpx_ne_u32_e32 0x7f800000, v26
	s_cbranch_execz .LBB6_10708
; %bb.10701:                            ;   in Loop: Header=BB6_10651 Depth=3
	v_mov_b32_e32 v161, 0
	s_mov_b32 s35, exec_lo
	v_cmpx_ne_u32_e32 0, v8
	s_cbranch_execz .LBB6_10707
; %bb.10702:                            ;   in Loop: Header=BB6_10651 Depth=3
	v_bfe_u32 v26, v8, 23, 8
	v_and_b32_e32 v27, 0x7fffff, v8
	s_delay_alu instid0(VALU_DEP_2) | instskip(SKIP_1) | instid1(VALU_DEP_3)
	v_sub_nc_u32_e32 v36, 0x70, v26
	v_cmp_gt_u32_e32 vcc_lo, 0x71, v26
	v_or_b32_e32 v37, 0x800000, v27
	s_delay_alu instid0(VALU_DEP_3) | instskip(SKIP_1) | instid1(VALU_DEP_3)
	v_cndmask_b32_e32 v36, 0, v36, vcc_lo
	v_cmp_eq_u32_e32 vcc_lo, 0, v26
	v_dual_cndmask_b32 v27, v37, v27 :: v_dual_add_nc_u32 v26, 0xffffff91, v26
	s_delay_alu instid0(VALU_DEP_3) | instskip(NEXT) | instid1(VALU_DEP_2)
	v_cndmask_b32_e64 v36, v36, 0x6f, vcc_lo
	v_cndmask_b32_e64 v26, v26, 0xffffff92, vcc_lo
	s_delay_alu instid0(VALU_DEP_2) | instskip(SKIP_2) | instid1(VALU_DEP_4)
	v_lshrrev_b32_e32 v38, v36, v27
	v_lshl_add_u32 v37, 0x200000, v36, -1
	v_lshlrev_b32_e64 v48, v36, 0x100000
	v_add_nc_u32_e32 v36, v36, v26
	s_delay_alu instid0(VALU_DEP_4) | instskip(NEXT) | instid1(VALU_DEP_4)
	v_bfe_u32 v39, v38, 21, 1
	v_and_b32_e32 v27, v37, v27
	s_delay_alu instid0(VALU_DEP_2) | instskip(NEXT) | instid1(VALU_DEP_2)
	v_add_nc_u32_e32 v37, -1, v39
	v_cmp_eq_u32_e64 s14, v27, v48
	s_delay_alu instid0(VALU_DEP_1) | instskip(SKIP_2) | instid1(VALU_DEP_2)
	v_cndmask_b32_e64 v27, 0, v37, s14
	v_lshrrev_b32_e32 v37, 23, v38
	s_mov_b32 s14, exec_lo
	v_add_nc_u32_e32 v27, v27, v38
	s_delay_alu instid0(VALU_DEP_2) | instskip(NEXT) | instid1(VALU_DEP_2)
	v_xor_b32_e32 v37, 1, v37
	v_and_b32_e32 v26, 0x1fffff, v27
	s_delay_alu instid0(VALU_DEP_1) | instskip(NEXT) | instid1(VALU_DEP_3)
	v_add_nc_u32_e32 v27, v26, v38
                                        ; implicit-def: $vgpr26
	v_cmpx_ne_u32_e64 v36, v37
	s_xor_b32 s14, exec_lo, s14
; %bb.10703:                            ;   in Loop: Header=BB6_10651 Depth=3
	s_delay_alu instid0(VALU_DEP_2) | instskip(SKIP_2) | instid1(VALU_DEP_2)
	v_cmp_lt_u32_e32 vcc_lo, 0xffffff, v27
	v_sub_nc_u32_e32 v26, v36, v37
	v_cndmask_b32_e64 v36, 0, 1, vcc_lo
	v_add_co_ci_u32_e32 v26, vcc_lo, 0, v26, vcc_lo
	s_delay_alu instid0(VALU_DEP_2)
	v_lshrrev_b32_e32 v27, v36, v27
; %bb.10704:                            ;   in Loop: Header=BB6_10651 Depth=3
	s_and_not1_saveexec_b32 s14, s14
; %bb.10705:                            ;   in Loop: Header=BB6_10651 Depth=3
	s_delay_alu instid0(VALU_DEP_1)
	v_bfe_u32 v26, v27, 23, 1
; %bb.10706:                            ;   in Loop: Header=BB6_10651 Depth=3
	s_or_b32 exec_lo, exec_lo, s14
	v_lshrrev_b32_e32 v27, 21, v27
	s_delay_alu instid0(VALU_DEP_2) | instskip(SKIP_2) | instid1(VALU_DEP_2)
	v_cmp_gt_i32_e32 vcc_lo, 32, v26
	v_lshrrev_b32_e32 v8, 24, v8
	v_min_i32_e32 v36, 31, v26
	v_dual_cndmask_b32 v27, 3, v27 :: v_dual_and_b32 v8, 0x80, v8
	s_delay_alu instid0(VALU_DEP_2) | instskip(NEXT) | instid1(VALU_DEP_2)
	v_lshlrev_b32_e32 v36, 2, v36
	v_and_b32_e32 v37, 3, v27
	v_or_b32_e32 v26, v26, v27
	s_delay_alu instid0(VALU_DEP_2) | instskip(NEXT) | instid1(VALU_DEP_2)
	v_or3_b32 v8, v36, v8, v37
	v_cmp_ne_u32_e32 vcc_lo, 0, v26
	s_delay_alu instid0(VALU_DEP_2)
	v_cndmask_b32_e32 v161, 0, v8, vcc_lo
.LBB6_10707:                            ;   in Loop: Header=BB6_10651 Depth=3
	s_or_b32 exec_lo, exec_lo, s35
.LBB6_10708:                            ;   in Loop: Header=BB6_10651 Depth=3
	s_delay_alu instid0(SALU_CYCLE_1) | instskip(SKIP_3) | instid1(VALU_DEP_1)
	s_or_b32 exec_lo, exec_lo, s34
	v_and_b32_e32 v26, 0xff, v9
	s_mov_b32 s14, 0
	s_mov_b32 s35, exec_lo
                                        ; implicit-def: $sgpr34
	v_cmpx_lt_i16_e32 0x7f, v26
	s_xor_b32 s35, exec_lo, s35
	s_cbranch_execnz .LBB6_11127
; %bb.10709:                            ;   in Loop: Header=BB6_10651 Depth=3
	s_or_saveexec_b32 s35, s35
	v_mov_b32_e32 v8, s34
	s_xor_b32 exec_lo, exec_lo, s35
	s_cbranch_execnz .LBB6_11130
.LBB6_10710:                            ;   in Loop: Header=BB6_10651 Depth=3
	s_or_b32 exec_lo, exec_lo, s35
	s_and_saveexec_b32 s34, s14
	s_cbranch_execz .LBB6_10712
.LBB6_10711:                            ;   in Loop: Header=BB6_10651 Depth=3
	v_and_b32_e32 v8, 3, v9
	v_bfe_u32 v36, v9, 2, 5
	s_delay_alu instid0(VALU_DEP_2) | instskip(NEXT) | instid1(VALU_DEP_2)
	v_clz_i32_u32_e32 v26, v8
	v_cmp_eq_u32_e32 vcc_lo, 0, v36
	s_delay_alu instid0(VALU_DEP_2) | instskip(NEXT) | instid1(VALU_DEP_1)
	v_min_u32_e32 v26, 32, v26
	v_subrev_nc_u32_e32 v27, 29, v26
	v_sub_nc_u32_e32 v26, 30, v26
	s_delay_alu instid0(VALU_DEP_1) | instskip(NEXT) | instid1(VALU_DEP_1)
	v_dual_cndmask_b32 v26, v36, v26 :: v_dual_lshlrev_b32 v27, v27, v9
	v_and_b32_e32 v27, 3, v27
	v_lshlrev_b32_e32 v37, 24, v9
	s_delay_alu instid0(VALU_DEP_3) | instskip(NEXT) | instid1(VALU_DEP_2)
	v_lshl_add_u32 v26, v26, 23, 0x37800000
	v_dual_cndmask_b32 v8, v8, v27 :: v_dual_and_b32 v27, 0x80000000, v37
	s_delay_alu instid0(VALU_DEP_1) | instskip(NEXT) | instid1(VALU_DEP_1)
	v_lshlrev_b32_e32 v8, 21, v8
	v_or3_b32 v8, v27, v26, v8
.LBB6_10712:                            ;   in Loop: Header=BB6_10651 Depth=3
	s_or_b32 exec_lo, exec_lo, s34
	s_delay_alu instid0(VALU_DEP_1) | instskip(SKIP_2) | instid1(VALU_DEP_2)
	v_mul_f32_e32 v8, s15, v8
	v_mov_b32_e32 v160, 0x80
	s_mov_b32 s34, exec_lo
	v_and_b32_e32 v26, 0x7f800000, v8
	s_delay_alu instid0(VALU_DEP_1)
	v_cmpx_ne_u32_e32 0x7f800000, v26
	s_cbranch_execz .LBB6_10720
; %bb.10713:                            ;   in Loop: Header=BB6_10651 Depth=3
	v_mov_b32_e32 v160, 0
	s_mov_b32 s35, exec_lo
	v_cmpx_ne_u32_e32 0, v8
	s_cbranch_execz .LBB6_10719
; %bb.10714:                            ;   in Loop: Header=BB6_10651 Depth=3
	v_bfe_u32 v26, v8, 23, 8
	v_and_b32_e32 v27, 0x7fffff, v8
	s_delay_alu instid0(VALU_DEP_2) | instskip(SKIP_1) | instid1(VALU_DEP_3)
	v_sub_nc_u32_e32 v36, 0x70, v26
	v_cmp_gt_u32_e32 vcc_lo, 0x71, v26
	v_or_b32_e32 v37, 0x800000, v27
	s_delay_alu instid0(VALU_DEP_3) | instskip(SKIP_1) | instid1(VALU_DEP_3)
	v_cndmask_b32_e32 v36, 0, v36, vcc_lo
	v_cmp_eq_u32_e32 vcc_lo, 0, v26
	v_dual_cndmask_b32 v27, v37, v27 :: v_dual_add_nc_u32 v26, 0xffffff91, v26
	s_delay_alu instid0(VALU_DEP_3) | instskip(NEXT) | instid1(VALU_DEP_2)
	v_cndmask_b32_e64 v36, v36, 0x6f, vcc_lo
	v_cndmask_b32_e64 v26, v26, 0xffffff92, vcc_lo
	s_delay_alu instid0(VALU_DEP_2) | instskip(SKIP_2) | instid1(VALU_DEP_4)
	v_lshrrev_b32_e32 v38, v36, v27
	v_lshl_add_u32 v37, 0x200000, v36, -1
	v_lshlrev_b32_e64 v48, v36, 0x100000
	v_add_nc_u32_e32 v36, v36, v26
	s_delay_alu instid0(VALU_DEP_4) | instskip(NEXT) | instid1(VALU_DEP_4)
	v_bfe_u32 v39, v38, 21, 1
	v_and_b32_e32 v27, v37, v27
	s_delay_alu instid0(VALU_DEP_2) | instskip(NEXT) | instid1(VALU_DEP_2)
	v_add_nc_u32_e32 v37, -1, v39
	v_cmp_eq_u32_e64 s14, v27, v48
	s_delay_alu instid0(VALU_DEP_1) | instskip(SKIP_2) | instid1(VALU_DEP_2)
	v_cndmask_b32_e64 v27, 0, v37, s14
	v_lshrrev_b32_e32 v37, 23, v38
	s_mov_b32 s14, exec_lo
	v_add_nc_u32_e32 v27, v27, v38
	s_delay_alu instid0(VALU_DEP_2) | instskip(NEXT) | instid1(VALU_DEP_2)
	v_xor_b32_e32 v37, 1, v37
	v_and_b32_e32 v26, 0x1fffff, v27
	s_delay_alu instid0(VALU_DEP_1) | instskip(NEXT) | instid1(VALU_DEP_3)
	v_add_nc_u32_e32 v27, v26, v38
                                        ; implicit-def: $vgpr26
	v_cmpx_ne_u32_e64 v36, v37
	s_xor_b32 s14, exec_lo, s14
; %bb.10715:                            ;   in Loop: Header=BB6_10651 Depth=3
	s_delay_alu instid0(VALU_DEP_2) | instskip(SKIP_2) | instid1(VALU_DEP_2)
	v_cmp_lt_u32_e32 vcc_lo, 0xffffff, v27
	v_sub_nc_u32_e32 v26, v36, v37
	v_cndmask_b32_e64 v36, 0, 1, vcc_lo
	v_add_co_ci_u32_e32 v26, vcc_lo, 0, v26, vcc_lo
	s_delay_alu instid0(VALU_DEP_2)
	v_lshrrev_b32_e32 v27, v36, v27
; %bb.10716:                            ;   in Loop: Header=BB6_10651 Depth=3
	s_and_not1_saveexec_b32 s14, s14
; %bb.10717:                            ;   in Loop: Header=BB6_10651 Depth=3
	s_delay_alu instid0(VALU_DEP_1)
	v_bfe_u32 v26, v27, 23, 1
; %bb.10718:                            ;   in Loop: Header=BB6_10651 Depth=3
	s_or_b32 exec_lo, exec_lo, s14
	v_lshrrev_b32_e32 v27, 21, v27
	s_delay_alu instid0(VALU_DEP_2) | instskip(SKIP_2) | instid1(VALU_DEP_2)
	v_cmp_gt_i32_e32 vcc_lo, 32, v26
	v_min_i32_e32 v36, 31, v26
	v_lshrrev_b32_e32 v8, 24, v8
	v_dual_cndmask_b32 v27, 3, v27 :: v_dual_lshlrev_b32 v36, 2, v36
	s_delay_alu instid0(VALU_DEP_2) | instskip(NEXT) | instid1(VALU_DEP_2)
	v_and_b32_e32 v8, 0x80, v8
	v_or_b32_e32 v26, v26, v27
	s_delay_alu instid0(VALU_DEP_3) | instskip(NEXT) | instid1(VALU_DEP_2)
	v_and_b32_e32 v36, 0xfc, v36
	v_cmp_ne_u32_e32 vcc_lo, 0, v26
	v_and_b32_e32 v37, 3, v27
	s_delay_alu instid0(VALU_DEP_1) | instskip(NEXT) | instid1(VALU_DEP_1)
	v_or3_b32 v8, v36, v8, v37
	v_cndmask_b32_e32 v160, 0, v8, vcc_lo
.LBB6_10719:                            ;   in Loop: Header=BB6_10651 Depth=3
	s_or_b32 exec_lo, exec_lo, s35
.LBB6_10720:                            ;   in Loop: Header=BB6_10651 Depth=3
	s_delay_alu instid0(SALU_CYCLE_1) | instskip(SKIP_3) | instid1(VALU_DEP_1)
	s_or_b32 exec_lo, exec_lo, s34
	v_lshrrev_b16 v8, 8, v9
	s_mov_b32 s14, 0
	s_mov_b32 s35, exec_lo
                                        ; implicit-def: $sgpr34
	v_cmpx_lt_i16_e32 0x7f, v8
	s_xor_b32 s35, exec_lo, s35
	s_cbranch_execnz .LBB6_11131
; %bb.10721:                            ;   in Loop: Header=BB6_10651 Depth=3
	s_or_saveexec_b32 s35, s35
	v_mov_b32_e32 v26, s34
	s_xor_b32 exec_lo, exec_lo, s35
	s_cbranch_execnz .LBB6_11134
.LBB6_10722:                            ;   in Loop: Header=BB6_10651 Depth=3
	s_or_b32 exec_lo, exec_lo, s35
	s_and_saveexec_b32 s34, s14
	s_cbranch_execz .LBB6_10724
.LBB6_10723:                            ;   in Loop: Header=BB6_10651 Depth=3
	v_and_b32_e32 v26, 0xffff, v8
	v_lshlrev_b32_e32 v8, 24, v8
	s_delay_alu instid0(VALU_DEP_2) | instskip(NEXT) | instid1(VALU_DEP_2)
	v_and_b32_e32 v27, 3, v26
	v_and_b32_e32 v8, 0x80000000, v8
	s_delay_alu instid0(VALU_DEP_2) | instskip(NEXT) | instid1(VALU_DEP_1)
	v_clz_i32_u32_e32 v36, v27
	v_min_u32_e32 v36, 32, v36
	s_delay_alu instid0(VALU_DEP_1) | instskip(SKIP_1) | instid1(VALU_DEP_2)
	v_subrev_nc_u32_e32 v37, 29, v36
	v_sub_nc_u32_e32 v36, 30, v36
	v_lshlrev_b32_e32 v37, v37, v26
	v_bfe_u32 v26, v26, 2, 5
	s_delay_alu instid0(VALU_DEP_2) | instskip(NEXT) | instid1(VALU_DEP_2)
	v_and_b32_e32 v37, 3, v37
	v_cmp_eq_u32_e32 vcc_lo, 0, v26
	s_delay_alu instid0(VALU_DEP_2) | instskip(NEXT) | instid1(VALU_DEP_1)
	v_dual_cndmask_b32 v26, v26, v36 :: v_dual_cndmask_b32 v27, v27, v37
	v_lshl_add_u32 v26, v26, 23, 0x37800000
	s_delay_alu instid0(VALU_DEP_2) | instskip(NEXT) | instid1(VALU_DEP_1)
	v_lshlrev_b32_e32 v27, 21, v27
	v_or3_b32 v26, v8, v26, v27
.LBB6_10724:                            ;   in Loop: Header=BB6_10651 Depth=3
	s_or_b32 exec_lo, exec_lo, s34
	s_delay_alu instid0(VALU_DEP_1) | instskip(SKIP_1) | instid1(VALU_DEP_1)
	v_dual_mul_f32 v8, s15, v26 :: v_dual_mov_b32 v163, 0x8000
	s_mov_b32 s34, exec_lo
	v_and_b32_e32 v26, 0x7f800000, v8
	s_delay_alu instid0(VALU_DEP_1)
	v_cmpx_ne_u32_e32 0x7f800000, v26
	s_cbranch_execz .LBB6_10732
; %bb.10725:                            ;   in Loop: Header=BB6_10651 Depth=3
	v_mov_b32_e32 v163, 0
	s_mov_b32 s35, exec_lo
	v_cmpx_ne_u32_e32 0, v8
	s_cbranch_execz .LBB6_10731
; %bb.10726:                            ;   in Loop: Header=BB6_10651 Depth=3
	v_bfe_u32 v26, v8, 23, 8
	v_and_b32_e32 v27, 0x7fffff, v8
	s_delay_alu instid0(VALU_DEP_2) | instskip(SKIP_1) | instid1(VALU_DEP_3)
	v_sub_nc_u32_e32 v36, 0x70, v26
	v_cmp_gt_u32_e32 vcc_lo, 0x71, v26
	v_or_b32_e32 v37, 0x800000, v27
	s_delay_alu instid0(VALU_DEP_3) | instskip(SKIP_1) | instid1(VALU_DEP_3)
	v_cndmask_b32_e32 v36, 0, v36, vcc_lo
	v_cmp_eq_u32_e32 vcc_lo, 0, v26
	v_dual_cndmask_b32 v27, v37, v27 :: v_dual_add_nc_u32 v26, 0xffffff91, v26
	s_delay_alu instid0(VALU_DEP_3) | instskip(NEXT) | instid1(VALU_DEP_2)
	v_cndmask_b32_e64 v36, v36, 0x6f, vcc_lo
	v_cndmask_b32_e64 v26, v26, 0xffffff92, vcc_lo
	s_delay_alu instid0(VALU_DEP_2) | instskip(SKIP_2) | instid1(VALU_DEP_4)
	v_lshrrev_b32_e32 v38, v36, v27
	v_lshl_add_u32 v37, 0x200000, v36, -1
	v_lshlrev_b32_e64 v48, v36, 0x100000
	v_add_nc_u32_e32 v36, v36, v26
	s_delay_alu instid0(VALU_DEP_4) | instskip(NEXT) | instid1(VALU_DEP_4)
	v_bfe_u32 v39, v38, 21, 1
	v_and_b32_e32 v27, v37, v27
	s_delay_alu instid0(VALU_DEP_2) | instskip(NEXT) | instid1(VALU_DEP_2)
	v_add_nc_u32_e32 v37, -1, v39
	v_cmp_eq_u32_e64 s14, v27, v48
	s_delay_alu instid0(VALU_DEP_1) | instskip(SKIP_2) | instid1(VALU_DEP_2)
	v_cndmask_b32_e64 v27, 0, v37, s14
	v_lshrrev_b32_e32 v37, 23, v38
	s_mov_b32 s14, exec_lo
	v_add_nc_u32_e32 v27, v27, v38
	s_delay_alu instid0(VALU_DEP_2) | instskip(NEXT) | instid1(VALU_DEP_2)
	v_xor_b32_e32 v37, 1, v37
	v_and_b32_e32 v26, 0x1fffff, v27
	s_delay_alu instid0(VALU_DEP_1) | instskip(NEXT) | instid1(VALU_DEP_3)
	v_add_nc_u32_e32 v27, v26, v38
                                        ; implicit-def: $vgpr26
	v_cmpx_ne_u32_e64 v36, v37
	s_xor_b32 s14, exec_lo, s14
; %bb.10727:                            ;   in Loop: Header=BB6_10651 Depth=3
	s_delay_alu instid0(VALU_DEP_2) | instskip(SKIP_2) | instid1(VALU_DEP_2)
	v_cmp_lt_u32_e32 vcc_lo, 0xffffff, v27
	v_sub_nc_u32_e32 v26, v36, v37
	v_cndmask_b32_e64 v36, 0, 1, vcc_lo
	v_add_co_ci_u32_e32 v26, vcc_lo, 0, v26, vcc_lo
	s_delay_alu instid0(VALU_DEP_2)
	v_lshrrev_b32_e32 v27, v36, v27
; %bb.10728:                            ;   in Loop: Header=BB6_10651 Depth=3
	s_and_not1_saveexec_b32 s14, s14
; %bb.10729:                            ;   in Loop: Header=BB6_10651 Depth=3
	s_delay_alu instid0(VALU_DEP_1)
	v_bfe_u32 v26, v27, 23, 1
; %bb.10730:                            ;   in Loop: Header=BB6_10651 Depth=3
	s_or_b32 exec_lo, exec_lo, s14
	v_lshrrev_b32_e32 v27, 21, v27
	s_delay_alu instid0(VALU_DEP_2) | instskip(SKIP_2) | instid1(VALU_DEP_3)
	v_min_i32_e32 v36, 31, v26
	v_cmp_gt_i32_e32 vcc_lo, 32, v26
	v_lshrrev_b32_e32 v8, 24, v8
	v_dual_cndmask_b32 v27, 3, v27 :: v_dual_lshlrev_b32 v36, 2, v36
	s_delay_alu instid0(VALU_DEP_2) | instskip(NEXT) | instid1(VALU_DEP_2)
	v_and_b32_e32 v8, 0x80, v8
	v_and_b32_e32 v36, 0xfc, v36
	s_delay_alu instid0(VALU_DEP_3) | instskip(SKIP_1) | instid1(VALU_DEP_2)
	v_and_b32_e32 v37, 3, v27
	v_or_b32_e32 v26, v26, v27
	v_or3_b32 v8, v8, v36, v37
	s_delay_alu instid0(VALU_DEP_2) | instskip(NEXT) | instid1(VALU_DEP_2)
	v_cmp_ne_u32_e32 vcc_lo, 0, v26
	v_lshlrev_b32_e32 v8, 8, v8
	s_delay_alu instid0(VALU_DEP_1)
	v_cndmask_b32_e32 v163, 0, v8, vcc_lo
.LBB6_10731:                            ;   in Loop: Header=BB6_10651 Depth=3
	s_or_b32 exec_lo, exec_lo, s35
.LBB6_10732:                            ;   in Loop: Header=BB6_10651 Depth=3
	s_delay_alu instid0(SALU_CYCLE_1) | instskip(SKIP_3) | instid1(VALU_DEP_1)
	s_or_b32 exec_lo, exec_lo, s34
	v_lshrrev_b32_e32 v8, 16, v9
	s_mov_b32 s14, 0
	s_mov_b32 s35, exec_lo
                                        ; implicit-def: $sgpr34
	v_and_b32_e32 v27, 0xff, v8
	s_delay_alu instid0(VALU_DEP_1)
	v_cmpx_lt_i16_e32 0x7f, v27
	s_xor_b32 s35, exec_lo, s35
	s_cbranch_execnz .LBB6_11135
; %bb.10733:                            ;   in Loop: Header=BB6_10651 Depth=3
	s_or_saveexec_b32 s35, s35
	v_mov_b32_e32 v26, s34
	s_xor_b32 exec_lo, exec_lo, s35
	s_cbranch_execnz .LBB6_11138
.LBB6_10734:                            ;   in Loop: Header=BB6_10651 Depth=3
	s_or_b32 exec_lo, exec_lo, s35
	s_and_saveexec_b32 s34, s14
	s_cbranch_execz .LBB6_10736
.LBB6_10735:                            ;   in Loop: Header=BB6_10651 Depth=3
	v_bfe_u32 v26, v9, 16, 2
	s_delay_alu instid0(VALU_DEP_1) | instskip(NEXT) | instid1(VALU_DEP_1)
	v_clz_i32_u32_e32 v27, v26
	v_min_u32_e32 v27, 32, v27
	s_delay_alu instid0(VALU_DEP_1) | instskip(SKIP_1) | instid1(VALU_DEP_2)
	v_subrev_nc_u32_e32 v36, 29, v27
	v_sub_nc_u32_e32 v27, 30, v27
	v_lshlrev_b32_e32 v8, v36, v8
	v_bfe_u32 v36, v9, 18, 5
	s_delay_alu instid0(VALU_DEP_1) | instskip(NEXT) | instid1(VALU_DEP_3)
	v_cmp_eq_u32_e32 vcc_lo, 0, v36
	v_dual_cndmask_b32 v27, v36, v27 :: v_dual_and_b32 v8, 3, v8
	s_delay_alu instid0(VALU_DEP_1) | instskip(NEXT) | instid1(VALU_DEP_2)
	v_dual_cndmask_b32 v8, v26, v8 :: v_dual_lshlrev_b32 v37, 8, v9
	v_lshl_add_u32 v27, v27, 23, 0x37800000
	s_delay_alu instid0(VALU_DEP_2) | instskip(NEXT) | instid1(VALU_DEP_3)
	v_and_b32_e32 v26, 0x80000000, v37
	v_lshlrev_b32_e32 v8, 21, v8
	s_delay_alu instid0(VALU_DEP_1)
	v_or3_b32 v26, v26, v27, v8
.LBB6_10736:                            ;   in Loop: Header=BB6_10651 Depth=3
	s_or_b32 exec_lo, exec_lo, s34
	s_delay_alu instid0(VALU_DEP_1) | instskip(SKIP_1) | instid1(VALU_DEP_1)
	v_dual_mul_f32 v8, s15, v26 :: v_dual_mov_b32 v129, 0x80
	s_mov_b32 s34, exec_lo
	v_and_b32_e32 v26, 0x7f800000, v8
	s_delay_alu instid0(VALU_DEP_1)
	v_cmpx_ne_u32_e32 0x7f800000, v26
	s_cbranch_execz .LBB6_10744
; %bb.10737:                            ;   in Loop: Header=BB6_10651 Depth=3
	v_mov_b32_e32 v129, 0
	s_mov_b32 s35, exec_lo
	v_cmpx_ne_u32_e32 0, v8
	s_cbranch_execz .LBB6_10743
; %bb.10738:                            ;   in Loop: Header=BB6_10651 Depth=3
	v_bfe_u32 v26, v8, 23, 8
	v_and_b32_e32 v27, 0x7fffff, v8
	s_delay_alu instid0(VALU_DEP_2) | instskip(SKIP_1) | instid1(VALU_DEP_3)
	v_sub_nc_u32_e32 v36, 0x70, v26
	v_cmp_gt_u32_e32 vcc_lo, 0x71, v26
	v_or_b32_e32 v37, 0x800000, v27
	s_delay_alu instid0(VALU_DEP_3) | instskip(SKIP_1) | instid1(VALU_DEP_3)
	v_cndmask_b32_e32 v36, 0, v36, vcc_lo
	v_cmp_eq_u32_e32 vcc_lo, 0, v26
	v_dual_cndmask_b32 v27, v37, v27 :: v_dual_add_nc_u32 v26, 0xffffff91, v26
	s_delay_alu instid0(VALU_DEP_3) | instskip(NEXT) | instid1(VALU_DEP_2)
	v_cndmask_b32_e64 v36, v36, 0x6f, vcc_lo
	v_cndmask_b32_e64 v26, v26, 0xffffff92, vcc_lo
	s_delay_alu instid0(VALU_DEP_2) | instskip(SKIP_2) | instid1(VALU_DEP_4)
	v_lshrrev_b32_e32 v38, v36, v27
	v_lshl_add_u32 v37, 0x200000, v36, -1
	v_lshlrev_b32_e64 v48, v36, 0x100000
	v_add_nc_u32_e32 v36, v36, v26
	s_delay_alu instid0(VALU_DEP_4) | instskip(NEXT) | instid1(VALU_DEP_4)
	v_bfe_u32 v39, v38, 21, 1
	v_and_b32_e32 v27, v37, v27
	s_delay_alu instid0(VALU_DEP_2) | instskip(NEXT) | instid1(VALU_DEP_2)
	v_add_nc_u32_e32 v37, -1, v39
	v_cmp_eq_u32_e64 s14, v27, v48
	s_delay_alu instid0(VALU_DEP_1) | instskip(SKIP_2) | instid1(VALU_DEP_2)
	v_cndmask_b32_e64 v27, 0, v37, s14
	v_lshrrev_b32_e32 v37, 23, v38
	s_mov_b32 s14, exec_lo
	v_add_nc_u32_e32 v27, v27, v38
	s_delay_alu instid0(VALU_DEP_2) | instskip(NEXT) | instid1(VALU_DEP_2)
	v_xor_b32_e32 v37, 1, v37
	v_and_b32_e32 v26, 0x1fffff, v27
	s_delay_alu instid0(VALU_DEP_1) | instskip(NEXT) | instid1(VALU_DEP_3)
	v_add_nc_u32_e32 v27, v26, v38
                                        ; implicit-def: $vgpr26
	v_cmpx_ne_u32_e64 v36, v37
	s_xor_b32 s14, exec_lo, s14
; %bb.10739:                            ;   in Loop: Header=BB6_10651 Depth=3
	s_delay_alu instid0(VALU_DEP_2) | instskip(SKIP_2) | instid1(VALU_DEP_2)
	v_cmp_lt_u32_e32 vcc_lo, 0xffffff, v27
	v_sub_nc_u32_e32 v26, v36, v37
	v_cndmask_b32_e64 v36, 0, 1, vcc_lo
	v_add_co_ci_u32_e32 v26, vcc_lo, 0, v26, vcc_lo
	s_delay_alu instid0(VALU_DEP_2)
	v_lshrrev_b32_e32 v27, v36, v27
; %bb.10740:                            ;   in Loop: Header=BB6_10651 Depth=3
	s_and_not1_saveexec_b32 s14, s14
; %bb.10741:                            ;   in Loop: Header=BB6_10651 Depth=3
	s_delay_alu instid0(VALU_DEP_1)
	v_bfe_u32 v26, v27, 23, 1
; %bb.10742:                            ;   in Loop: Header=BB6_10651 Depth=3
	s_or_b32 exec_lo, exec_lo, s14
	v_lshrrev_b32_e32 v27, 21, v27
	s_delay_alu instid0(VALU_DEP_2) | instskip(SKIP_2) | instid1(VALU_DEP_3)
	v_min_i32_e32 v36, 31, v26
	v_cmp_gt_i32_e32 vcc_lo, 32, v26
	v_lshrrev_b32_e32 v8, 24, v8
	v_dual_cndmask_b32 v27, 3, v27 :: v_dual_lshlrev_b32 v36, 2, v36
	s_delay_alu instid0(VALU_DEP_2) | instskip(NEXT) | instid1(VALU_DEP_2)
	v_and_b32_e32 v8, 0x80, v8
	v_and_b32_e32 v36, 0xfc, v36
	s_delay_alu instid0(VALU_DEP_3) | instskip(SKIP_1) | instid1(VALU_DEP_2)
	v_and_b32_e32 v37, 3, v27
	v_or_b32_e32 v26, v26, v27
	v_or3_b32 v8, v36, v8, v37
	s_delay_alu instid0(VALU_DEP_2) | instskip(NEXT) | instid1(VALU_DEP_2)
	v_cmp_ne_u32_e32 vcc_lo, 0, v26
	v_cndmask_b32_e32 v129, 0, v8, vcc_lo
.LBB6_10743:                            ;   in Loop: Header=BB6_10651 Depth=3
	s_or_b32 exec_lo, exec_lo, s35
.LBB6_10744:                            ;   in Loop: Header=BB6_10651 Depth=3
	s_delay_alu instid0(SALU_CYCLE_1) | instskip(SKIP_3) | instid1(VALU_DEP_1)
	s_or_b32 exec_lo, exec_lo, s34
	v_lshrrev_b32_e32 v8, 24, v9
	s_mov_b32 s14, 0
	s_mov_b32 s35, exec_lo
                                        ; implicit-def: $sgpr34
	v_cmpx_lt_i16_e32 0x7f, v8
	s_xor_b32 s35, exec_lo, s35
	s_cbranch_execnz .LBB6_11139
; %bb.10745:                            ;   in Loop: Header=BB6_10651 Depth=3
	s_or_saveexec_b32 s35, s35
	v_mov_b32_e32 v26, s34
	s_xor_b32 exec_lo, exec_lo, s35
	s_cbranch_execnz .LBB6_11142
.LBB6_10746:                            ;   in Loop: Header=BB6_10651 Depth=3
	s_or_b32 exec_lo, exec_lo, s35
	s_and_saveexec_b32 s34, s14
	s_cbranch_execz .LBB6_10748
.LBB6_10747:                            ;   in Loop: Header=BB6_10651 Depth=3
	v_bfe_u32 v26, v9, 24, 2
	s_delay_alu instid0(VALU_DEP_1) | instskip(NEXT) | instid1(VALU_DEP_1)
	v_clz_i32_u32_e32 v27, v26
	v_min_u32_e32 v27, 32, v27
	s_delay_alu instid0(VALU_DEP_1) | instskip(SKIP_1) | instid1(VALU_DEP_2)
	v_subrev_nc_u32_e32 v36, 29, v27
	v_sub_nc_u32_e32 v27, 30, v27
	v_lshlrev_b32_e32 v8, v36, v8
	v_bfe_u32 v36, v9, 26, 5
	v_and_b32_e32 v9, 0x80000000, v9
	s_delay_alu instid0(VALU_DEP_2) | instskip(NEXT) | instid1(VALU_DEP_4)
	v_cmp_eq_u32_e32 vcc_lo, 0, v36
	v_dual_cndmask_b32 v27, v36, v27 :: v_dual_and_b32 v8, 3, v8
	s_delay_alu instid0(VALU_DEP_1) | instskip(NEXT) | instid1(VALU_DEP_2)
	v_cndmask_b32_e32 v8, v26, v8, vcc_lo
	v_lshl_add_u32 v26, v27, 23, 0x37800000
	s_delay_alu instid0(VALU_DEP_2) | instskip(NEXT) | instid1(VALU_DEP_1)
	v_lshlrev_b32_e32 v8, 21, v8
	v_or3_b32 v26, v9, v26, v8
.LBB6_10748:                            ;   in Loop: Header=BB6_10651 Depth=3
	s_or_b32 exec_lo, exec_lo, s34
	s_delay_alu instid0(VALU_DEP_1) | instskip(SKIP_2) | instid1(VALU_DEP_2)
	v_mul_f32_e32 v8, s15, v26
	v_mov_b32_e32 v162, 0x8000
	s_mov_b32 s34, exec_lo
	v_and_b32_e32 v9, 0x7f800000, v8
	s_delay_alu instid0(VALU_DEP_1)
	v_cmpx_ne_u32_e32 0x7f800000, v9
	s_cbranch_execz .LBB6_10756
; %bb.10749:                            ;   in Loop: Header=BB6_10651 Depth=3
	v_mov_b32_e32 v162, 0
	s_mov_b32 s35, exec_lo
	v_cmpx_ne_u32_e32 0, v8
	s_cbranch_execz .LBB6_10755
; %bb.10750:                            ;   in Loop: Header=BB6_10651 Depth=3
	v_bfe_u32 v9, v8, 23, 8
	s_delay_alu instid0(VALU_DEP_1) | instskip(SKIP_1) | instid1(VALU_DEP_2)
	v_sub_nc_u32_e32 v27, 0x70, v9
	v_cmp_gt_u32_e32 vcc_lo, 0x71, v9
	v_dual_cndmask_b32 v27, 0, v27 :: v_dual_and_b32 v26, 0x7fffff, v8
	s_delay_alu instid0(VALU_DEP_1) | instskip(SKIP_2) | instid1(VALU_DEP_4)
	v_or_b32_e32 v36, 0x800000, v26
	v_cmp_eq_u32_e32 vcc_lo, 0, v9
	v_add_nc_u32_e32 v9, 0xffffff91, v9
	v_cndmask_b32_e64 v27, v27, 0x6f, vcc_lo
	s_delay_alu instid0(VALU_DEP_4) | instskip(NEXT) | instid1(VALU_DEP_3)
	v_cndmask_b32_e32 v26, v36, v26, vcc_lo
	v_cndmask_b32_e64 v9, v9, 0xffffff92, vcc_lo
	s_delay_alu instid0(VALU_DEP_3) | instskip(NEXT) | instid1(VALU_DEP_3)
	v_lshl_add_u32 v36, 0x200000, v27, -1
	v_lshrrev_b32_e32 v37, v27, v26
	v_lshlrev_b32_e64 v39, v27, 0x100000
	s_delay_alu instid0(VALU_DEP_4) | instskip(NEXT) | instid1(VALU_DEP_4)
	v_add_nc_u32_e32 v27, v27, v9
	v_and_b32_e32 v26, v36, v26
	s_delay_alu instid0(VALU_DEP_4) | instskip(NEXT) | instid1(VALU_DEP_2)
	v_bfe_u32 v38, v37, 21, 1
	v_cmp_eq_u32_e64 s14, v26, v39
	s_delay_alu instid0(VALU_DEP_2) | instskip(NEXT) | instid1(VALU_DEP_1)
	v_add_nc_u32_e32 v36, -1, v38
	v_cndmask_b32_e64 v26, 0, v36, s14
	v_lshrrev_b32_e32 v36, 23, v37
	s_mov_b32 s14, exec_lo
	s_delay_alu instid0(VALU_DEP_2) | instskip(NEXT) | instid1(VALU_DEP_2)
	v_add_nc_u32_e32 v26, v26, v37
	v_xor_b32_e32 v36, 1, v36
	s_delay_alu instid0(VALU_DEP_2) | instskip(NEXT) | instid1(VALU_DEP_1)
	v_and_b32_e32 v9, 0x1fffff, v26
	v_add_nc_u32_e32 v26, v9, v37
                                        ; implicit-def: $vgpr9
	s_delay_alu instid0(VALU_DEP_3)
	v_cmpx_ne_u32_e64 v27, v36
	s_xor_b32 s14, exec_lo, s14
; %bb.10751:                            ;   in Loop: Header=BB6_10651 Depth=3
	s_delay_alu instid0(VALU_DEP_2) | instskip(SKIP_2) | instid1(VALU_DEP_2)
	v_cmp_lt_u32_e32 vcc_lo, 0xffffff, v26
	v_sub_nc_u32_e32 v9, v27, v36
	v_cndmask_b32_e64 v27, 0, 1, vcc_lo
	v_add_co_ci_u32_e32 v9, vcc_lo, 0, v9, vcc_lo
	s_delay_alu instid0(VALU_DEP_2)
	v_lshrrev_b32_e32 v26, v27, v26
; %bb.10752:                            ;   in Loop: Header=BB6_10651 Depth=3
	s_and_not1_saveexec_b32 s14, s14
; %bb.10753:                            ;   in Loop: Header=BB6_10651 Depth=3
	s_delay_alu instid0(VALU_DEP_1)
	v_bfe_u32 v9, v26, 23, 1
; %bb.10754:                            ;   in Loop: Header=BB6_10651 Depth=3
	s_or_b32 exec_lo, exec_lo, s14
	v_lshrrev_b32_e32 v26, 21, v26
	s_delay_alu instid0(VALU_DEP_2) | instskip(SKIP_2) | instid1(VALU_DEP_2)
	v_cmp_gt_i32_e32 vcc_lo, 32, v9
	v_min_i32_e32 v27, 31, v9
	v_lshrrev_b32_e32 v8, 24, v8
	v_dual_cndmask_b32 v26, 3, v26 :: v_dual_lshlrev_b32 v27, 2, v27
	s_delay_alu instid0(VALU_DEP_2) | instskip(NEXT) | instid1(VALU_DEP_2)
	v_and_b32_e32 v8, 0x80, v8
	v_or_b32_e32 v9, v9, v26
	v_and_b32_e32 v36, 3, v26
	s_delay_alu instid0(VALU_DEP_2) | instskip(SKIP_1) | instid1(VALU_DEP_1)
	v_cmp_ne_u32_e32 vcc_lo, 0, v9
	v_and_b32_e32 v27, 0xfc, v27
	v_or3_b32 v8, v8, v27, v36
	s_delay_alu instid0(VALU_DEP_1) | instskip(NEXT) | instid1(VALU_DEP_1)
	v_lshlrev_b32_e32 v8, 8, v8
	v_cndmask_b32_e32 v162, 0, v8, vcc_lo
.LBB6_10755:                            ;   in Loop: Header=BB6_10651 Depth=3
	s_or_b32 exec_lo, exec_lo, s35
.LBB6_10756:                            ;   in Loop: Header=BB6_10651 Depth=3
	s_delay_alu instid0(SALU_CYCLE_1) | instskip(SKIP_3) | instid1(VALU_DEP_1)
	s_or_b32 exec_lo, exec_lo, s34
	v_and_b32_e32 v9, 0xff, v10
	s_mov_b32 s14, 0
	s_mov_b32 s35, exec_lo
                                        ; implicit-def: $sgpr34
	v_cmpx_lt_i16_e32 0x7f, v9
	s_xor_b32 s35, exec_lo, s35
	s_cbranch_execnz .LBB6_11143
; %bb.10757:                            ;   in Loop: Header=BB6_10651 Depth=3
	s_or_saveexec_b32 s35, s35
	v_mov_b32_e32 v8, s34
	s_xor_b32 exec_lo, exec_lo, s35
	s_cbranch_execnz .LBB6_11146
.LBB6_10758:                            ;   in Loop: Header=BB6_10651 Depth=3
	s_or_b32 exec_lo, exec_lo, s35
	s_and_saveexec_b32 s34, s14
	s_cbranch_execz .LBB6_10760
.LBB6_10759:                            ;   in Loop: Header=BB6_10651 Depth=3
	v_bfe_u32 v27, v10, 2, 5
	v_lshlrev_b32_e32 v36, 24, v10
	s_delay_alu instid0(VALU_DEP_2) | instskip(SKIP_1) | instid1(VALU_DEP_1)
	v_cmp_eq_u32_e32 vcc_lo, 0, v27
	v_and_b32_e32 v8, 3, v10
	v_clz_i32_u32_e32 v9, v8
	s_delay_alu instid0(VALU_DEP_1) | instskip(NEXT) | instid1(VALU_DEP_1)
	v_min_u32_e32 v9, 32, v9
	v_subrev_nc_u32_e32 v26, 29, v9
	v_sub_nc_u32_e32 v9, 30, v9
	s_delay_alu instid0(VALU_DEP_1) | instskip(NEXT) | instid1(VALU_DEP_1)
	v_dual_cndmask_b32 v9, v27, v9 :: v_dual_lshlrev_b32 v26, v26, v10
	v_and_b32_e32 v26, 3, v26
	s_delay_alu instid0(VALU_DEP_2) | instskip(NEXT) | instid1(VALU_DEP_2)
	v_lshl_add_u32 v9, v9, 23, 0x37800000
	v_cndmask_b32_e32 v8, v8, v26, vcc_lo
	v_and_b32_e32 v26, 0x80000000, v36
	s_delay_alu instid0(VALU_DEP_2) | instskip(NEXT) | instid1(VALU_DEP_1)
	v_lshlrev_b32_e32 v8, 21, v8
	v_or3_b32 v8, v26, v9, v8
.LBB6_10760:                            ;   in Loop: Header=BB6_10651 Depth=3
	s_or_b32 exec_lo, exec_lo, s34
	s_delay_alu instid0(VALU_DEP_1) | instskip(SKIP_2) | instid1(VALU_DEP_2)
	v_mul_f32_e32 v8, s15, v8
	v_mov_b32_e32 v144, 0x80
	s_mov_b32 s34, exec_lo
	v_and_b32_e32 v9, 0x7f800000, v8
	s_delay_alu instid0(VALU_DEP_1)
	v_cmpx_ne_u32_e32 0x7f800000, v9
	s_cbranch_execz .LBB6_10768
; %bb.10761:                            ;   in Loop: Header=BB6_10651 Depth=3
	v_mov_b32_e32 v144, 0
	s_mov_b32 s35, exec_lo
	v_cmpx_ne_u32_e32 0, v8
	s_cbranch_execz .LBB6_10767
; %bb.10762:                            ;   in Loop: Header=BB6_10651 Depth=3
	v_bfe_u32 v9, v8, 23, 8
	s_delay_alu instid0(VALU_DEP_1) | instskip(SKIP_1) | instid1(VALU_DEP_2)
	v_sub_nc_u32_e32 v27, 0x70, v9
	v_cmp_gt_u32_e32 vcc_lo, 0x71, v9
	v_dual_cndmask_b32 v27, 0, v27 :: v_dual_and_b32 v26, 0x7fffff, v8
	s_delay_alu instid0(VALU_DEP_1) | instskip(SKIP_2) | instid1(VALU_DEP_4)
	v_or_b32_e32 v36, 0x800000, v26
	v_cmp_eq_u32_e32 vcc_lo, 0, v9
	v_add_nc_u32_e32 v9, 0xffffff91, v9
	v_cndmask_b32_e64 v27, v27, 0x6f, vcc_lo
	s_delay_alu instid0(VALU_DEP_4) | instskip(NEXT) | instid1(VALU_DEP_3)
	v_cndmask_b32_e32 v26, v36, v26, vcc_lo
	v_cndmask_b32_e64 v9, v9, 0xffffff92, vcc_lo
	s_delay_alu instid0(VALU_DEP_3) | instskip(NEXT) | instid1(VALU_DEP_3)
	v_lshl_add_u32 v36, 0x200000, v27, -1
	v_lshrrev_b32_e32 v37, v27, v26
	v_lshlrev_b32_e64 v39, v27, 0x100000
	s_delay_alu instid0(VALU_DEP_4) | instskip(NEXT) | instid1(VALU_DEP_4)
	v_add_nc_u32_e32 v27, v27, v9
	v_and_b32_e32 v26, v36, v26
	s_delay_alu instid0(VALU_DEP_4) | instskip(NEXT) | instid1(VALU_DEP_2)
	v_bfe_u32 v38, v37, 21, 1
	v_cmp_eq_u32_e64 s14, v26, v39
	s_delay_alu instid0(VALU_DEP_2) | instskip(NEXT) | instid1(VALU_DEP_1)
	v_add_nc_u32_e32 v36, -1, v38
	v_cndmask_b32_e64 v26, 0, v36, s14
	v_lshrrev_b32_e32 v36, 23, v37
	s_mov_b32 s14, exec_lo
	s_delay_alu instid0(VALU_DEP_2) | instskip(NEXT) | instid1(VALU_DEP_2)
	v_add_nc_u32_e32 v26, v26, v37
	v_xor_b32_e32 v36, 1, v36
	s_delay_alu instid0(VALU_DEP_2) | instskip(NEXT) | instid1(VALU_DEP_1)
	v_and_b32_e32 v9, 0x1fffff, v26
	v_add_nc_u32_e32 v26, v9, v37
                                        ; implicit-def: $vgpr9
	s_delay_alu instid0(VALU_DEP_3)
	v_cmpx_ne_u32_e64 v27, v36
	s_xor_b32 s14, exec_lo, s14
; %bb.10763:                            ;   in Loop: Header=BB6_10651 Depth=3
	s_delay_alu instid0(VALU_DEP_2) | instskip(SKIP_2) | instid1(VALU_DEP_2)
	v_cmp_lt_u32_e32 vcc_lo, 0xffffff, v26
	v_sub_nc_u32_e32 v9, v27, v36
	v_cndmask_b32_e64 v27, 0, 1, vcc_lo
	v_add_co_ci_u32_e32 v9, vcc_lo, 0, v9, vcc_lo
	s_delay_alu instid0(VALU_DEP_2)
	v_lshrrev_b32_e32 v26, v27, v26
; %bb.10764:                            ;   in Loop: Header=BB6_10651 Depth=3
	s_and_not1_saveexec_b32 s14, s14
; %bb.10765:                            ;   in Loop: Header=BB6_10651 Depth=3
	s_delay_alu instid0(VALU_DEP_1)
	v_bfe_u32 v9, v26, 23, 1
; %bb.10766:                            ;   in Loop: Header=BB6_10651 Depth=3
	s_or_b32 exec_lo, exec_lo, s14
	v_lshrrev_b32_e32 v26, 21, v26
	s_delay_alu instid0(VALU_DEP_2) | instskip(SKIP_2) | instid1(VALU_DEP_4)
	v_cmp_gt_i32_e32 vcc_lo, 32, v9
	v_lshrrev_b32_e32 v8, 24, v8
	v_min_i32_e32 v27, 31, v9
	v_cndmask_b32_e32 v26, 3, v26, vcc_lo
	s_delay_alu instid0(VALU_DEP_3) | instskip(NEXT) | instid1(VALU_DEP_3)
	v_and_b32_e32 v8, 0x80, v8
	v_lshlrev_b32_e32 v27, 2, v27
	s_delay_alu instid0(VALU_DEP_3) | instskip(SKIP_1) | instid1(VALU_DEP_2)
	v_and_b32_e32 v36, 3, v26
	v_or_b32_e32 v9, v9, v26
	v_or3_b32 v8, v27, v8, v36
	s_delay_alu instid0(VALU_DEP_2) | instskip(NEXT) | instid1(VALU_DEP_2)
	v_cmp_ne_u32_e32 vcc_lo, 0, v9
	v_cndmask_b32_e32 v144, 0, v8, vcc_lo
.LBB6_10767:                            ;   in Loop: Header=BB6_10651 Depth=3
	s_or_b32 exec_lo, exec_lo, s35
.LBB6_10768:                            ;   in Loop: Header=BB6_10651 Depth=3
	s_delay_alu instid0(SALU_CYCLE_1) | instskip(SKIP_3) | instid1(VALU_DEP_1)
	s_or_b32 exec_lo, exec_lo, s34
	v_lshrrev_b16 v8, 8, v10
	s_mov_b32 s14, 0
	s_mov_b32 s35, exec_lo
                                        ; implicit-def: $sgpr34
	v_cmpx_lt_i16_e32 0x7f, v8
	s_xor_b32 s35, exec_lo, s35
	s_cbranch_execnz .LBB6_11147
; %bb.10769:                            ;   in Loop: Header=BB6_10651 Depth=3
	s_or_saveexec_b32 s35, s35
	v_mov_b32_e32 v9, s34
	s_xor_b32 exec_lo, exec_lo, s35
	s_cbranch_execnz .LBB6_11150
.LBB6_10770:                            ;   in Loop: Header=BB6_10651 Depth=3
	s_or_b32 exec_lo, exec_lo, s35
	s_and_saveexec_b32 s34, s14
	s_cbranch_execz .LBB6_10772
.LBB6_10771:                            ;   in Loop: Header=BB6_10651 Depth=3
	v_and_b32_e32 v9, 0xffff, v8
	v_lshlrev_b32_e32 v8, 24, v8
	s_delay_alu instid0(VALU_DEP_2) | instskip(NEXT) | instid1(VALU_DEP_2)
	v_and_b32_e32 v26, 3, v9
	v_and_b32_e32 v8, 0x80000000, v8
	s_delay_alu instid0(VALU_DEP_2) | instskip(NEXT) | instid1(VALU_DEP_1)
	v_clz_i32_u32_e32 v27, v26
	v_min_u32_e32 v27, 32, v27
	s_delay_alu instid0(VALU_DEP_1) | instskip(SKIP_1) | instid1(VALU_DEP_2)
	v_subrev_nc_u32_e32 v36, 29, v27
	v_sub_nc_u32_e32 v27, 30, v27
	v_lshlrev_b32_e32 v36, v36, v9
	v_bfe_u32 v9, v9, 2, 5
	s_delay_alu instid0(VALU_DEP_2) | instskip(NEXT) | instid1(VALU_DEP_2)
	v_and_b32_e32 v36, 3, v36
	v_cmp_eq_u32_e32 vcc_lo, 0, v9
	s_delay_alu instid0(VALU_DEP_2) | instskip(NEXT) | instid1(VALU_DEP_1)
	v_dual_cndmask_b32 v9, v9, v27 :: v_dual_cndmask_b32 v26, v26, v36
	v_lshl_add_u32 v9, v9, 23, 0x37800000
	s_delay_alu instid0(VALU_DEP_2) | instskip(NEXT) | instid1(VALU_DEP_1)
	v_lshlrev_b32_e32 v26, 21, v26
	v_or3_b32 v9, v8, v9, v26
.LBB6_10772:                            ;   in Loop: Header=BB6_10651 Depth=3
	s_or_b32 exec_lo, exec_lo, s34
	s_delay_alu instid0(VALU_DEP_1) | instskip(SKIP_1) | instid1(VALU_DEP_1)
	v_dual_mul_f32 v8, s15, v9 :: v_dual_mov_b32 v103, 0x80
	s_mov_b32 s34, exec_lo
	v_and_b32_e32 v9, 0x7f800000, v8
	s_delay_alu instid0(VALU_DEP_1)
	v_cmpx_ne_u32_e32 0x7f800000, v9
	s_cbranch_execz .LBB6_10780
; %bb.10773:                            ;   in Loop: Header=BB6_10651 Depth=3
	v_mov_b32_e32 v103, 0
	s_mov_b32 s35, exec_lo
	v_cmpx_ne_u32_e32 0, v8
	s_cbranch_execz .LBB6_10779
; %bb.10774:                            ;   in Loop: Header=BB6_10651 Depth=3
	v_bfe_u32 v9, v8, 23, 8
	s_delay_alu instid0(VALU_DEP_1) | instskip(SKIP_1) | instid1(VALU_DEP_2)
	v_sub_nc_u32_e32 v27, 0x70, v9
	v_cmp_gt_u32_e32 vcc_lo, 0x71, v9
	v_dual_cndmask_b32 v27, 0, v27 :: v_dual_and_b32 v26, 0x7fffff, v8
	s_delay_alu instid0(VALU_DEP_1) | instskip(SKIP_2) | instid1(VALU_DEP_4)
	v_or_b32_e32 v36, 0x800000, v26
	v_cmp_eq_u32_e32 vcc_lo, 0, v9
	v_add_nc_u32_e32 v9, 0xffffff91, v9
	v_cndmask_b32_e64 v27, v27, 0x6f, vcc_lo
	s_delay_alu instid0(VALU_DEP_4) | instskip(NEXT) | instid1(VALU_DEP_3)
	v_cndmask_b32_e32 v26, v36, v26, vcc_lo
	v_cndmask_b32_e64 v9, v9, 0xffffff92, vcc_lo
	s_delay_alu instid0(VALU_DEP_3) | instskip(NEXT) | instid1(VALU_DEP_3)
	v_lshl_add_u32 v36, 0x200000, v27, -1
	v_lshrrev_b32_e32 v37, v27, v26
	v_lshlrev_b32_e64 v39, v27, 0x100000
	s_delay_alu instid0(VALU_DEP_4) | instskip(NEXT) | instid1(VALU_DEP_4)
	v_add_nc_u32_e32 v27, v27, v9
	v_and_b32_e32 v26, v36, v26
	s_delay_alu instid0(VALU_DEP_4) | instskip(NEXT) | instid1(VALU_DEP_2)
	v_bfe_u32 v38, v37, 21, 1
	v_cmp_eq_u32_e64 s14, v26, v39
	s_delay_alu instid0(VALU_DEP_2) | instskip(NEXT) | instid1(VALU_DEP_1)
	v_add_nc_u32_e32 v36, -1, v38
	v_cndmask_b32_e64 v26, 0, v36, s14
	v_lshrrev_b32_e32 v36, 23, v37
	s_mov_b32 s14, exec_lo
	s_delay_alu instid0(VALU_DEP_2) | instskip(NEXT) | instid1(VALU_DEP_2)
	v_add_nc_u32_e32 v26, v26, v37
	v_xor_b32_e32 v36, 1, v36
	s_delay_alu instid0(VALU_DEP_2) | instskip(NEXT) | instid1(VALU_DEP_1)
	v_and_b32_e32 v9, 0x1fffff, v26
	v_add_nc_u32_e32 v26, v9, v37
                                        ; implicit-def: $vgpr9
	s_delay_alu instid0(VALU_DEP_3)
	v_cmpx_ne_u32_e64 v27, v36
	s_xor_b32 s14, exec_lo, s14
; %bb.10775:                            ;   in Loop: Header=BB6_10651 Depth=3
	s_delay_alu instid0(VALU_DEP_2) | instskip(SKIP_2) | instid1(VALU_DEP_2)
	v_cmp_lt_u32_e32 vcc_lo, 0xffffff, v26
	v_sub_nc_u32_e32 v9, v27, v36
	v_cndmask_b32_e64 v27, 0, 1, vcc_lo
	v_add_co_ci_u32_e32 v9, vcc_lo, 0, v9, vcc_lo
	s_delay_alu instid0(VALU_DEP_2)
	v_lshrrev_b32_e32 v26, v27, v26
; %bb.10776:                            ;   in Loop: Header=BB6_10651 Depth=3
	s_and_not1_saveexec_b32 s14, s14
; %bb.10777:                            ;   in Loop: Header=BB6_10651 Depth=3
	s_delay_alu instid0(VALU_DEP_1)
	v_bfe_u32 v9, v26, 23, 1
; %bb.10778:                            ;   in Loop: Header=BB6_10651 Depth=3
	s_or_b32 exec_lo, exec_lo, s14
	v_lshrrev_b32_e32 v26, 21, v26
	s_delay_alu instid0(VALU_DEP_2) | instskip(SKIP_2) | instid1(VALU_DEP_2)
	v_cmp_gt_i32_e32 vcc_lo, 32, v9
	v_min_i32_e32 v27, 31, v9
	v_lshrrev_b32_e32 v8, 24, v8
	v_dual_cndmask_b32 v26, 3, v26 :: v_dual_lshlrev_b32 v27, 2, v27
	s_delay_alu instid0(VALU_DEP_2) | instskip(NEXT) | instid1(VALU_DEP_2)
	v_and_b32_e32 v8, 0x80, v8
	v_or_b32_e32 v9, v9, v26
	s_delay_alu instid0(VALU_DEP_1) | instskip(SKIP_1) | instid1(VALU_DEP_1)
	v_cmp_ne_u32_e32 vcc_lo, 0, v9
	v_and_b32_e32 v36, 3, v26
	v_or3_b32 v8, v27, v8, v36
	s_delay_alu instid0(VALU_DEP_1)
	v_cndmask_b32_e32 v103, 0, v8, vcc_lo
.LBB6_10779:                            ;   in Loop: Header=BB6_10651 Depth=3
	s_or_b32 exec_lo, exec_lo, s35
.LBB6_10780:                            ;   in Loop: Header=BB6_10651 Depth=3
	s_delay_alu instid0(SALU_CYCLE_1) | instskip(SKIP_3) | instid1(VALU_DEP_1)
	s_or_b32 exec_lo, exec_lo, s34
	v_lshrrev_b32_e32 v8, 16, v10
	s_mov_b32 s14, 0
	s_mov_b32 s35, exec_lo
                                        ; implicit-def: $sgpr34
	v_and_b32_e32 v26, 0xff, v8
	s_delay_alu instid0(VALU_DEP_1)
	v_cmpx_lt_i16_e32 0x7f, v26
	s_xor_b32 s35, exec_lo, s35
	s_cbranch_execnz .LBB6_11151
; %bb.10781:                            ;   in Loop: Header=BB6_10651 Depth=3
	s_or_saveexec_b32 s35, s35
	v_mov_b32_e32 v9, s34
	s_xor_b32 exec_lo, exec_lo, s35
	s_cbranch_execnz .LBB6_11154
.LBB6_10782:                            ;   in Loop: Header=BB6_10651 Depth=3
	s_or_b32 exec_lo, exec_lo, s35
	s_and_saveexec_b32 s34, s14
	s_cbranch_execz .LBB6_10784
.LBB6_10783:                            ;   in Loop: Header=BB6_10651 Depth=3
	v_bfe_u32 v9, v10, 16, 2
	v_lshlrev_b32_e32 v36, 8, v10
	s_delay_alu instid0(VALU_DEP_2) | instskip(NEXT) | instid1(VALU_DEP_1)
	v_clz_i32_u32_e32 v26, v9
	v_min_u32_e32 v26, 32, v26
	s_delay_alu instid0(VALU_DEP_1) | instskip(SKIP_1) | instid1(VALU_DEP_2)
	v_subrev_nc_u32_e32 v27, 29, v26
	v_sub_nc_u32_e32 v26, 30, v26
	v_lshlrev_b32_e32 v8, v27, v8
	v_bfe_u32 v27, v10, 18, 5
	s_delay_alu instid0(VALU_DEP_2) | instskip(NEXT) | instid1(VALU_DEP_2)
	v_and_b32_e32 v8, 3, v8
	v_cmp_eq_u32_e32 vcc_lo, 0, v27
	v_cndmask_b32_e32 v26, v27, v26, vcc_lo
	s_delay_alu instid0(VALU_DEP_3) | instskip(SKIP_1) | instid1(VALU_DEP_3)
	v_cndmask_b32_e32 v8, v9, v8, vcc_lo
	v_and_b32_e32 v9, 0x80000000, v36
	v_lshl_add_u32 v26, v26, 23, 0x37800000
	s_delay_alu instid0(VALU_DEP_3) | instskip(NEXT) | instid1(VALU_DEP_1)
	v_lshlrev_b32_e32 v8, 21, v8
	v_or3_b32 v9, v9, v26, v8
.LBB6_10784:                            ;   in Loop: Header=BB6_10651 Depth=3
	s_or_b32 exec_lo, exec_lo, s34
	s_delay_alu instid0(VALU_DEP_1) | instskip(SKIP_2) | instid1(VALU_DEP_2)
	v_mul_f32_e32 v8, s15, v9
	v_mov_b32_e32 v96, 0x80
	s_mov_b32 s34, exec_lo
	v_and_b32_e32 v9, 0x7f800000, v8
	s_delay_alu instid0(VALU_DEP_1)
	v_cmpx_ne_u32_e32 0x7f800000, v9
	s_cbranch_execz .LBB6_10792
; %bb.10785:                            ;   in Loop: Header=BB6_10651 Depth=3
	v_mov_b32_e32 v96, 0
	s_mov_b32 s35, exec_lo
	v_cmpx_ne_u32_e32 0, v8
	s_cbranch_execz .LBB6_10791
; %bb.10786:                            ;   in Loop: Header=BB6_10651 Depth=3
	v_bfe_u32 v9, v8, 23, 8
	s_delay_alu instid0(VALU_DEP_1) | instskip(SKIP_1) | instid1(VALU_DEP_2)
	v_sub_nc_u32_e32 v27, 0x70, v9
	v_cmp_gt_u32_e32 vcc_lo, 0x71, v9
	v_dual_cndmask_b32 v27, 0, v27 :: v_dual_and_b32 v26, 0x7fffff, v8
	s_delay_alu instid0(VALU_DEP_1) | instskip(SKIP_2) | instid1(VALU_DEP_4)
	v_or_b32_e32 v36, 0x800000, v26
	v_cmp_eq_u32_e32 vcc_lo, 0, v9
	v_add_nc_u32_e32 v9, 0xffffff91, v9
	v_cndmask_b32_e64 v27, v27, 0x6f, vcc_lo
	s_delay_alu instid0(VALU_DEP_4) | instskip(NEXT) | instid1(VALU_DEP_3)
	v_cndmask_b32_e32 v26, v36, v26, vcc_lo
	v_cndmask_b32_e64 v9, v9, 0xffffff92, vcc_lo
	s_delay_alu instid0(VALU_DEP_3) | instskip(NEXT) | instid1(VALU_DEP_3)
	v_lshl_add_u32 v36, 0x200000, v27, -1
	v_lshrrev_b32_e32 v37, v27, v26
	v_lshlrev_b32_e64 v39, v27, 0x100000
	s_delay_alu instid0(VALU_DEP_4) | instskip(NEXT) | instid1(VALU_DEP_4)
	v_add_nc_u32_e32 v27, v27, v9
	v_and_b32_e32 v26, v36, v26
	s_delay_alu instid0(VALU_DEP_4) | instskip(NEXT) | instid1(VALU_DEP_2)
	v_bfe_u32 v38, v37, 21, 1
	v_cmp_eq_u32_e64 s14, v26, v39
	s_delay_alu instid0(VALU_DEP_2) | instskip(NEXT) | instid1(VALU_DEP_1)
	v_add_nc_u32_e32 v36, -1, v38
	v_cndmask_b32_e64 v26, 0, v36, s14
	v_lshrrev_b32_e32 v36, 23, v37
	s_mov_b32 s14, exec_lo
	s_delay_alu instid0(VALU_DEP_2) | instskip(NEXT) | instid1(VALU_DEP_2)
	v_add_nc_u32_e32 v26, v26, v37
	v_xor_b32_e32 v36, 1, v36
	s_delay_alu instid0(VALU_DEP_2) | instskip(NEXT) | instid1(VALU_DEP_1)
	v_and_b32_e32 v9, 0x1fffff, v26
	v_add_nc_u32_e32 v26, v9, v37
                                        ; implicit-def: $vgpr9
	s_delay_alu instid0(VALU_DEP_3)
	v_cmpx_ne_u32_e64 v27, v36
	s_xor_b32 s14, exec_lo, s14
; %bb.10787:                            ;   in Loop: Header=BB6_10651 Depth=3
	s_delay_alu instid0(VALU_DEP_2) | instskip(SKIP_2) | instid1(VALU_DEP_2)
	v_cmp_lt_u32_e32 vcc_lo, 0xffffff, v26
	v_sub_nc_u32_e32 v9, v27, v36
	v_cndmask_b32_e64 v27, 0, 1, vcc_lo
	v_add_co_ci_u32_e32 v9, vcc_lo, 0, v9, vcc_lo
	s_delay_alu instid0(VALU_DEP_2)
	v_lshrrev_b32_e32 v26, v27, v26
; %bb.10788:                            ;   in Loop: Header=BB6_10651 Depth=3
	s_and_not1_saveexec_b32 s14, s14
; %bb.10789:                            ;   in Loop: Header=BB6_10651 Depth=3
	s_delay_alu instid0(VALU_DEP_1)
	v_bfe_u32 v9, v26, 23, 1
; %bb.10790:                            ;   in Loop: Header=BB6_10651 Depth=3
	s_or_b32 exec_lo, exec_lo, s14
	v_lshrrev_b32_e32 v26, 21, v26
	s_delay_alu instid0(VALU_DEP_2) | instskip(SKIP_2) | instid1(VALU_DEP_4)
	v_cmp_gt_i32_e32 vcc_lo, 32, v9
	v_lshrrev_b32_e32 v8, 24, v8
	v_min_i32_e32 v27, 31, v9
	v_cndmask_b32_e32 v26, 3, v26, vcc_lo
	s_delay_alu instid0(VALU_DEP_3) | instskip(NEXT) | instid1(VALU_DEP_3)
	v_and_b32_e32 v8, 0x80, v8
	v_lshlrev_b32_e32 v27, 2, v27
	s_delay_alu instid0(VALU_DEP_3) | instskip(SKIP_1) | instid1(VALU_DEP_2)
	v_and_b32_e32 v36, 3, v26
	v_or_b32_e32 v9, v9, v26
	v_or3_b32 v8, v27, v8, v36
	s_delay_alu instid0(VALU_DEP_2) | instskip(NEXT) | instid1(VALU_DEP_2)
	v_cmp_ne_u32_e32 vcc_lo, 0, v9
	v_cndmask_b32_e32 v96, 0, v8, vcc_lo
.LBB6_10791:                            ;   in Loop: Header=BB6_10651 Depth=3
	s_or_b32 exec_lo, exec_lo, s35
.LBB6_10792:                            ;   in Loop: Header=BB6_10651 Depth=3
	s_delay_alu instid0(SALU_CYCLE_1) | instskip(SKIP_3) | instid1(VALU_DEP_1)
	s_or_b32 exec_lo, exec_lo, s34
	v_lshrrev_b32_e32 v8, 24, v10
	s_mov_b32 s14, 0
	s_mov_b32 s35, exec_lo
                                        ; implicit-def: $sgpr34
	v_cmpx_lt_i16_e32 0x7f, v8
	s_xor_b32 s35, exec_lo, s35
	s_cbranch_execnz .LBB6_11155
; %bb.10793:                            ;   in Loop: Header=BB6_10651 Depth=3
	s_or_saveexec_b32 s35, s35
	v_mov_b32_e32 v9, s34
	s_xor_b32 exec_lo, exec_lo, s35
	s_cbranch_execnz .LBB6_11158
.LBB6_10794:                            ;   in Loop: Header=BB6_10651 Depth=3
	s_or_b32 exec_lo, exec_lo, s35
	s_and_saveexec_b32 s34, s14
	s_cbranch_execz .LBB6_10796
.LBB6_10795:                            ;   in Loop: Header=BB6_10651 Depth=3
	v_bfe_u32 v9, v10, 24, 2
	s_delay_alu instid0(VALU_DEP_1) | instskip(NEXT) | instid1(VALU_DEP_1)
	v_clz_i32_u32_e32 v26, v9
	v_min_u32_e32 v26, 32, v26
	s_delay_alu instid0(VALU_DEP_1) | instskip(SKIP_1) | instid1(VALU_DEP_2)
	v_subrev_nc_u32_e32 v27, 29, v26
	v_sub_nc_u32_e32 v26, 30, v26
	v_lshlrev_b32_e32 v8, v27, v8
	v_bfe_u32 v27, v10, 26, 5
	s_delay_alu instid0(VALU_DEP_2) | instskip(NEXT) | instid1(VALU_DEP_2)
	v_and_b32_e32 v8, 3, v8
	v_cmp_eq_u32_e32 vcc_lo, 0, v27
	v_cndmask_b32_e32 v26, v27, v26, vcc_lo
	s_delay_alu instid0(VALU_DEP_3) | instskip(NEXT) | instid1(VALU_DEP_2)
	v_dual_cndmask_b32 v8, v9, v8 :: v_dual_and_b32 v9, 0x80000000, v10
	v_lshl_add_u32 v10, v26, 23, 0x37800000
	s_delay_alu instid0(VALU_DEP_2) | instskip(NEXT) | instid1(VALU_DEP_1)
	v_lshlrev_b32_e32 v8, 21, v8
	v_or3_b32 v9, v9, v10, v8
.LBB6_10796:                            ;   in Loop: Header=BB6_10651 Depth=3
	s_or_b32 exec_lo, exec_lo, s34
	s_delay_alu instid0(VALU_DEP_1) | instskip(SKIP_1) | instid1(VALU_DEP_1)
	v_dual_mul_f32 v8, s15, v9 :: v_dual_mov_b32 v83, 0x80
	s_mov_b32 s34, exec_lo
	v_and_b32_e32 v9, 0x7f800000, v8
	s_delay_alu instid0(VALU_DEP_1)
	v_cmpx_ne_u32_e32 0x7f800000, v9
	s_cbranch_execz .LBB6_10804
; %bb.10797:                            ;   in Loop: Header=BB6_10651 Depth=3
	v_mov_b32_e32 v83, 0
	s_mov_b32 s35, exec_lo
	v_cmpx_ne_u32_e32 0, v8
	s_cbranch_execz .LBB6_10803
; %bb.10798:                            ;   in Loop: Header=BB6_10651 Depth=3
	v_bfe_u32 v9, v8, 23, 8
	v_and_b32_e32 v10, 0x7fffff, v8
	s_delay_alu instid0(VALU_DEP_2) | instskip(SKIP_1) | instid1(VALU_DEP_3)
	v_sub_nc_u32_e32 v26, 0x70, v9
	v_cmp_gt_u32_e32 vcc_lo, 0x71, v9
	v_or_b32_e32 v27, 0x800000, v10
	s_delay_alu instid0(VALU_DEP_3) | instskip(SKIP_2) | instid1(VALU_DEP_3)
	v_cndmask_b32_e32 v26, 0, v26, vcc_lo
	v_cmp_eq_u32_e32 vcc_lo, 0, v9
	v_add_nc_u32_e32 v9, 0xffffff91, v9
	v_cndmask_b32_e64 v26, v26, 0x6f, vcc_lo
	v_cndmask_b32_e32 v10, v27, v10, vcc_lo
	s_delay_alu instid0(VALU_DEP_3) | instskip(NEXT) | instid1(VALU_DEP_3)
	v_cndmask_b32_e64 v9, v9, 0xffffff92, vcc_lo
	v_lshl_add_u32 v27, 0x200000, v26, -1
	s_delay_alu instid0(VALU_DEP_3) | instskip(SKIP_1) | instid1(VALU_DEP_4)
	v_lshrrev_b32_e32 v36, v26, v10
	v_lshlrev_b32_e64 v38, v26, 0x100000
	v_add_nc_u32_e32 v26, v26, v9
	s_delay_alu instid0(VALU_DEP_4) | instskip(NEXT) | instid1(VALU_DEP_4)
	v_and_b32_e32 v10, v27, v10
	v_bfe_u32 v37, v36, 21, 1
	s_delay_alu instid0(VALU_DEP_2) | instskip(NEXT) | instid1(VALU_DEP_2)
	v_cmp_eq_u32_e64 s14, v10, v38
	v_add_nc_u32_e32 v27, -1, v37
	s_delay_alu instid0(VALU_DEP_1) | instskip(SKIP_2) | instid1(VALU_DEP_2)
	v_cndmask_b32_e64 v10, 0, v27, s14
	v_lshrrev_b32_e32 v27, 23, v36
	s_mov_b32 s14, exec_lo
	v_add_nc_u32_e32 v10, v10, v36
	s_delay_alu instid0(VALU_DEP_2) | instskip(NEXT) | instid1(VALU_DEP_2)
	v_xor_b32_e32 v27, 1, v27
	v_and_b32_e32 v9, 0x1fffff, v10
	s_delay_alu instid0(VALU_DEP_1) | instskip(NEXT) | instid1(VALU_DEP_3)
	v_add_nc_u32_e32 v10, v9, v36
                                        ; implicit-def: $vgpr9
	v_cmpx_ne_u32_e64 v26, v27
	s_xor_b32 s14, exec_lo, s14
; %bb.10799:                            ;   in Loop: Header=BB6_10651 Depth=3
	s_delay_alu instid0(VALU_DEP_2) | instskip(SKIP_2) | instid1(VALU_DEP_2)
	v_cmp_lt_u32_e32 vcc_lo, 0xffffff, v10
	v_sub_nc_u32_e32 v9, v26, v27
	v_cndmask_b32_e64 v26, 0, 1, vcc_lo
	v_add_co_ci_u32_e32 v9, vcc_lo, 0, v9, vcc_lo
	s_delay_alu instid0(VALU_DEP_2)
	v_lshrrev_b32_e32 v10, v26, v10
; %bb.10800:                            ;   in Loop: Header=BB6_10651 Depth=3
	s_and_not1_saveexec_b32 s14, s14
; %bb.10801:                            ;   in Loop: Header=BB6_10651 Depth=3
	s_delay_alu instid0(VALU_DEP_1)
	v_bfe_u32 v9, v10, 23, 1
; %bb.10802:                            ;   in Loop: Header=BB6_10651 Depth=3
	s_or_b32 exec_lo, exec_lo, s14
	v_lshrrev_b32_e32 v10, 21, v10
	s_delay_alu instid0(VALU_DEP_2) | instskip(SKIP_2) | instid1(VALU_DEP_4)
	v_cmp_gt_i32_e32 vcc_lo, 32, v9
	v_lshrrev_b32_e32 v8, 24, v8
	v_min_i32_e32 v26, 31, v9
	v_cndmask_b32_e32 v10, 3, v10, vcc_lo
	s_delay_alu instid0(VALU_DEP_3) | instskip(NEXT) | instid1(VALU_DEP_3)
	v_and_b32_e32 v8, 0x80, v8
	v_lshlrev_b32_e32 v26, 2, v26
	s_delay_alu instid0(VALU_DEP_3) | instskip(SKIP_1) | instid1(VALU_DEP_2)
	v_and_b32_e32 v27, 3, v10
	v_or_b32_e32 v9, v9, v10
	v_or3_b32 v8, v26, v8, v27
	s_delay_alu instid0(VALU_DEP_2) | instskip(NEXT) | instid1(VALU_DEP_2)
	v_cmp_ne_u32_e32 vcc_lo, 0, v9
	v_cndmask_b32_e32 v83, 0, v8, vcc_lo
.LBB6_10803:                            ;   in Loop: Header=BB6_10651 Depth=3
	s_or_b32 exec_lo, exec_lo, s35
.LBB6_10804:                            ;   in Loop: Header=BB6_10651 Depth=3
	s_delay_alu instid0(SALU_CYCLE_1) | instskip(SKIP_3) | instid1(VALU_DEP_1)
	s_or_b32 exec_lo, exec_lo, s34
	v_and_b32_e32 v9, 0xff, v11
	s_mov_b32 s14, 0
	s_mov_b32 s35, exec_lo
                                        ; implicit-def: $sgpr34
	v_cmpx_lt_i16_e32 0x7f, v9
	s_xor_b32 s35, exec_lo, s35
	s_cbranch_execnz .LBB6_11159
; %bb.10805:                            ;   in Loop: Header=BB6_10651 Depth=3
	s_or_saveexec_b32 s35, s35
	v_mov_b32_e32 v8, s34
	s_xor_b32 exec_lo, exec_lo, s35
	s_cbranch_execnz .LBB6_11162
.LBB6_10806:                            ;   in Loop: Header=BB6_10651 Depth=3
	s_or_b32 exec_lo, exec_lo, s35
	s_and_saveexec_b32 s34, s14
	s_cbranch_execz .LBB6_10808
.LBB6_10807:                            ;   in Loop: Header=BB6_10651 Depth=3
	v_bfe_u32 v26, v11, 2, 5
	s_delay_alu instid0(VALU_DEP_1) | instskip(SKIP_1) | instid1(VALU_DEP_1)
	v_cmp_eq_u32_e32 vcc_lo, 0, v26
	v_and_b32_e32 v8, 3, v11
	v_clz_i32_u32_e32 v9, v8
	s_delay_alu instid0(VALU_DEP_1) | instskip(NEXT) | instid1(VALU_DEP_1)
	v_min_u32_e32 v9, 32, v9
	v_subrev_nc_u32_e32 v10, 29, v9
	v_sub_nc_u32_e32 v9, 30, v9
	s_delay_alu instid0(VALU_DEP_2) | instskip(NEXT) | instid1(VALU_DEP_1)
	v_lshlrev_b32_e32 v10, v10, v11
	v_dual_cndmask_b32 v9, v26, v9 :: v_dual_and_b32 v10, 3, v10
	v_lshlrev_b32_e32 v27, 24, v11
	s_delay_alu instid0(VALU_DEP_2) | instskip(NEXT) | instid1(VALU_DEP_3)
	v_lshl_add_u32 v9, v9, 23, 0x37800000
	v_cndmask_b32_e32 v8, v8, v10, vcc_lo
	s_delay_alu instid0(VALU_DEP_3) | instskip(NEXT) | instid1(VALU_DEP_2)
	v_and_b32_e32 v10, 0x80000000, v27
	v_lshlrev_b32_e32 v8, 21, v8
	s_delay_alu instid0(VALU_DEP_1)
	v_or3_b32 v8, v10, v9, v8
.LBB6_10808:                            ;   in Loop: Header=BB6_10651 Depth=3
	s_or_b32 exec_lo, exec_lo, s34
	s_delay_alu instid0(VALU_DEP_1) | instskip(SKIP_2) | instid1(VALU_DEP_2)
	v_mul_f32_e32 v8, s15, v8
	v_mov_b32_e32 v82, 0x80
	s_mov_b32 s34, exec_lo
	v_and_b32_e32 v9, 0x7f800000, v8
	s_delay_alu instid0(VALU_DEP_1)
	v_cmpx_ne_u32_e32 0x7f800000, v9
	s_cbranch_execz .LBB6_10816
; %bb.10809:                            ;   in Loop: Header=BB6_10651 Depth=3
	v_mov_b32_e32 v82, 0
	s_mov_b32 s35, exec_lo
	v_cmpx_ne_u32_e32 0, v8
	s_cbranch_execz .LBB6_10815
; %bb.10810:                            ;   in Loop: Header=BB6_10651 Depth=3
	v_bfe_u32 v9, v8, 23, 8
	v_and_b32_e32 v10, 0x7fffff, v8
	s_delay_alu instid0(VALU_DEP_2) | instskip(SKIP_1) | instid1(VALU_DEP_3)
	v_sub_nc_u32_e32 v26, 0x70, v9
	v_cmp_gt_u32_e32 vcc_lo, 0x71, v9
	v_or_b32_e32 v27, 0x800000, v10
	s_delay_alu instid0(VALU_DEP_3) | instskip(SKIP_2) | instid1(VALU_DEP_3)
	v_cndmask_b32_e32 v26, 0, v26, vcc_lo
	v_cmp_eq_u32_e32 vcc_lo, 0, v9
	v_add_nc_u32_e32 v9, 0xffffff91, v9
	v_cndmask_b32_e64 v26, v26, 0x6f, vcc_lo
	v_cndmask_b32_e32 v10, v27, v10, vcc_lo
	s_delay_alu instid0(VALU_DEP_3) | instskip(NEXT) | instid1(VALU_DEP_3)
	v_cndmask_b32_e64 v9, v9, 0xffffff92, vcc_lo
	v_lshl_add_u32 v27, 0x200000, v26, -1
	s_delay_alu instid0(VALU_DEP_3) | instskip(SKIP_1) | instid1(VALU_DEP_4)
	v_lshrrev_b32_e32 v36, v26, v10
	v_lshlrev_b32_e64 v38, v26, 0x100000
	v_add_nc_u32_e32 v26, v26, v9
	s_delay_alu instid0(VALU_DEP_4) | instskip(NEXT) | instid1(VALU_DEP_4)
	v_and_b32_e32 v10, v27, v10
	v_bfe_u32 v37, v36, 21, 1
	s_delay_alu instid0(VALU_DEP_2) | instskip(NEXT) | instid1(VALU_DEP_2)
	v_cmp_eq_u32_e64 s14, v10, v38
	v_add_nc_u32_e32 v27, -1, v37
	s_delay_alu instid0(VALU_DEP_1) | instskip(SKIP_2) | instid1(VALU_DEP_2)
	v_cndmask_b32_e64 v10, 0, v27, s14
	v_lshrrev_b32_e32 v27, 23, v36
	s_mov_b32 s14, exec_lo
	v_add_nc_u32_e32 v10, v10, v36
	s_delay_alu instid0(VALU_DEP_2) | instskip(NEXT) | instid1(VALU_DEP_2)
	v_xor_b32_e32 v27, 1, v27
	v_and_b32_e32 v9, 0x1fffff, v10
	s_delay_alu instid0(VALU_DEP_1) | instskip(NEXT) | instid1(VALU_DEP_3)
	v_add_nc_u32_e32 v10, v9, v36
                                        ; implicit-def: $vgpr9
	v_cmpx_ne_u32_e64 v26, v27
	s_xor_b32 s14, exec_lo, s14
; %bb.10811:                            ;   in Loop: Header=BB6_10651 Depth=3
	s_delay_alu instid0(VALU_DEP_2) | instskip(SKIP_2) | instid1(VALU_DEP_2)
	v_cmp_lt_u32_e32 vcc_lo, 0xffffff, v10
	v_sub_nc_u32_e32 v9, v26, v27
	v_cndmask_b32_e64 v26, 0, 1, vcc_lo
	v_add_co_ci_u32_e32 v9, vcc_lo, 0, v9, vcc_lo
	s_delay_alu instid0(VALU_DEP_2)
	v_lshrrev_b32_e32 v10, v26, v10
; %bb.10812:                            ;   in Loop: Header=BB6_10651 Depth=3
	s_and_not1_saveexec_b32 s14, s14
; %bb.10813:                            ;   in Loop: Header=BB6_10651 Depth=3
	s_delay_alu instid0(VALU_DEP_1)
	v_bfe_u32 v9, v10, 23, 1
; %bb.10814:                            ;   in Loop: Header=BB6_10651 Depth=3
	s_or_b32 exec_lo, exec_lo, s14
	v_lshrrev_b32_e32 v10, 21, v10
	s_delay_alu instid0(VALU_DEP_2) | instskip(SKIP_2) | instid1(VALU_DEP_4)
	v_cmp_gt_i32_e32 vcc_lo, 32, v9
	v_min_i32_e32 v26, 31, v9
	v_lshrrev_b32_e32 v8, 24, v8
	v_cndmask_b32_e32 v10, 3, v10, vcc_lo
	s_delay_alu instid0(VALU_DEP_3) | instskip(NEXT) | instid1(VALU_DEP_3)
	v_lshlrev_b32_e32 v26, 2, v26
	v_and_b32_e32 v8, 0x80, v8
	s_delay_alu instid0(VALU_DEP_3) | instskip(NEXT) | instid1(VALU_DEP_3)
	v_or_b32_e32 v9, v9, v10
	v_and_b32_e32 v26, 0xfc, v26
	s_delay_alu instid0(VALU_DEP_2) | instskip(SKIP_1) | instid1(VALU_DEP_1)
	v_cmp_ne_u32_e32 vcc_lo, 0, v9
	v_and_b32_e32 v27, 3, v10
	v_or3_b32 v8, v26, v8, v27
	s_delay_alu instid0(VALU_DEP_1)
	v_cndmask_b32_e32 v82, 0, v8, vcc_lo
.LBB6_10815:                            ;   in Loop: Header=BB6_10651 Depth=3
	s_or_b32 exec_lo, exec_lo, s35
.LBB6_10816:                            ;   in Loop: Header=BB6_10651 Depth=3
	s_delay_alu instid0(SALU_CYCLE_1) | instskip(SKIP_3) | instid1(VALU_DEP_1)
	s_or_b32 exec_lo, exec_lo, s34
	v_lshrrev_b16 v8, 8, v11
	s_mov_b32 s14, 0
	s_mov_b32 s35, exec_lo
                                        ; implicit-def: $sgpr34
	v_cmpx_lt_i16_e32 0x7f, v8
	s_xor_b32 s35, exec_lo, s35
	s_cbranch_execnz .LBB6_11163
; %bb.10817:                            ;   in Loop: Header=BB6_10651 Depth=3
	s_or_saveexec_b32 s35, s35
	v_mov_b32_e32 v9, s34
	s_xor_b32 exec_lo, exec_lo, s35
	s_cbranch_execnz .LBB6_11166
.LBB6_10818:                            ;   in Loop: Header=BB6_10651 Depth=3
	s_or_b32 exec_lo, exec_lo, s35
	s_and_saveexec_b32 s34, s14
	s_cbranch_execz .LBB6_10820
.LBB6_10819:                            ;   in Loop: Header=BB6_10651 Depth=3
	v_and_b32_e32 v9, 0xffff, v8
	v_lshlrev_b32_e32 v8, 24, v8
	s_delay_alu instid0(VALU_DEP_2) | instskip(NEXT) | instid1(VALU_DEP_2)
	v_and_b32_e32 v10, 3, v9
	v_and_b32_e32 v8, 0x80000000, v8
	s_delay_alu instid0(VALU_DEP_2) | instskip(NEXT) | instid1(VALU_DEP_1)
	v_clz_i32_u32_e32 v26, v10
	v_min_u32_e32 v26, 32, v26
	s_delay_alu instid0(VALU_DEP_1) | instskip(SKIP_1) | instid1(VALU_DEP_2)
	v_subrev_nc_u32_e32 v27, 29, v26
	v_sub_nc_u32_e32 v26, 30, v26
	v_lshlrev_b32_e32 v27, v27, v9
	v_bfe_u32 v9, v9, 2, 5
	s_delay_alu instid0(VALU_DEP_2) | instskip(NEXT) | instid1(VALU_DEP_2)
	v_and_b32_e32 v27, 3, v27
	v_cmp_eq_u32_e32 vcc_lo, 0, v9
	s_delay_alu instid0(VALU_DEP_2) | instskip(NEXT) | instid1(VALU_DEP_1)
	v_dual_cndmask_b32 v9, v9, v26 :: v_dual_cndmask_b32 v10, v10, v27
	v_lshl_add_u32 v9, v9, 23, 0x37800000
	s_delay_alu instid0(VALU_DEP_2) | instskip(NEXT) | instid1(VALU_DEP_1)
	v_lshlrev_b32_e32 v10, 21, v10
	v_or3_b32 v9, v8, v9, v10
.LBB6_10820:                            ;   in Loop: Header=BB6_10651 Depth=3
	s_or_b32 exec_lo, exec_lo, s34
	s_delay_alu instid0(VALU_DEP_1) | instskip(SKIP_1) | instid1(VALU_DEP_1)
	v_dual_mul_f32 v8, s15, v9 :: v_dual_mov_b32 v133, 0x8000
	s_mov_b32 s34, exec_lo
	v_and_b32_e32 v9, 0x7f800000, v8
	s_delay_alu instid0(VALU_DEP_1)
	v_cmpx_ne_u32_e32 0x7f800000, v9
	s_cbranch_execz .LBB6_10828
; %bb.10821:                            ;   in Loop: Header=BB6_10651 Depth=3
	v_mov_b32_e32 v133, 0
	s_mov_b32 s35, exec_lo
	v_cmpx_ne_u32_e32 0, v8
	s_cbranch_execz .LBB6_10827
; %bb.10822:                            ;   in Loop: Header=BB6_10651 Depth=3
	v_bfe_u32 v9, v8, 23, 8
	v_and_b32_e32 v10, 0x7fffff, v8
	s_delay_alu instid0(VALU_DEP_2) | instskip(SKIP_1) | instid1(VALU_DEP_3)
	v_sub_nc_u32_e32 v26, 0x70, v9
	v_cmp_gt_u32_e32 vcc_lo, 0x71, v9
	v_or_b32_e32 v27, 0x800000, v10
	s_delay_alu instid0(VALU_DEP_3) | instskip(SKIP_2) | instid1(VALU_DEP_3)
	v_cndmask_b32_e32 v26, 0, v26, vcc_lo
	v_cmp_eq_u32_e32 vcc_lo, 0, v9
	v_add_nc_u32_e32 v9, 0xffffff91, v9
	v_cndmask_b32_e64 v26, v26, 0x6f, vcc_lo
	v_cndmask_b32_e32 v10, v27, v10, vcc_lo
	s_delay_alu instid0(VALU_DEP_3) | instskip(NEXT) | instid1(VALU_DEP_3)
	v_cndmask_b32_e64 v9, v9, 0xffffff92, vcc_lo
	v_lshl_add_u32 v27, 0x200000, v26, -1
	s_delay_alu instid0(VALU_DEP_3) | instskip(SKIP_1) | instid1(VALU_DEP_4)
	v_lshrrev_b32_e32 v36, v26, v10
	v_lshlrev_b32_e64 v38, v26, 0x100000
	v_add_nc_u32_e32 v26, v26, v9
	s_delay_alu instid0(VALU_DEP_4) | instskip(NEXT) | instid1(VALU_DEP_4)
	v_and_b32_e32 v10, v27, v10
	v_bfe_u32 v37, v36, 21, 1
	s_delay_alu instid0(VALU_DEP_2) | instskip(NEXT) | instid1(VALU_DEP_2)
	v_cmp_eq_u32_e64 s14, v10, v38
	v_add_nc_u32_e32 v27, -1, v37
	s_delay_alu instid0(VALU_DEP_1) | instskip(SKIP_2) | instid1(VALU_DEP_2)
	v_cndmask_b32_e64 v10, 0, v27, s14
	v_lshrrev_b32_e32 v27, 23, v36
	s_mov_b32 s14, exec_lo
	v_add_nc_u32_e32 v10, v10, v36
	s_delay_alu instid0(VALU_DEP_2) | instskip(NEXT) | instid1(VALU_DEP_2)
	v_xor_b32_e32 v27, 1, v27
	v_and_b32_e32 v9, 0x1fffff, v10
	s_delay_alu instid0(VALU_DEP_1) | instskip(NEXT) | instid1(VALU_DEP_3)
	v_add_nc_u32_e32 v10, v9, v36
                                        ; implicit-def: $vgpr9
	v_cmpx_ne_u32_e64 v26, v27
	s_xor_b32 s14, exec_lo, s14
; %bb.10823:                            ;   in Loop: Header=BB6_10651 Depth=3
	s_delay_alu instid0(VALU_DEP_2) | instskip(SKIP_2) | instid1(VALU_DEP_2)
	v_cmp_lt_u32_e32 vcc_lo, 0xffffff, v10
	v_sub_nc_u32_e32 v9, v26, v27
	v_cndmask_b32_e64 v26, 0, 1, vcc_lo
	v_add_co_ci_u32_e32 v9, vcc_lo, 0, v9, vcc_lo
	s_delay_alu instid0(VALU_DEP_2)
	v_lshrrev_b32_e32 v10, v26, v10
; %bb.10824:                            ;   in Loop: Header=BB6_10651 Depth=3
	s_and_not1_saveexec_b32 s14, s14
; %bb.10825:                            ;   in Loop: Header=BB6_10651 Depth=3
	s_delay_alu instid0(VALU_DEP_1)
	v_bfe_u32 v9, v10, 23, 1
; %bb.10826:                            ;   in Loop: Header=BB6_10651 Depth=3
	s_or_b32 exec_lo, exec_lo, s14
	v_lshrrev_b32_e32 v10, 21, v10
	s_delay_alu instid0(VALU_DEP_2) | instskip(SKIP_2) | instid1(VALU_DEP_3)
	v_min_i32_e32 v26, 31, v9
	v_cmp_gt_i32_e32 vcc_lo, 32, v9
	v_lshrrev_b32_e32 v8, 24, v8
	v_lshlrev_b32_e32 v26, 2, v26
	v_cndmask_b32_e32 v10, 3, v10, vcc_lo
	s_delay_alu instid0(VALU_DEP_3) | instskip(NEXT) | instid1(VALU_DEP_3)
	v_and_b32_e32 v8, 0x80, v8
	v_and_b32_e32 v26, 0xfc, v26
	s_delay_alu instid0(VALU_DEP_3) | instskip(SKIP_1) | instid1(VALU_DEP_2)
	v_and_b32_e32 v27, 3, v10
	v_or_b32_e32 v9, v9, v10
	v_or3_b32 v8, v8, v26, v27
	s_delay_alu instid0(VALU_DEP_2) | instskip(NEXT) | instid1(VALU_DEP_2)
	v_cmp_ne_u32_e32 vcc_lo, 0, v9
	v_lshlrev_b32_e32 v8, 8, v8
	s_delay_alu instid0(VALU_DEP_1)
	v_cndmask_b32_e32 v133, 0, v8, vcc_lo
.LBB6_10827:                            ;   in Loop: Header=BB6_10651 Depth=3
	s_or_b32 exec_lo, exec_lo, s35
.LBB6_10828:                            ;   in Loop: Header=BB6_10651 Depth=3
	s_delay_alu instid0(SALU_CYCLE_1) | instskip(SKIP_3) | instid1(VALU_DEP_1)
	s_or_b32 exec_lo, exec_lo, s34
	v_lshrrev_b32_e32 v8, 16, v11
	s_mov_b32 s14, 0
	s_mov_b32 s35, exec_lo
                                        ; implicit-def: $sgpr34
	v_and_b32_e32 v10, 0xff, v8
	s_delay_alu instid0(VALU_DEP_1)
	v_cmpx_lt_i16_e32 0x7f, v10
	s_xor_b32 s35, exec_lo, s35
	s_cbranch_execnz .LBB6_11167
; %bb.10829:                            ;   in Loop: Header=BB6_10651 Depth=3
	s_or_saveexec_b32 s35, s35
	v_mov_b32_e32 v9, s34
	s_xor_b32 exec_lo, exec_lo, s35
	s_cbranch_execnz .LBB6_11170
.LBB6_10830:                            ;   in Loop: Header=BB6_10651 Depth=3
	s_or_b32 exec_lo, exec_lo, s35
	s_and_saveexec_b32 s34, s14
	s_cbranch_execz .LBB6_10832
.LBB6_10831:                            ;   in Loop: Header=BB6_10651 Depth=3
	v_bfe_u32 v9, v11, 16, 2
	s_delay_alu instid0(VALU_DEP_1) | instskip(NEXT) | instid1(VALU_DEP_1)
	v_clz_i32_u32_e32 v10, v9
	v_min_u32_e32 v10, 32, v10
	s_delay_alu instid0(VALU_DEP_1) | instskip(SKIP_1) | instid1(VALU_DEP_2)
	v_subrev_nc_u32_e32 v26, 29, v10
	v_sub_nc_u32_e32 v10, 30, v10
	v_lshlrev_b32_e32 v8, v26, v8
	v_bfe_u32 v26, v11, 18, 5
	s_delay_alu instid0(VALU_DEP_2) | instskip(NEXT) | instid1(VALU_DEP_2)
	v_and_b32_e32 v8, 3, v8
	v_cmp_eq_u32_e32 vcc_lo, 0, v26
	v_dual_cndmask_b32 v10, v26, v10 :: v_dual_lshlrev_b32 v27, 8, v11
	s_delay_alu instid0(VALU_DEP_1) | instskip(NEXT) | instid1(VALU_DEP_2)
	v_dual_cndmask_b32 v8, v9, v8 :: v_dual_and_b32 v9, 0x80000000, v27
	v_lshl_add_u32 v10, v10, 23, 0x37800000
	s_delay_alu instid0(VALU_DEP_2) | instskip(NEXT) | instid1(VALU_DEP_1)
	v_lshlrev_b32_e32 v8, 21, v8
	v_or3_b32 v9, v9, v10, v8
.LBB6_10832:                            ;   in Loop: Header=BB6_10651 Depth=3
	s_or_b32 exec_lo, exec_lo, s34
	s_delay_alu instid0(VALU_DEP_1) | instskip(SKIP_1) | instid1(VALU_DEP_1)
	v_dual_mul_f32 v8, s15, v9 :: v_dual_mov_b32 v81, 0x80
	s_mov_b32 s34, exec_lo
	v_and_b32_e32 v9, 0x7f800000, v8
	s_delay_alu instid0(VALU_DEP_1)
	v_cmpx_ne_u32_e32 0x7f800000, v9
	s_cbranch_execz .LBB6_10840
; %bb.10833:                            ;   in Loop: Header=BB6_10651 Depth=3
	v_mov_b32_e32 v81, 0
	s_mov_b32 s35, exec_lo
	v_cmpx_ne_u32_e32 0, v8
	s_cbranch_execz .LBB6_10839
; %bb.10834:                            ;   in Loop: Header=BB6_10651 Depth=3
	v_bfe_u32 v9, v8, 23, 8
	v_and_b32_e32 v10, 0x7fffff, v8
	s_delay_alu instid0(VALU_DEP_2) | instskip(SKIP_1) | instid1(VALU_DEP_3)
	v_sub_nc_u32_e32 v26, 0x70, v9
	v_cmp_gt_u32_e32 vcc_lo, 0x71, v9
	v_or_b32_e32 v27, 0x800000, v10
	s_delay_alu instid0(VALU_DEP_3) | instskip(SKIP_2) | instid1(VALU_DEP_3)
	v_cndmask_b32_e32 v26, 0, v26, vcc_lo
	v_cmp_eq_u32_e32 vcc_lo, 0, v9
	v_add_nc_u32_e32 v9, 0xffffff91, v9
	v_cndmask_b32_e64 v26, v26, 0x6f, vcc_lo
	v_cndmask_b32_e32 v10, v27, v10, vcc_lo
	s_delay_alu instid0(VALU_DEP_3) | instskip(NEXT) | instid1(VALU_DEP_3)
	v_cndmask_b32_e64 v9, v9, 0xffffff92, vcc_lo
	v_lshl_add_u32 v27, 0x200000, v26, -1
	s_delay_alu instid0(VALU_DEP_3) | instskip(SKIP_1) | instid1(VALU_DEP_4)
	v_lshrrev_b32_e32 v36, v26, v10
	v_lshlrev_b32_e64 v38, v26, 0x100000
	v_add_nc_u32_e32 v26, v26, v9
	s_delay_alu instid0(VALU_DEP_4) | instskip(NEXT) | instid1(VALU_DEP_4)
	v_and_b32_e32 v10, v27, v10
	v_bfe_u32 v37, v36, 21, 1
	s_delay_alu instid0(VALU_DEP_2) | instskip(NEXT) | instid1(VALU_DEP_2)
	v_cmp_eq_u32_e64 s14, v10, v38
	v_add_nc_u32_e32 v27, -1, v37
	s_delay_alu instid0(VALU_DEP_1) | instskip(SKIP_2) | instid1(VALU_DEP_2)
	v_cndmask_b32_e64 v10, 0, v27, s14
	v_lshrrev_b32_e32 v27, 23, v36
	s_mov_b32 s14, exec_lo
	v_add_nc_u32_e32 v10, v10, v36
	s_delay_alu instid0(VALU_DEP_2) | instskip(NEXT) | instid1(VALU_DEP_2)
	v_xor_b32_e32 v27, 1, v27
	v_and_b32_e32 v9, 0x1fffff, v10
	s_delay_alu instid0(VALU_DEP_1) | instskip(NEXT) | instid1(VALU_DEP_3)
	v_add_nc_u32_e32 v10, v9, v36
                                        ; implicit-def: $vgpr9
	v_cmpx_ne_u32_e64 v26, v27
	s_xor_b32 s14, exec_lo, s14
; %bb.10835:                            ;   in Loop: Header=BB6_10651 Depth=3
	s_delay_alu instid0(VALU_DEP_2) | instskip(SKIP_2) | instid1(VALU_DEP_2)
	v_cmp_lt_u32_e32 vcc_lo, 0xffffff, v10
	v_sub_nc_u32_e32 v9, v26, v27
	v_cndmask_b32_e64 v26, 0, 1, vcc_lo
	v_add_co_ci_u32_e32 v9, vcc_lo, 0, v9, vcc_lo
	s_delay_alu instid0(VALU_DEP_2)
	v_lshrrev_b32_e32 v10, v26, v10
; %bb.10836:                            ;   in Loop: Header=BB6_10651 Depth=3
	s_and_not1_saveexec_b32 s14, s14
; %bb.10837:                            ;   in Loop: Header=BB6_10651 Depth=3
	s_delay_alu instid0(VALU_DEP_1)
	v_bfe_u32 v9, v10, 23, 1
; %bb.10838:                            ;   in Loop: Header=BB6_10651 Depth=3
	s_or_b32 exec_lo, exec_lo, s14
	v_lshrrev_b32_e32 v10, 21, v10
	s_delay_alu instid0(VALU_DEP_2) | instskip(SKIP_2) | instid1(VALU_DEP_3)
	v_min_i32_e32 v26, 31, v9
	v_cmp_gt_i32_e32 vcc_lo, 32, v9
	v_lshrrev_b32_e32 v8, 24, v8
	v_lshlrev_b32_e32 v26, 2, v26
	v_cndmask_b32_e32 v10, 3, v10, vcc_lo
	s_delay_alu instid0(VALU_DEP_3) | instskip(NEXT) | instid1(VALU_DEP_3)
	v_and_b32_e32 v8, 0x80, v8
	v_and_b32_e32 v26, 0xfc, v26
	s_delay_alu instid0(VALU_DEP_3) | instskip(SKIP_1) | instid1(VALU_DEP_2)
	v_and_b32_e32 v27, 3, v10
	v_or_b32_e32 v9, v9, v10
	v_or3_b32 v8, v26, v8, v27
	s_delay_alu instid0(VALU_DEP_2) | instskip(NEXT) | instid1(VALU_DEP_2)
	v_cmp_ne_u32_e32 vcc_lo, 0, v9
	v_cndmask_b32_e32 v81, 0, v8, vcc_lo
.LBB6_10839:                            ;   in Loop: Header=BB6_10651 Depth=3
	s_or_b32 exec_lo, exec_lo, s35
.LBB6_10840:                            ;   in Loop: Header=BB6_10651 Depth=3
	s_delay_alu instid0(SALU_CYCLE_1) | instskip(SKIP_3) | instid1(VALU_DEP_1)
	s_or_b32 exec_lo, exec_lo, s34
	v_lshrrev_b32_e32 v8, 24, v11
	s_mov_b32 s14, 0
	s_mov_b32 s35, exec_lo
                                        ; implicit-def: $sgpr34
	v_cmpx_lt_i16_e32 0x7f, v8
	s_xor_b32 s35, exec_lo, s35
	s_cbranch_execnz .LBB6_11171
; %bb.10841:                            ;   in Loop: Header=BB6_10651 Depth=3
	s_or_saveexec_b32 s35, s35
	v_mov_b32_e32 v9, s34
	s_xor_b32 exec_lo, exec_lo, s35
	s_cbranch_execnz .LBB6_11174
.LBB6_10842:                            ;   in Loop: Header=BB6_10651 Depth=3
	s_or_b32 exec_lo, exec_lo, s35
	s_and_saveexec_b32 s34, s14
	s_cbranch_execz .LBB6_10844
.LBB6_10843:                            ;   in Loop: Header=BB6_10651 Depth=3
	v_bfe_u32 v9, v11, 24, 2
	s_delay_alu instid0(VALU_DEP_1) | instskip(NEXT) | instid1(VALU_DEP_1)
	v_clz_i32_u32_e32 v10, v9
	v_min_u32_e32 v10, 32, v10
	s_delay_alu instid0(VALU_DEP_1) | instskip(SKIP_1) | instid1(VALU_DEP_2)
	v_subrev_nc_u32_e32 v26, 29, v10
	v_sub_nc_u32_e32 v10, 30, v10
	v_lshlrev_b32_e32 v8, v26, v8
	v_bfe_u32 v26, v11, 26, 5
	s_delay_alu instid0(VALU_DEP_2) | instskip(NEXT) | instid1(VALU_DEP_2)
	v_and_b32_e32 v8, 3, v8
	v_cmp_eq_u32_e32 vcc_lo, 0, v26
	v_cndmask_b32_e32 v10, v26, v10, vcc_lo
	s_delay_alu instid0(VALU_DEP_3) | instskip(NEXT) | instid1(VALU_DEP_2)
	v_dual_cndmask_b32 v8, v9, v8 :: v_dual_and_b32 v9, 0x80000000, v11
	v_lshl_add_u32 v10, v10, 23, 0x37800000
	s_delay_alu instid0(VALU_DEP_2) | instskip(NEXT) | instid1(VALU_DEP_1)
	v_lshlrev_b32_e32 v8, 21, v8
	v_or3_b32 v9, v9, v10, v8
.LBB6_10844:                            ;   in Loop: Header=BB6_10651 Depth=3
	s_or_b32 exec_lo, exec_lo, s34
	s_delay_alu instid0(VALU_DEP_1) | instskip(SKIP_1) | instid1(VALU_DEP_1)
	v_dual_mul_f32 v8, s15, v9 :: v_dual_mov_b32 v85, 0x8000
	s_mov_b32 s15, exec_lo
	v_and_b32_e32 v9, 0x7f800000, v8
	s_delay_alu instid0(VALU_DEP_1)
	v_cmpx_ne_u32_e32 0x7f800000, v9
	s_cbranch_execz .LBB6_10852
; %bb.10845:                            ;   in Loop: Header=BB6_10651 Depth=3
	v_mov_b32_e32 v85, 0
	s_mov_b32 s34, exec_lo
	v_cmpx_ne_u32_e32 0, v8
	s_cbranch_execz .LBB6_10851
; %bb.10846:                            ;   in Loop: Header=BB6_10651 Depth=3
	v_bfe_u32 v9, v8, 23, 8
	s_delay_alu instid0(VALU_DEP_1) | instskip(SKIP_1) | instid1(VALU_DEP_2)
	v_sub_nc_u32_e32 v11, 0x70, v9
	v_cmp_gt_u32_e32 vcc_lo, 0x71, v9
	v_dual_cndmask_b32 v11, 0, v11 :: v_dual_and_b32 v10, 0x7fffff, v8
	s_delay_alu instid0(VALU_DEP_1) | instskip(SKIP_2) | instid1(VALU_DEP_4)
	v_or_b32_e32 v26, 0x800000, v10
	v_cmp_eq_u32_e32 vcc_lo, 0, v9
	v_add_nc_u32_e32 v9, 0xffffff91, v9
	v_cndmask_b32_e64 v11, v11, 0x6f, vcc_lo
	s_delay_alu instid0(VALU_DEP_4) | instskip(NEXT) | instid1(VALU_DEP_3)
	v_cndmask_b32_e32 v10, v26, v10, vcc_lo
	v_cndmask_b32_e64 v9, v9, 0xffffff92, vcc_lo
	s_delay_alu instid0(VALU_DEP_3) | instskip(NEXT) | instid1(VALU_DEP_3)
	v_lshl_add_u32 v26, 0x200000, v11, -1
	v_lshrrev_b32_e32 v27, v11, v10
	v_lshlrev_b32_e64 v37, v11, 0x100000
	s_delay_alu instid0(VALU_DEP_4) | instskip(NEXT) | instid1(VALU_DEP_4)
	v_add_nc_u32_e32 v11, v11, v9
	v_and_b32_e32 v10, v26, v10
	s_delay_alu instid0(VALU_DEP_4) | instskip(NEXT) | instid1(VALU_DEP_2)
	v_bfe_u32 v36, v27, 21, 1
	v_cmp_eq_u32_e64 s14, v10, v37
	s_delay_alu instid0(VALU_DEP_2) | instskip(NEXT) | instid1(VALU_DEP_1)
	v_add_nc_u32_e32 v26, -1, v36
	v_cndmask_b32_e64 v10, 0, v26, s14
	v_lshrrev_b32_e32 v26, 23, v27
	s_mov_b32 s14, exec_lo
	s_delay_alu instid0(VALU_DEP_2) | instskip(NEXT) | instid1(VALU_DEP_2)
	v_add_nc_u32_e32 v10, v10, v27
	v_xor_b32_e32 v26, 1, v26
	s_delay_alu instid0(VALU_DEP_2) | instskip(NEXT) | instid1(VALU_DEP_1)
	v_and_b32_e32 v9, 0x1fffff, v10
	v_add_nc_u32_e32 v10, v9, v27
                                        ; implicit-def: $vgpr9
	s_delay_alu instid0(VALU_DEP_3)
	v_cmpx_ne_u32_e64 v11, v26
	s_xor_b32 s14, exec_lo, s14
; %bb.10847:                            ;   in Loop: Header=BB6_10651 Depth=3
	s_delay_alu instid0(VALU_DEP_2) | instskip(SKIP_2) | instid1(VALU_DEP_2)
	v_cmp_lt_u32_e32 vcc_lo, 0xffffff, v10
	v_sub_nc_u32_e32 v9, v11, v26
	v_cndmask_b32_e64 v11, 0, 1, vcc_lo
	v_add_co_ci_u32_e32 v9, vcc_lo, 0, v9, vcc_lo
	s_delay_alu instid0(VALU_DEP_2)
	v_lshrrev_b32_e32 v10, v11, v10
; %bb.10848:                            ;   in Loop: Header=BB6_10651 Depth=3
	s_and_not1_saveexec_b32 s14, s14
; %bb.10849:                            ;   in Loop: Header=BB6_10651 Depth=3
	s_delay_alu instid0(VALU_DEP_1)
	v_bfe_u32 v9, v10, 23, 1
; %bb.10850:                            ;   in Loop: Header=BB6_10651 Depth=3
	s_or_b32 exec_lo, exec_lo, s14
	v_lshrrev_b32_e32 v10, 21, v10
	s_delay_alu instid0(VALU_DEP_2) | instskip(SKIP_2) | instid1(VALU_DEP_2)
	v_cmp_gt_i32_e32 vcc_lo, 32, v9
	v_min_i32_e32 v11, 31, v9
	v_lshrrev_b32_e32 v8, 24, v8
	v_dual_cndmask_b32 v10, 3, v10 :: v_dual_lshlrev_b32 v11, 2, v11
	s_delay_alu instid0(VALU_DEP_2) | instskip(NEXT) | instid1(VALU_DEP_2)
	v_and_b32_e32 v8, 0x80, v8
	v_or_b32_e32 v9, v9, v10
	s_delay_alu instid0(VALU_DEP_3) | instskip(NEXT) | instid1(VALU_DEP_2)
	v_and_b32_e32 v11, 0xfc, v11
	v_cmp_ne_u32_e32 vcc_lo, 0, v9
	v_and_b32_e32 v26, 3, v10
	s_delay_alu instid0(VALU_DEP_1) | instskip(NEXT) | instid1(VALU_DEP_1)
	v_or3_b32 v8, v8, v11, v26
	v_lshlrev_b32_e32 v8, 8, v8
	s_delay_alu instid0(VALU_DEP_1)
	v_cndmask_b32_e32 v85, 0, v8, vcc_lo
.LBB6_10851:                            ;   in Loop: Header=BB6_10651 Depth=3
	s_or_b32 exec_lo, exec_lo, s34
.LBB6_10852:                            ;   in Loop: Header=BB6_10651 Depth=3
	s_delay_alu instid0(SALU_CYCLE_1) | instskip(SKIP_4) | instid1(VALU_DEP_1)
	s_or_b32 exec_lo, exec_lo, s15
	global_load_b128 v[8:11], v[18:19], off slc dlc
	v_and_b32_e32 v27, 0xff, v80
	s_mov_b32 s14, 0
	s_mov_b32 s34, exec_lo
                                        ; implicit-def: $sgpr15
	v_cmpx_lt_i16_e32 0x7f, v27
	s_xor_b32 s34, exec_lo, s34
	s_cbranch_execnz .LBB6_11175
; %bb.10853:                            ;   in Loop: Header=BB6_10651 Depth=3
	s_or_saveexec_b32 s34, s34
	v_mov_b32_e32 v26, s15
	s_xor_b32 exec_lo, exec_lo, s34
	s_cbranch_execnz .LBB6_11178
.LBB6_10854:                            ;   in Loop: Header=BB6_10651 Depth=3
	s_or_b32 exec_lo, exec_lo, s34
	s_and_saveexec_b32 s15, s14
	s_cbranch_execz .LBB6_10856
.LBB6_10855:                            ;   in Loop: Header=BB6_10651 Depth=3
	v_bfe_u32 v37, v80, 2, 5
	v_lshlrev_b32_e32 v38, 24, v80
	s_delay_alu instid0(VALU_DEP_2) | instskip(SKIP_1) | instid1(VALU_DEP_1)
	v_cmp_eq_u32_e32 vcc_lo, 0, v37
	v_and_b32_e32 v26, 3, v80
	v_clz_i32_u32_e32 v27, v26
	s_delay_alu instid0(VALU_DEP_1) | instskip(NEXT) | instid1(VALU_DEP_1)
	v_min_u32_e32 v27, 32, v27
	v_subrev_nc_u32_e32 v36, 29, v27
	v_sub_nc_u32_e32 v27, 30, v27
	s_delay_alu instid0(VALU_DEP_1) | instskip(NEXT) | instid1(VALU_DEP_1)
	v_dual_cndmask_b32 v27, v37, v27 :: v_dual_lshlrev_b32 v36, v36, v80
	v_and_b32_e32 v36, 3, v36
	s_delay_alu instid0(VALU_DEP_2) | instskip(NEXT) | instid1(VALU_DEP_2)
	v_lshl_add_u32 v27, v27, 23, 0x37800000
	v_cndmask_b32_e32 v26, v26, v36, vcc_lo
	v_and_b32_e32 v36, 0x80000000, v38
	s_delay_alu instid0(VALU_DEP_2) | instskip(NEXT) | instid1(VALU_DEP_1)
	v_lshlrev_b32_e32 v26, 21, v26
	v_or3_b32 v26, v36, v27, v26
.LBB6_10856:                            ;   in Loop: Header=BB6_10651 Depth=3
	s_or_b32 exec_lo, exec_lo, s15
	s_waitcnt vmcnt(0)
	v_and_b32_e32 v36, 0xff, v8
	s_mov_b32 s14, 0
	s_mov_b32 s34, exec_lo
                                        ; implicit-def: $sgpr15
	s_delay_alu instid0(VALU_DEP_1)
	v_cmpx_lt_i16_e32 0x7f, v36
	s_xor_b32 s34, exec_lo, s34
	s_cbranch_execnz .LBB6_11179
; %bb.10857:                            ;   in Loop: Header=BB6_10651 Depth=3
	s_or_saveexec_b32 s34, s34
	v_mov_b32_e32 v27, s15
	s_xor_b32 exec_lo, exec_lo, s34
	s_cbranch_execnz .LBB6_11182
.LBB6_10858:                            ;   in Loop: Header=BB6_10651 Depth=3
	s_or_b32 exec_lo, exec_lo, s34
	s_and_saveexec_b32 s15, s14
	s_cbranch_execz .LBB6_10860
.LBB6_10859:                            ;   in Loop: Header=BB6_10651 Depth=3
	v_and_b32_e32 v27, 3, v8
	v_bfe_u32 v38, v8, 2, 5
	v_lshlrev_b32_e32 v39, 24, v8
	s_delay_alu instid0(VALU_DEP_3) | instskip(NEXT) | instid1(VALU_DEP_3)
	v_clz_i32_u32_e32 v36, v27
	v_cmp_eq_u32_e32 vcc_lo, 0, v38
	s_delay_alu instid0(VALU_DEP_2) | instskip(NEXT) | instid1(VALU_DEP_1)
	v_min_u32_e32 v36, 32, v36
	v_subrev_nc_u32_e32 v37, 29, v36
	v_sub_nc_u32_e32 v36, 30, v36
	s_delay_alu instid0(VALU_DEP_2) | instskip(NEXT) | instid1(VALU_DEP_1)
	v_lshlrev_b32_e32 v37, v37, v8
	v_dual_cndmask_b32 v36, v38, v36 :: v_dual_and_b32 v37, 3, v37
	s_delay_alu instid0(VALU_DEP_1) | instskip(NEXT) | instid1(VALU_DEP_2)
	v_lshl_add_u32 v36, v36, 23, 0x37800000
	v_cndmask_b32_e32 v27, v27, v37, vcc_lo
	v_and_b32_e32 v37, 0x80000000, v39
	s_delay_alu instid0(VALU_DEP_2) | instskip(NEXT) | instid1(VALU_DEP_1)
	v_lshlrev_b32_e32 v27, 21, v27
	v_or3_b32 v27, v37, v36, v27
.LBB6_10860:                            ;   in Loop: Header=BB6_10651 Depth=3
	s_or_b32 exec_lo, exec_lo, s15
	s_delay_alu instid0(VALU_DEP_1) | instskip(SKIP_2) | instid1(VALU_DEP_2)
	v_add_f32_e32 v26, v26, v27
	v_mov_b32_e32 v80, 0x80
	s_mov_b32 s15, exec_lo
	v_and_b32_e32 v27, 0x7f800000, v26
	s_delay_alu instid0(VALU_DEP_1)
	v_cmpx_ne_u32_e32 0x7f800000, v27
	s_cbranch_execz .LBB6_10868
; %bb.10861:                            ;   in Loop: Header=BB6_10651 Depth=3
	v_mov_b32_e32 v80, 0
	s_mov_b32 s34, exec_lo
	v_cmpx_ne_u32_e32 0, v26
	s_cbranch_execz .LBB6_10867
; %bb.10862:                            ;   in Loop: Header=BB6_10651 Depth=3
	v_bfe_u32 v27, v26, 23, 8
	s_delay_alu instid0(VALU_DEP_1) | instskip(SKIP_1) | instid1(VALU_DEP_2)
	v_sub_nc_u32_e32 v37, 0x70, v27
	v_cmp_gt_u32_e32 vcc_lo, 0x71, v27
	v_dual_cndmask_b32 v37, 0, v37 :: v_dual_and_b32 v36, 0x7fffff, v26
	s_delay_alu instid0(VALU_DEP_1) | instskip(SKIP_2) | instid1(VALU_DEP_4)
	v_or_b32_e32 v38, 0x800000, v36
	v_cmp_eq_u32_e32 vcc_lo, 0, v27
	v_add_nc_u32_e32 v27, 0xffffff91, v27
	v_cndmask_b32_e64 v37, v37, 0x6f, vcc_lo
	s_delay_alu instid0(VALU_DEP_4) | instskip(NEXT) | instid1(VALU_DEP_3)
	v_cndmask_b32_e32 v36, v38, v36, vcc_lo
	v_cndmask_b32_e64 v27, v27, 0xffffff92, vcc_lo
	s_delay_alu instid0(VALU_DEP_3) | instskip(NEXT) | instid1(VALU_DEP_3)
	v_lshl_add_u32 v38, 0x200000, v37, -1
	v_lshrrev_b32_e32 v39, v37, v36
	v_lshlrev_b32_e64 v49, v37, 0x100000
	s_delay_alu instid0(VALU_DEP_4) | instskip(NEXT) | instid1(VALU_DEP_4)
	v_add_nc_u32_e32 v37, v37, v27
	v_and_b32_e32 v36, v38, v36
	s_delay_alu instid0(VALU_DEP_4) | instskip(NEXT) | instid1(VALU_DEP_2)
	v_bfe_u32 v48, v39, 21, 1
	v_cmp_eq_u32_e64 s14, v36, v49
	s_delay_alu instid0(VALU_DEP_2) | instskip(NEXT) | instid1(VALU_DEP_1)
	v_add_nc_u32_e32 v38, -1, v48
	v_cndmask_b32_e64 v36, 0, v38, s14
	v_lshrrev_b32_e32 v38, 23, v39
	s_mov_b32 s14, exec_lo
	s_delay_alu instid0(VALU_DEP_2) | instskip(NEXT) | instid1(VALU_DEP_2)
	v_add_nc_u32_e32 v36, v36, v39
	v_xor_b32_e32 v38, 1, v38
	s_delay_alu instid0(VALU_DEP_2) | instskip(NEXT) | instid1(VALU_DEP_1)
	v_and_b32_e32 v27, 0x1fffff, v36
	v_add_nc_u32_e32 v36, v27, v39
                                        ; implicit-def: $vgpr27
	s_delay_alu instid0(VALU_DEP_3)
	v_cmpx_ne_u32_e64 v37, v38
	s_xor_b32 s14, exec_lo, s14
; %bb.10863:                            ;   in Loop: Header=BB6_10651 Depth=3
	s_delay_alu instid0(VALU_DEP_2) | instskip(SKIP_2) | instid1(VALU_DEP_2)
	v_cmp_lt_u32_e32 vcc_lo, 0xffffff, v36
	v_sub_nc_u32_e32 v27, v37, v38
	v_cndmask_b32_e64 v37, 0, 1, vcc_lo
	v_add_co_ci_u32_e32 v27, vcc_lo, 0, v27, vcc_lo
	s_delay_alu instid0(VALU_DEP_2)
	v_lshrrev_b32_e32 v36, v37, v36
; %bb.10864:                            ;   in Loop: Header=BB6_10651 Depth=3
	s_and_not1_saveexec_b32 s14, s14
; %bb.10865:                            ;   in Loop: Header=BB6_10651 Depth=3
	s_delay_alu instid0(VALU_DEP_1)
	v_bfe_u32 v27, v36, 23, 1
; %bb.10866:                            ;   in Loop: Header=BB6_10651 Depth=3
	s_or_b32 exec_lo, exec_lo, s14
	v_lshrrev_b32_e32 v36, 21, v36
	s_delay_alu instid0(VALU_DEP_2) | instskip(SKIP_2) | instid1(VALU_DEP_4)
	v_cmp_gt_i32_e32 vcc_lo, 32, v27
	v_lshrrev_b32_e32 v26, 24, v26
	v_min_i32_e32 v37, 31, v27
	v_cndmask_b32_e32 v36, 3, v36, vcc_lo
	s_delay_alu instid0(VALU_DEP_3) | instskip(NEXT) | instid1(VALU_DEP_3)
	v_and_b32_e32 v26, 0x80, v26
	v_lshlrev_b32_e32 v37, 2, v37
	s_delay_alu instid0(VALU_DEP_3) | instskip(SKIP_1) | instid1(VALU_DEP_2)
	v_and_b32_e32 v38, 3, v36
	v_or_b32_e32 v27, v27, v36
	v_or3_b32 v26, v37, v26, v38
	s_delay_alu instid0(VALU_DEP_2) | instskip(NEXT) | instid1(VALU_DEP_2)
	v_cmp_ne_u32_e32 vcc_lo, 0, v27
	v_cndmask_b32_e32 v80, 0, v26, vcc_lo
.LBB6_10867:                            ;   in Loop: Header=BB6_10651 Depth=3
	s_or_b32 exec_lo, exec_lo, s34
.LBB6_10868:                            ;   in Loop: Header=BB6_10651 Depth=3
	s_delay_alu instid0(SALU_CYCLE_1) | instskip(SKIP_3) | instid1(VALU_DEP_1)
	s_or_b32 exec_lo, exec_lo, s15
	v_and_b32_e32 v27, 0xff, v84
	s_mov_b32 s14, 0
	s_mov_b32 s34, exec_lo
                                        ; implicit-def: $sgpr15
	v_cmpx_lt_i16_e32 0x7f, v27
	s_xor_b32 s34, exec_lo, s34
	s_cbranch_execnz .LBB6_11183
; %bb.10869:                            ;   in Loop: Header=BB6_10651 Depth=3
	s_or_saveexec_b32 s34, s34
	v_mov_b32_e32 v26, s15
	s_xor_b32 exec_lo, exec_lo, s34
	s_cbranch_execnz .LBB6_11186
.LBB6_10870:                            ;   in Loop: Header=BB6_10651 Depth=3
	s_or_b32 exec_lo, exec_lo, s34
	s_and_saveexec_b32 s15, s14
	s_cbranch_execz .LBB6_10872
.LBB6_10871:                            ;   in Loop: Header=BB6_10651 Depth=3
	v_bfe_u32 v37, v84, 2, 5
	v_lshlrev_b32_e32 v38, 24, v84
	s_delay_alu instid0(VALU_DEP_2) | instskip(SKIP_1) | instid1(VALU_DEP_1)
	v_cmp_eq_u32_e32 vcc_lo, 0, v37
	v_and_b32_e32 v26, 3, v84
	v_clz_i32_u32_e32 v27, v26
	s_delay_alu instid0(VALU_DEP_1) | instskip(NEXT) | instid1(VALU_DEP_1)
	v_min_u32_e32 v27, 32, v27
	v_subrev_nc_u32_e32 v36, 29, v27
	v_sub_nc_u32_e32 v27, 30, v27
	s_delay_alu instid0(VALU_DEP_1) | instskip(NEXT) | instid1(VALU_DEP_1)
	v_dual_cndmask_b32 v27, v37, v27 :: v_dual_lshlrev_b32 v36, v36, v84
	v_and_b32_e32 v36, 3, v36
	s_delay_alu instid0(VALU_DEP_2) | instskip(NEXT) | instid1(VALU_DEP_2)
	v_lshl_add_u32 v27, v27, 23, 0x37800000
	v_cndmask_b32_e32 v26, v26, v36, vcc_lo
	v_and_b32_e32 v36, 0x80000000, v38
	s_delay_alu instid0(VALU_DEP_2) | instskip(NEXT) | instid1(VALU_DEP_1)
	v_lshlrev_b32_e32 v26, 21, v26
	v_or3_b32 v26, v36, v27, v26
.LBB6_10872:                            ;   in Loop: Header=BB6_10651 Depth=3
	s_or_b32 exec_lo, exec_lo, s15
	v_lshrrev_b16 v27, 8, v8
	s_mov_b32 s14, 0
	s_mov_b32 s34, exec_lo
                                        ; implicit-def: $sgpr15
	s_delay_alu instid0(VALU_DEP_1)
	v_cmpx_lt_i16_e32 0x7f, v27
	s_xor_b32 s34, exec_lo, s34
	s_cbranch_execnz .LBB6_11187
; %bb.10873:                            ;   in Loop: Header=BB6_10651 Depth=3
	s_or_saveexec_b32 s34, s34
	v_mov_b32_e32 v36, s15
	s_xor_b32 exec_lo, exec_lo, s34
	s_cbranch_execnz .LBB6_11190
.LBB6_10874:                            ;   in Loop: Header=BB6_10651 Depth=3
	s_or_b32 exec_lo, exec_lo, s34
	s_and_saveexec_b32 s15, s14
	s_cbranch_execz .LBB6_10876
.LBB6_10875:                            ;   in Loop: Header=BB6_10651 Depth=3
	v_and_b32_e32 v36, 0xffff, v27
	v_lshlrev_b32_e32 v27, 24, v27
	s_delay_alu instid0(VALU_DEP_2) | instskip(NEXT) | instid1(VALU_DEP_2)
	v_and_b32_e32 v37, 3, v36
	v_and_b32_e32 v27, 0x80000000, v27
	s_delay_alu instid0(VALU_DEP_2) | instskip(NEXT) | instid1(VALU_DEP_1)
	v_clz_i32_u32_e32 v38, v37
	v_min_u32_e32 v38, 32, v38
	s_delay_alu instid0(VALU_DEP_1) | instskip(SKIP_1) | instid1(VALU_DEP_2)
	v_subrev_nc_u32_e32 v39, 29, v38
	v_sub_nc_u32_e32 v38, 30, v38
	v_lshlrev_b32_e32 v39, v39, v36
	v_bfe_u32 v36, v36, 2, 5
	s_delay_alu instid0(VALU_DEP_2) | instskip(NEXT) | instid1(VALU_DEP_2)
	v_and_b32_e32 v39, 3, v39
	v_cmp_eq_u32_e32 vcc_lo, 0, v36
	s_delay_alu instid0(VALU_DEP_2) | instskip(NEXT) | instid1(VALU_DEP_1)
	v_dual_cndmask_b32 v36, v36, v38 :: v_dual_cndmask_b32 v37, v37, v39
	v_lshl_add_u32 v36, v36, 23, 0x37800000
	s_delay_alu instid0(VALU_DEP_2) | instskip(NEXT) | instid1(VALU_DEP_1)
	v_lshlrev_b32_e32 v37, 21, v37
	v_or3_b32 v36, v27, v36, v37
.LBB6_10876:                            ;   in Loop: Header=BB6_10651 Depth=3
	s_or_b32 exec_lo, exec_lo, s15
	s_delay_alu instid0(VALU_DEP_1) | instskip(SKIP_2) | instid1(VALU_DEP_2)
	v_add_f32_e32 v26, v26, v36
	v_mov_b32_e32 v84, 0x80
	s_mov_b32 s15, exec_lo
	v_and_b32_e32 v27, 0x7f800000, v26
	s_delay_alu instid0(VALU_DEP_1)
	v_cmpx_ne_u32_e32 0x7f800000, v27
	s_cbranch_execz .LBB6_10884
; %bb.10877:                            ;   in Loop: Header=BB6_10651 Depth=3
	v_mov_b32_e32 v84, 0
	s_mov_b32 s34, exec_lo
	v_cmpx_ne_u32_e32 0, v26
	s_cbranch_execz .LBB6_10883
; %bb.10878:                            ;   in Loop: Header=BB6_10651 Depth=3
	v_bfe_u32 v27, v26, 23, 8
	s_delay_alu instid0(VALU_DEP_1) | instskip(SKIP_1) | instid1(VALU_DEP_2)
	v_sub_nc_u32_e32 v37, 0x70, v27
	v_cmp_gt_u32_e32 vcc_lo, 0x71, v27
	v_dual_cndmask_b32 v37, 0, v37 :: v_dual_and_b32 v36, 0x7fffff, v26
	s_delay_alu instid0(VALU_DEP_1) | instskip(SKIP_2) | instid1(VALU_DEP_4)
	v_or_b32_e32 v38, 0x800000, v36
	v_cmp_eq_u32_e32 vcc_lo, 0, v27
	v_add_nc_u32_e32 v27, 0xffffff91, v27
	v_cndmask_b32_e64 v37, v37, 0x6f, vcc_lo
	s_delay_alu instid0(VALU_DEP_4) | instskip(NEXT) | instid1(VALU_DEP_3)
	v_cndmask_b32_e32 v36, v38, v36, vcc_lo
	v_cndmask_b32_e64 v27, v27, 0xffffff92, vcc_lo
	s_delay_alu instid0(VALU_DEP_3) | instskip(NEXT) | instid1(VALU_DEP_3)
	v_lshl_add_u32 v38, 0x200000, v37, -1
	v_lshrrev_b32_e32 v39, v37, v36
	v_lshlrev_b32_e64 v49, v37, 0x100000
	s_delay_alu instid0(VALU_DEP_4) | instskip(NEXT) | instid1(VALU_DEP_4)
	v_add_nc_u32_e32 v37, v37, v27
	v_and_b32_e32 v36, v38, v36
	s_delay_alu instid0(VALU_DEP_4) | instskip(NEXT) | instid1(VALU_DEP_2)
	v_bfe_u32 v48, v39, 21, 1
	v_cmp_eq_u32_e64 s14, v36, v49
	s_delay_alu instid0(VALU_DEP_2) | instskip(NEXT) | instid1(VALU_DEP_1)
	v_add_nc_u32_e32 v38, -1, v48
	v_cndmask_b32_e64 v36, 0, v38, s14
	v_lshrrev_b32_e32 v38, 23, v39
	s_mov_b32 s14, exec_lo
	s_delay_alu instid0(VALU_DEP_2) | instskip(NEXT) | instid1(VALU_DEP_2)
	v_add_nc_u32_e32 v36, v36, v39
	v_xor_b32_e32 v38, 1, v38
	s_delay_alu instid0(VALU_DEP_2) | instskip(NEXT) | instid1(VALU_DEP_1)
	v_and_b32_e32 v27, 0x1fffff, v36
	v_add_nc_u32_e32 v36, v27, v39
                                        ; implicit-def: $vgpr27
	s_delay_alu instid0(VALU_DEP_3)
	v_cmpx_ne_u32_e64 v37, v38
	s_xor_b32 s14, exec_lo, s14
; %bb.10879:                            ;   in Loop: Header=BB6_10651 Depth=3
	s_delay_alu instid0(VALU_DEP_2) | instskip(SKIP_2) | instid1(VALU_DEP_2)
	v_cmp_lt_u32_e32 vcc_lo, 0xffffff, v36
	v_sub_nc_u32_e32 v27, v37, v38
	v_cndmask_b32_e64 v37, 0, 1, vcc_lo
	v_add_co_ci_u32_e32 v27, vcc_lo, 0, v27, vcc_lo
	s_delay_alu instid0(VALU_DEP_2)
	v_lshrrev_b32_e32 v36, v37, v36
; %bb.10880:                            ;   in Loop: Header=BB6_10651 Depth=3
	s_and_not1_saveexec_b32 s14, s14
; %bb.10881:                            ;   in Loop: Header=BB6_10651 Depth=3
	s_delay_alu instid0(VALU_DEP_1)
	v_bfe_u32 v27, v36, 23, 1
; %bb.10882:                            ;   in Loop: Header=BB6_10651 Depth=3
	s_or_b32 exec_lo, exec_lo, s14
	v_lshrrev_b32_e32 v36, 21, v36
	s_delay_alu instid0(VALU_DEP_2) | instskip(SKIP_2) | instid1(VALU_DEP_4)
	v_cmp_gt_i32_e32 vcc_lo, 32, v27
	v_lshrrev_b32_e32 v26, 24, v26
	v_min_i32_e32 v37, 31, v27
	v_cndmask_b32_e32 v36, 3, v36, vcc_lo
	s_delay_alu instid0(VALU_DEP_3) | instskip(NEXT) | instid1(VALU_DEP_3)
	v_and_b32_e32 v26, 0x80, v26
	v_lshlrev_b32_e32 v37, 2, v37
	s_delay_alu instid0(VALU_DEP_3) | instskip(SKIP_1) | instid1(VALU_DEP_2)
	v_and_b32_e32 v38, 3, v36
	v_or_b32_e32 v27, v27, v36
	v_or3_b32 v26, v37, v26, v38
	s_delay_alu instid0(VALU_DEP_2) | instskip(NEXT) | instid1(VALU_DEP_2)
	v_cmp_ne_u32_e32 vcc_lo, 0, v27
	v_cndmask_b32_e32 v84, 0, v26, vcc_lo
.LBB6_10883:                            ;   in Loop: Header=BB6_10651 Depth=3
	s_or_b32 exec_lo, exec_lo, s34
.LBB6_10884:                            ;   in Loop: Header=BB6_10651 Depth=3
	s_delay_alu instid0(SALU_CYCLE_1) | instskip(SKIP_3) | instid1(VALU_DEP_1)
	s_or_b32 exec_lo, exec_lo, s15
	v_and_b32_e32 v27, 0xff, v132
	s_mov_b32 s14, 0
	s_mov_b32 s34, exec_lo
                                        ; implicit-def: $sgpr15
	v_cmpx_lt_i16_e32 0x7f, v27
	s_xor_b32 s34, exec_lo, s34
	s_cbranch_execnz .LBB6_11191
; %bb.10885:                            ;   in Loop: Header=BB6_10651 Depth=3
	s_or_saveexec_b32 s34, s34
	v_mov_b32_e32 v26, s15
	s_xor_b32 exec_lo, exec_lo, s34
	s_cbranch_execnz .LBB6_11194
.LBB6_10886:                            ;   in Loop: Header=BB6_10651 Depth=3
	s_or_b32 exec_lo, exec_lo, s34
	s_and_saveexec_b32 s15, s14
	s_cbranch_execz .LBB6_10888
.LBB6_10887:                            ;   in Loop: Header=BB6_10651 Depth=3
	v_bfe_u32 v37, v132, 2, 5
	v_lshlrev_b32_e32 v38, 24, v132
	s_delay_alu instid0(VALU_DEP_2) | instskip(SKIP_1) | instid1(VALU_DEP_1)
	v_cmp_eq_u32_e32 vcc_lo, 0, v37
	v_and_b32_e32 v26, 3, v132
	v_clz_i32_u32_e32 v27, v26
	s_delay_alu instid0(VALU_DEP_1) | instskip(NEXT) | instid1(VALU_DEP_1)
	v_min_u32_e32 v27, 32, v27
	v_subrev_nc_u32_e32 v36, 29, v27
	v_sub_nc_u32_e32 v27, 30, v27
	s_delay_alu instid0(VALU_DEP_1) | instskip(NEXT) | instid1(VALU_DEP_1)
	v_dual_cndmask_b32 v27, v37, v27 :: v_dual_lshlrev_b32 v36, v36, v132
	v_and_b32_e32 v36, 3, v36
	s_delay_alu instid0(VALU_DEP_2) | instskip(NEXT) | instid1(VALU_DEP_2)
	v_lshl_add_u32 v27, v27, 23, 0x37800000
	v_cndmask_b32_e32 v26, v26, v36, vcc_lo
	v_and_b32_e32 v36, 0x80000000, v38
	s_delay_alu instid0(VALU_DEP_2) | instskip(NEXT) | instid1(VALU_DEP_1)
	v_lshlrev_b32_e32 v26, 21, v26
	v_or3_b32 v26, v36, v27, v26
.LBB6_10888:                            ;   in Loop: Header=BB6_10651 Depth=3
	s_or_b32 exec_lo, exec_lo, s15
	v_lshrrev_b32_e32 v27, 16, v8
	s_mov_b32 s14, 0
	s_mov_b32 s34, exec_lo
                                        ; implicit-def: $sgpr15
	s_delay_alu instid0(VALU_DEP_1) | instskip(NEXT) | instid1(VALU_DEP_1)
	v_and_b32_e32 v37, 0xff, v27
	v_cmpx_lt_i16_e32 0x7f, v37
	s_xor_b32 s34, exec_lo, s34
	s_cbranch_execnz .LBB6_11195
; %bb.10889:                            ;   in Loop: Header=BB6_10651 Depth=3
	s_or_saveexec_b32 s34, s34
	v_mov_b32_e32 v36, s15
	s_xor_b32 exec_lo, exec_lo, s34
	s_cbranch_execnz .LBB6_11198
.LBB6_10890:                            ;   in Loop: Header=BB6_10651 Depth=3
	s_or_b32 exec_lo, exec_lo, s34
	s_and_saveexec_b32 s15, s14
	s_cbranch_execz .LBB6_10892
.LBB6_10891:                            ;   in Loop: Header=BB6_10651 Depth=3
	v_bfe_u32 v36, v8, 16, 2
	v_lshlrev_b32_e32 v39, 8, v8
	s_delay_alu instid0(VALU_DEP_2) | instskip(NEXT) | instid1(VALU_DEP_1)
	v_clz_i32_u32_e32 v37, v36
	v_min_u32_e32 v37, 32, v37
	s_delay_alu instid0(VALU_DEP_1) | instskip(SKIP_1) | instid1(VALU_DEP_2)
	v_subrev_nc_u32_e32 v38, 29, v37
	v_sub_nc_u32_e32 v37, 30, v37
	v_lshlrev_b32_e32 v27, v38, v27
	v_bfe_u32 v38, v8, 18, 5
	s_delay_alu instid0(VALU_DEP_2) | instskip(NEXT) | instid1(VALU_DEP_2)
	v_and_b32_e32 v27, 3, v27
	v_cmp_eq_u32_e32 vcc_lo, 0, v38
	v_cndmask_b32_e32 v37, v38, v37, vcc_lo
	s_delay_alu instid0(VALU_DEP_3) | instskip(SKIP_1) | instid1(VALU_DEP_3)
	v_cndmask_b32_e32 v27, v36, v27, vcc_lo
	v_and_b32_e32 v36, 0x80000000, v39
	v_lshl_add_u32 v37, v37, 23, 0x37800000
	s_delay_alu instid0(VALU_DEP_3) | instskip(NEXT) | instid1(VALU_DEP_1)
	v_lshlrev_b32_e32 v27, 21, v27
	v_or3_b32 v36, v36, v37, v27
.LBB6_10892:                            ;   in Loop: Header=BB6_10651 Depth=3
	s_or_b32 exec_lo, exec_lo, s15
	s_delay_alu instid0(VALU_DEP_1) | instskip(SKIP_1) | instid1(VALU_DEP_1)
	v_dual_add_f32 v26, v26, v36 :: v_dual_mov_b32 v151, 0x80
	s_mov_b32 s15, exec_lo
	v_and_b32_e32 v27, 0x7f800000, v26
	s_delay_alu instid0(VALU_DEP_1)
	v_cmpx_ne_u32_e32 0x7f800000, v27
	s_cbranch_execz .LBB6_10900
; %bb.10893:                            ;   in Loop: Header=BB6_10651 Depth=3
	v_mov_b32_e32 v151, 0
	s_mov_b32 s34, exec_lo
	v_cmpx_ne_u32_e32 0, v26
	s_cbranch_execz .LBB6_10899
; %bb.10894:                            ;   in Loop: Header=BB6_10651 Depth=3
	v_bfe_u32 v27, v26, 23, 8
	s_delay_alu instid0(VALU_DEP_1) | instskip(SKIP_1) | instid1(VALU_DEP_2)
	v_sub_nc_u32_e32 v37, 0x70, v27
	v_cmp_gt_u32_e32 vcc_lo, 0x71, v27
	v_dual_cndmask_b32 v37, 0, v37 :: v_dual_and_b32 v36, 0x7fffff, v26
	s_delay_alu instid0(VALU_DEP_1) | instskip(SKIP_2) | instid1(VALU_DEP_4)
	v_or_b32_e32 v38, 0x800000, v36
	v_cmp_eq_u32_e32 vcc_lo, 0, v27
	v_add_nc_u32_e32 v27, 0xffffff91, v27
	v_cndmask_b32_e64 v37, v37, 0x6f, vcc_lo
	s_delay_alu instid0(VALU_DEP_4) | instskip(NEXT) | instid1(VALU_DEP_3)
	v_cndmask_b32_e32 v36, v38, v36, vcc_lo
	v_cndmask_b32_e64 v27, v27, 0xffffff92, vcc_lo
	s_delay_alu instid0(VALU_DEP_3) | instskip(NEXT) | instid1(VALU_DEP_3)
	v_lshl_add_u32 v38, 0x200000, v37, -1
	v_lshrrev_b32_e32 v39, v37, v36
	v_lshlrev_b32_e64 v49, v37, 0x100000
	s_delay_alu instid0(VALU_DEP_4) | instskip(NEXT) | instid1(VALU_DEP_4)
	v_add_nc_u32_e32 v37, v37, v27
	v_and_b32_e32 v36, v38, v36
	s_delay_alu instid0(VALU_DEP_4) | instskip(NEXT) | instid1(VALU_DEP_2)
	v_bfe_u32 v48, v39, 21, 1
	v_cmp_eq_u32_e64 s14, v36, v49
	s_delay_alu instid0(VALU_DEP_2) | instskip(NEXT) | instid1(VALU_DEP_1)
	v_add_nc_u32_e32 v38, -1, v48
	v_cndmask_b32_e64 v36, 0, v38, s14
	v_lshrrev_b32_e32 v38, 23, v39
	s_mov_b32 s14, exec_lo
	s_delay_alu instid0(VALU_DEP_2) | instskip(NEXT) | instid1(VALU_DEP_2)
	v_add_nc_u32_e32 v36, v36, v39
	v_xor_b32_e32 v38, 1, v38
	s_delay_alu instid0(VALU_DEP_2) | instskip(NEXT) | instid1(VALU_DEP_1)
	v_and_b32_e32 v27, 0x1fffff, v36
	v_add_nc_u32_e32 v36, v27, v39
                                        ; implicit-def: $vgpr27
	s_delay_alu instid0(VALU_DEP_3)
	v_cmpx_ne_u32_e64 v37, v38
	s_xor_b32 s14, exec_lo, s14
; %bb.10895:                            ;   in Loop: Header=BB6_10651 Depth=3
	s_delay_alu instid0(VALU_DEP_2) | instskip(SKIP_2) | instid1(VALU_DEP_2)
	v_cmp_lt_u32_e32 vcc_lo, 0xffffff, v36
	v_sub_nc_u32_e32 v27, v37, v38
	v_cndmask_b32_e64 v37, 0, 1, vcc_lo
	v_add_co_ci_u32_e32 v27, vcc_lo, 0, v27, vcc_lo
	s_delay_alu instid0(VALU_DEP_2)
	v_lshrrev_b32_e32 v36, v37, v36
; %bb.10896:                            ;   in Loop: Header=BB6_10651 Depth=3
	s_and_not1_saveexec_b32 s14, s14
; %bb.10897:                            ;   in Loop: Header=BB6_10651 Depth=3
	s_delay_alu instid0(VALU_DEP_1)
	v_bfe_u32 v27, v36, 23, 1
; %bb.10898:                            ;   in Loop: Header=BB6_10651 Depth=3
	s_or_b32 exec_lo, exec_lo, s14
	v_lshrrev_b32_e32 v36, 21, v36
	s_delay_alu instid0(VALU_DEP_2) | instskip(SKIP_2) | instid1(VALU_DEP_2)
	v_cmp_gt_i32_e32 vcc_lo, 32, v27
	v_min_i32_e32 v37, 31, v27
	v_lshrrev_b32_e32 v26, 24, v26
	v_dual_cndmask_b32 v36, 3, v36 :: v_dual_lshlrev_b32 v37, 2, v37
	s_delay_alu instid0(VALU_DEP_2) | instskip(NEXT) | instid1(VALU_DEP_2)
	v_and_b32_e32 v26, 0x80, v26
	v_or_b32_e32 v27, v27, v36
	s_delay_alu instid0(VALU_DEP_1) | instskip(SKIP_1) | instid1(VALU_DEP_1)
	v_cmp_ne_u32_e32 vcc_lo, 0, v27
	v_and_b32_e32 v38, 3, v36
	v_or3_b32 v26, v37, v26, v38
	s_delay_alu instid0(VALU_DEP_1)
	v_cndmask_b32_e32 v151, 0, v26, vcc_lo
.LBB6_10899:                            ;   in Loop: Header=BB6_10651 Depth=3
	s_or_b32 exec_lo, exec_lo, s34
.LBB6_10900:                            ;   in Loop: Header=BB6_10651 Depth=3
	s_delay_alu instid0(SALU_CYCLE_1) | instskip(SKIP_3) | instid1(VALU_DEP_1)
	s_or_b32 exec_lo, exec_lo, s15
	v_and_b32_e32 v27, 0xff, v161
	s_mov_b32 s14, 0
	s_mov_b32 s34, exec_lo
                                        ; implicit-def: $sgpr15
	v_cmpx_lt_i16_e32 0x7f, v27
	s_xor_b32 s34, exec_lo, s34
	s_cbranch_execnz .LBB6_11199
; %bb.10901:                            ;   in Loop: Header=BB6_10651 Depth=3
	s_or_saveexec_b32 s34, s34
	v_mov_b32_e32 v26, s15
	s_xor_b32 exec_lo, exec_lo, s34
	s_cbranch_execnz .LBB6_11202
.LBB6_10902:                            ;   in Loop: Header=BB6_10651 Depth=3
	s_or_b32 exec_lo, exec_lo, s34
	s_and_saveexec_b32 s15, s14
	s_cbranch_execz .LBB6_10904
.LBB6_10903:                            ;   in Loop: Header=BB6_10651 Depth=3
	v_lshlrev_b32_e32 v26, 8, v161
	s_delay_alu instid0(VALU_DEP_1) | instskip(SKIP_1) | instid1(VALU_DEP_2)
	v_and_b32_e32 v36, 0xff00, v26
	v_bfe_u32 v26, v26, 10, 5
	v_bfe_u32 v37, v36, 8, 2
	s_delay_alu instid0(VALU_DEP_2) | instskip(SKIP_1) | instid1(VALU_DEP_3)
	v_cmp_eq_u32_e32 vcc_lo, 0, v26
	v_lshlrev_b32_e32 v36, 16, v36
	v_clz_i32_u32_e32 v38, v37
	s_delay_alu instid0(VALU_DEP_2) | instskip(NEXT) | instid1(VALU_DEP_2)
	v_and_b32_e32 v36, 0x80000000, v36
	v_min_u32_e32 v38, 32, v38
	s_delay_alu instid0(VALU_DEP_1) | instskip(SKIP_1) | instid1(VALU_DEP_1)
	v_subrev_nc_u32_e32 v39, 29, v38
	v_sub_nc_u32_e32 v38, 30, v38
	v_dual_cndmask_b32 v26, v26, v38 :: v_dual_lshlrev_b32 v27, v39, v27
	s_delay_alu instid0(VALU_DEP_1) | instskip(NEXT) | instid1(VALU_DEP_2)
	v_and_b32_e32 v27, 3, v27
	v_lshl_add_u32 v26, v26, 23, 0x37800000
	s_delay_alu instid0(VALU_DEP_2) | instskip(NEXT) | instid1(VALU_DEP_1)
	v_cndmask_b32_e32 v27, v37, v27, vcc_lo
	v_lshlrev_b32_e32 v27, 21, v27
	s_delay_alu instid0(VALU_DEP_1)
	v_or3_b32 v26, v36, v26, v27
.LBB6_10904:                            ;   in Loop: Header=BB6_10651 Depth=3
	s_or_b32 exec_lo, exec_lo, s15
	v_lshrrev_b32_e32 v27, 24, v8
	s_mov_b32 s14, 0
	s_mov_b32 s34, exec_lo
                                        ; implicit-def: $sgpr15
	s_delay_alu instid0(VALU_DEP_1)
	v_cmpx_lt_i16_e32 0x7f, v27
	s_xor_b32 s34, exec_lo, s34
	s_cbranch_execnz .LBB6_11203
; %bb.10905:                            ;   in Loop: Header=BB6_10651 Depth=3
	s_or_saveexec_b32 s34, s34
	v_mov_b32_e32 v36, s15
	s_xor_b32 exec_lo, exec_lo, s34
	s_cbranch_execnz .LBB6_11206
.LBB6_10906:                            ;   in Loop: Header=BB6_10651 Depth=3
	s_or_b32 exec_lo, exec_lo, s34
	s_and_saveexec_b32 s15, s14
	s_cbranch_execz .LBB6_10908
.LBB6_10907:                            ;   in Loop: Header=BB6_10651 Depth=3
	v_bfe_u32 v36, v8, 24, 2
	s_delay_alu instid0(VALU_DEP_1) | instskip(NEXT) | instid1(VALU_DEP_1)
	v_clz_i32_u32_e32 v37, v36
	v_min_u32_e32 v37, 32, v37
	s_delay_alu instid0(VALU_DEP_1) | instskip(SKIP_1) | instid1(VALU_DEP_2)
	v_subrev_nc_u32_e32 v38, 29, v37
	v_sub_nc_u32_e32 v37, 30, v37
	v_lshlrev_b32_e32 v27, v38, v27
	v_bfe_u32 v38, v8, 26, 5
	v_and_b32_e32 v8, 0x80000000, v8
	s_delay_alu instid0(VALU_DEP_3) | instskip(NEXT) | instid1(VALU_DEP_3)
	v_and_b32_e32 v27, 3, v27
	v_cmp_eq_u32_e32 vcc_lo, 0, v38
	v_cndmask_b32_e32 v37, v38, v37, vcc_lo
	s_delay_alu instid0(VALU_DEP_3) | instskip(NEXT) | instid1(VALU_DEP_2)
	v_cndmask_b32_e32 v27, v36, v27, vcc_lo
	v_lshl_add_u32 v36, v37, 23, 0x37800000
	s_delay_alu instid0(VALU_DEP_2) | instskip(NEXT) | instid1(VALU_DEP_1)
	v_lshlrev_b32_e32 v27, 21, v27
	v_or3_b32 v36, v8, v36, v27
.LBB6_10908:                            ;   in Loop: Header=BB6_10651 Depth=3
	s_or_b32 exec_lo, exec_lo, s15
	s_delay_alu instid0(VALU_DEP_1) | instskip(NEXT) | instid1(VALU_DEP_1)
	v_add_f32_e32 v26, v26, v36
	v_and_b32_e32 v8, 0x7f800000, v26
	s_delay_alu instid0(VALU_DEP_1)
	v_cmp_ne_u32_e32 vcc_lo, 0x7f800000, v8
	v_mov_b32_e32 v8, 0x80
	s_and_saveexec_b32 s15, vcc_lo
	s_cbranch_execz .LBB6_10916
; %bb.10909:                            ;   in Loop: Header=BB6_10651 Depth=3
	v_mov_b32_e32 v8, 0
	s_mov_b32 s34, exec_lo
	v_cmpx_ne_u32_e32 0, v26
	s_cbranch_execz .LBB6_10915
; %bb.10910:                            ;   in Loop: Header=BB6_10651 Depth=3
	v_bfe_u32 v8, v26, 23, 8
	s_delay_alu instid0(VALU_DEP_1) | instskip(SKIP_1) | instid1(VALU_DEP_2)
	v_sub_nc_u32_e32 v36, 0x70, v8
	v_cmp_gt_u32_e32 vcc_lo, 0x71, v8
	v_dual_cndmask_b32 v36, 0, v36 :: v_dual_and_b32 v27, 0x7fffff, v26
	s_delay_alu instid0(VALU_DEP_1) | instskip(SKIP_2) | instid1(VALU_DEP_4)
	v_or_b32_e32 v37, 0x800000, v27
	v_cmp_eq_u32_e32 vcc_lo, 0, v8
	v_add_nc_u32_e32 v8, 0xffffff91, v8
	v_cndmask_b32_e64 v36, v36, 0x6f, vcc_lo
	s_delay_alu instid0(VALU_DEP_4) | instskip(NEXT) | instid1(VALU_DEP_3)
	v_cndmask_b32_e32 v27, v37, v27, vcc_lo
	v_cndmask_b32_e64 v8, v8, 0xffffff92, vcc_lo
	s_delay_alu instid0(VALU_DEP_3) | instskip(NEXT) | instid1(VALU_DEP_3)
	v_lshl_add_u32 v37, 0x200000, v36, -1
	v_lshrrev_b32_e32 v38, v36, v27
	v_lshlrev_b32_e64 v48, v36, 0x100000
	s_delay_alu instid0(VALU_DEP_4) | instskip(NEXT) | instid1(VALU_DEP_4)
	v_add_nc_u32_e32 v36, v36, v8
	v_and_b32_e32 v27, v37, v27
	s_delay_alu instid0(VALU_DEP_4) | instskip(NEXT) | instid1(VALU_DEP_2)
	v_bfe_u32 v39, v38, 21, 1
	v_cmp_eq_u32_e64 s14, v27, v48
	s_delay_alu instid0(VALU_DEP_2) | instskip(NEXT) | instid1(VALU_DEP_1)
	v_add_nc_u32_e32 v37, -1, v39
	v_cndmask_b32_e64 v27, 0, v37, s14
	v_lshrrev_b32_e32 v37, 23, v38
	s_mov_b32 s14, exec_lo
	s_delay_alu instid0(VALU_DEP_2) | instskip(NEXT) | instid1(VALU_DEP_2)
	v_add_nc_u32_e32 v27, v27, v38
	v_xor_b32_e32 v37, 1, v37
	s_delay_alu instid0(VALU_DEP_2) | instskip(NEXT) | instid1(VALU_DEP_1)
	v_and_b32_e32 v8, 0x1fffff, v27
	v_add_nc_u32_e32 v27, v8, v38
                                        ; implicit-def: $vgpr8
	s_delay_alu instid0(VALU_DEP_3)
	v_cmpx_ne_u32_e64 v36, v37
	s_xor_b32 s14, exec_lo, s14
; %bb.10911:                            ;   in Loop: Header=BB6_10651 Depth=3
	s_delay_alu instid0(VALU_DEP_2) | instskip(SKIP_2) | instid1(VALU_DEP_2)
	v_cmp_lt_u32_e32 vcc_lo, 0xffffff, v27
	v_sub_nc_u32_e32 v8, v36, v37
	v_cndmask_b32_e64 v36, 0, 1, vcc_lo
	v_add_co_ci_u32_e32 v8, vcc_lo, 0, v8, vcc_lo
	s_delay_alu instid0(VALU_DEP_2)
	v_lshrrev_b32_e32 v27, v36, v27
; %bb.10912:                            ;   in Loop: Header=BB6_10651 Depth=3
	s_and_not1_saveexec_b32 s14, s14
; %bb.10913:                            ;   in Loop: Header=BB6_10651 Depth=3
	s_delay_alu instid0(VALU_DEP_1)
	v_bfe_u32 v8, v27, 23, 1
; %bb.10914:                            ;   in Loop: Header=BB6_10651 Depth=3
	s_or_b32 exec_lo, exec_lo, s14
	v_lshrrev_b32_e32 v27, 21, v27
	s_delay_alu instid0(VALU_DEP_2) | instskip(SKIP_2) | instid1(VALU_DEP_2)
	v_cmp_gt_i32_e32 vcc_lo, 32, v8
	v_lshrrev_b32_e32 v26, 24, v26
	v_min_i32_e32 v36, 31, v8
	v_dual_cndmask_b32 v27, 3, v27 :: v_dual_and_b32 v26, 0x80, v26
	s_delay_alu instid0(VALU_DEP_2) | instskip(NEXT) | instid1(VALU_DEP_2)
	v_lshlrev_b32_e32 v36, 2, v36
	v_or_b32_e32 v8, v8, v27
	s_delay_alu instid0(VALU_DEP_1) | instskip(SKIP_1) | instid1(VALU_DEP_1)
	v_cmp_ne_u32_e32 vcc_lo, 0, v8
	v_and_b32_e32 v37, 3, v27
	v_or3_b32 v26, v36, v26, v37
	s_delay_alu instid0(VALU_DEP_1)
	v_cndmask_b32_e32 v8, 0, v26, vcc_lo
.LBB6_10915:                            ;   in Loop: Header=BB6_10651 Depth=3
	s_or_b32 exec_lo, exec_lo, s34
.LBB6_10916:                            ;   in Loop: Header=BB6_10651 Depth=3
	s_delay_alu instid0(SALU_CYCLE_1) | instskip(SKIP_3) | instid1(VALU_DEP_1)
	s_or_b32 exec_lo, exec_lo, s15
	v_or_b32_e32 v26, v163, v160
	s_mov_b32 s14, 0
	s_mov_b32 s34, exec_lo
                                        ; implicit-def: $sgpr15
	v_and_b32_e32 v36, 0xff, v26
	s_delay_alu instid0(VALU_DEP_1)
	v_cmpx_lt_i16_e32 0x7f, v36
	s_xor_b32 s34, exec_lo, s34
	s_cbranch_execnz .LBB6_11207
; %bb.10917:                            ;   in Loop: Header=BB6_10651 Depth=3
	s_or_saveexec_b32 s34, s34
	v_mov_b32_e32 v27, s15
	s_xor_b32 exec_lo, exec_lo, s34
	s_cbranch_execnz .LBB6_11210
.LBB6_10918:                            ;   in Loop: Header=BB6_10651 Depth=3
	s_or_b32 exec_lo, exec_lo, s34
	s_and_saveexec_b32 s15, s14
	s_cbranch_execz .LBB6_10920
.LBB6_10919:                            ;   in Loop: Header=BB6_10651 Depth=3
	v_bfe_u32 v38, v26, 2, 5
	v_lshlrev_b32_e32 v39, 24, v26
	s_delay_alu instid0(VALU_DEP_2) | instskip(SKIP_1) | instid1(VALU_DEP_1)
	v_cmp_eq_u32_e32 vcc_lo, 0, v38
	v_and_b32_e32 v27, 3, v26
	v_clz_i32_u32_e32 v36, v27
	s_delay_alu instid0(VALU_DEP_1) | instskip(NEXT) | instid1(VALU_DEP_1)
	v_min_u32_e32 v36, 32, v36
	v_subrev_nc_u32_e32 v37, 29, v36
	v_sub_nc_u32_e32 v36, 30, v36
	s_delay_alu instid0(VALU_DEP_1) | instskip(NEXT) | instid1(VALU_DEP_1)
	v_dual_cndmask_b32 v36, v38, v36 :: v_dual_lshlrev_b32 v37, v37, v26
	v_and_b32_e32 v37, 3, v37
	s_delay_alu instid0(VALU_DEP_2) | instskip(NEXT) | instid1(VALU_DEP_2)
	v_lshl_add_u32 v36, v36, 23, 0x37800000
	v_cndmask_b32_e32 v27, v27, v37, vcc_lo
	v_and_b32_e32 v37, 0x80000000, v39
	s_delay_alu instid0(VALU_DEP_2) | instskip(NEXT) | instid1(VALU_DEP_1)
	v_lshlrev_b32_e32 v27, 21, v27
	v_or3_b32 v27, v37, v36, v27
.LBB6_10920:                            ;   in Loop: Header=BB6_10651 Depth=3
	s_or_b32 exec_lo, exec_lo, s15
	v_and_b32_e32 v37, 0xff, v9
	s_mov_b32 s14, 0
	s_mov_b32 s34, exec_lo
                                        ; implicit-def: $sgpr15
	s_delay_alu instid0(VALU_DEP_1)
	v_cmpx_lt_i16_e32 0x7f, v37
	s_xor_b32 s34, exec_lo, s34
	s_cbranch_execnz .LBB6_11211
; %bb.10921:                            ;   in Loop: Header=BB6_10651 Depth=3
	s_or_saveexec_b32 s34, s34
	v_mov_b32_e32 v36, s15
	s_xor_b32 exec_lo, exec_lo, s34
	s_cbranch_execnz .LBB6_11214
.LBB6_10922:                            ;   in Loop: Header=BB6_10651 Depth=3
	s_or_b32 exec_lo, exec_lo, s34
	s_and_saveexec_b32 s15, s14
	s_cbranch_execz .LBB6_10924
.LBB6_10923:                            ;   in Loop: Header=BB6_10651 Depth=3
	v_and_b32_e32 v36, 3, v9
	v_bfe_u32 v39, v9, 2, 5
	v_lshlrev_b32_e32 v48, 24, v9
	s_delay_alu instid0(VALU_DEP_3) | instskip(NEXT) | instid1(VALU_DEP_3)
	v_clz_i32_u32_e32 v37, v36
	v_cmp_eq_u32_e32 vcc_lo, 0, v39
	s_delay_alu instid0(VALU_DEP_2) | instskip(NEXT) | instid1(VALU_DEP_1)
	v_min_u32_e32 v37, 32, v37
	v_subrev_nc_u32_e32 v38, 29, v37
	v_sub_nc_u32_e32 v37, 30, v37
	s_delay_alu instid0(VALU_DEP_2) | instskip(NEXT) | instid1(VALU_DEP_1)
	v_lshlrev_b32_e32 v38, v38, v9
	v_dual_cndmask_b32 v37, v39, v37 :: v_dual_and_b32 v38, 3, v38
	s_delay_alu instid0(VALU_DEP_1) | instskip(NEXT) | instid1(VALU_DEP_2)
	v_lshl_add_u32 v37, v37, 23, 0x37800000
	v_cndmask_b32_e32 v36, v36, v38, vcc_lo
	v_and_b32_e32 v38, 0x80000000, v48
	s_delay_alu instid0(VALU_DEP_2) | instskip(NEXT) | instid1(VALU_DEP_1)
	v_lshlrev_b32_e32 v36, 21, v36
	v_or3_b32 v36, v38, v37, v36
.LBB6_10924:                            ;   in Loop: Header=BB6_10651 Depth=3
	s_or_b32 exec_lo, exec_lo, s15
	s_delay_alu instid0(VALU_DEP_1) | instskip(SKIP_1) | instid1(VALU_DEP_1)
	v_dual_add_f32 v27, v27, v36 :: v_dual_mov_b32 v132, 0x80
	s_mov_b32 s15, exec_lo
	v_and_b32_e32 v36, 0x7f800000, v27
	s_delay_alu instid0(VALU_DEP_1)
	v_cmpx_ne_u32_e32 0x7f800000, v36
	s_cbranch_execz .LBB6_10932
; %bb.10925:                            ;   in Loop: Header=BB6_10651 Depth=3
	v_mov_b32_e32 v132, 0
	s_mov_b32 s34, exec_lo
	v_cmpx_ne_u32_e32 0, v27
	s_cbranch_execz .LBB6_10931
; %bb.10926:                            ;   in Loop: Header=BB6_10651 Depth=3
	v_bfe_u32 v36, v27, 23, 8
	s_delay_alu instid0(VALU_DEP_1) | instskip(SKIP_1) | instid1(VALU_DEP_2)
	v_sub_nc_u32_e32 v38, 0x70, v36
	v_cmp_gt_u32_e32 vcc_lo, 0x71, v36
	v_dual_cndmask_b32 v38, 0, v38 :: v_dual_and_b32 v37, 0x7fffff, v27
	s_delay_alu instid0(VALU_DEP_1) | instskip(SKIP_2) | instid1(VALU_DEP_4)
	v_or_b32_e32 v39, 0x800000, v37
	v_cmp_eq_u32_e32 vcc_lo, 0, v36
	v_add_nc_u32_e32 v36, 0xffffff91, v36
	v_cndmask_b32_e64 v38, v38, 0x6f, vcc_lo
	s_delay_alu instid0(VALU_DEP_4) | instskip(NEXT) | instid1(VALU_DEP_3)
	v_cndmask_b32_e32 v37, v39, v37, vcc_lo
	v_cndmask_b32_e64 v36, v36, 0xffffff92, vcc_lo
	s_delay_alu instid0(VALU_DEP_3) | instskip(NEXT) | instid1(VALU_DEP_3)
	v_lshl_add_u32 v39, 0x200000, v38, -1
	v_lshrrev_b32_e32 v48, v38, v37
	v_lshlrev_b32_e64 v50, v38, 0x100000
	s_delay_alu instid0(VALU_DEP_4) | instskip(NEXT) | instid1(VALU_DEP_4)
	v_add_nc_u32_e32 v38, v38, v36
	v_and_b32_e32 v37, v39, v37
	s_delay_alu instid0(VALU_DEP_4) | instskip(NEXT) | instid1(VALU_DEP_2)
	v_bfe_u32 v49, v48, 21, 1
	v_cmp_eq_u32_e64 s14, v37, v50
	s_delay_alu instid0(VALU_DEP_2) | instskip(NEXT) | instid1(VALU_DEP_1)
	v_add_nc_u32_e32 v39, -1, v49
	v_cndmask_b32_e64 v37, 0, v39, s14
	v_lshrrev_b32_e32 v39, 23, v48
	s_mov_b32 s14, exec_lo
	s_delay_alu instid0(VALU_DEP_2) | instskip(NEXT) | instid1(VALU_DEP_2)
	v_add_nc_u32_e32 v37, v37, v48
	v_xor_b32_e32 v39, 1, v39
	s_delay_alu instid0(VALU_DEP_2) | instskip(NEXT) | instid1(VALU_DEP_1)
	v_and_b32_e32 v36, 0x1fffff, v37
	v_add_nc_u32_e32 v37, v36, v48
                                        ; implicit-def: $vgpr36
	s_delay_alu instid0(VALU_DEP_3)
	v_cmpx_ne_u32_e64 v38, v39
	s_xor_b32 s14, exec_lo, s14
; %bb.10927:                            ;   in Loop: Header=BB6_10651 Depth=3
	s_delay_alu instid0(VALU_DEP_2) | instskip(SKIP_2) | instid1(VALU_DEP_2)
	v_cmp_lt_u32_e32 vcc_lo, 0xffffff, v37
	v_sub_nc_u32_e32 v36, v38, v39
	v_cndmask_b32_e64 v38, 0, 1, vcc_lo
	v_add_co_ci_u32_e32 v36, vcc_lo, 0, v36, vcc_lo
	s_delay_alu instid0(VALU_DEP_2)
	v_lshrrev_b32_e32 v37, v38, v37
; %bb.10928:                            ;   in Loop: Header=BB6_10651 Depth=3
	s_and_not1_saveexec_b32 s14, s14
; %bb.10929:                            ;   in Loop: Header=BB6_10651 Depth=3
	s_delay_alu instid0(VALU_DEP_1)
	v_bfe_u32 v36, v37, 23, 1
; %bb.10930:                            ;   in Loop: Header=BB6_10651 Depth=3
	s_or_b32 exec_lo, exec_lo, s14
	v_lshrrev_b32_e32 v37, 21, v37
	s_delay_alu instid0(VALU_DEP_2) | instskip(SKIP_2) | instid1(VALU_DEP_2)
	v_cmp_gt_i32_e32 vcc_lo, 32, v36
	v_min_i32_e32 v38, 31, v36
	v_lshrrev_b32_e32 v27, 24, v27
	v_dual_cndmask_b32 v37, 3, v37 :: v_dual_lshlrev_b32 v38, 2, v38
	s_delay_alu instid0(VALU_DEP_2) | instskip(NEXT) | instid1(VALU_DEP_2)
	v_and_b32_e32 v27, 0x80, v27
	v_or_b32_e32 v36, v36, v37
	s_delay_alu instid0(VALU_DEP_1) | instskip(SKIP_1) | instid1(VALU_DEP_1)
	v_cmp_ne_u32_e32 vcc_lo, 0, v36
	v_and_b32_e32 v39, 3, v37
	v_or3_b32 v27, v38, v27, v39
	s_delay_alu instid0(VALU_DEP_1)
	v_cndmask_b32_e32 v132, 0, v27, vcc_lo
.LBB6_10931:                            ;   in Loop: Header=BB6_10651 Depth=3
	s_or_b32 exec_lo, exec_lo, s34
.LBB6_10932:                            ;   in Loop: Header=BB6_10651 Depth=3
	s_delay_alu instid0(SALU_CYCLE_1) | instskip(SKIP_3) | instid1(VALU_DEP_1)
	s_or_b32 exec_lo, exec_lo, s15
	v_lshrrev_b16 v36, 8, v26
	s_mov_b32 s14, 0
	s_mov_b32 s34, exec_lo
                                        ; implicit-def: $sgpr15
	v_cmpx_lt_i16_e32 0x7f, v36
	s_xor_b32 s34, exec_lo, s34
	s_cbranch_execnz .LBB6_11215
; %bb.10933:                            ;   in Loop: Header=BB6_10651 Depth=3
	s_or_saveexec_b32 s34, s34
	v_mov_b32_e32 v27, s15
	s_xor_b32 exec_lo, exec_lo, s34
	s_cbranch_execnz .LBB6_11218
.LBB6_10934:                            ;   in Loop: Header=BB6_10651 Depth=3
	s_or_b32 exec_lo, exec_lo, s34
	s_and_saveexec_b32 s15, s14
	s_cbranch_execz .LBB6_10936
.LBB6_10935:                            ;   in Loop: Header=BB6_10651 Depth=3
	v_and_b32_e32 v27, 0xffff, v36
	s_delay_alu instid0(VALU_DEP_1) | instskip(NEXT) | instid1(VALU_DEP_1)
	v_and_b32_e32 v37, 3, v27
	v_clz_i32_u32_e32 v38, v37
	s_delay_alu instid0(VALU_DEP_1) | instskip(NEXT) | instid1(VALU_DEP_1)
	v_min_u32_e32 v38, 32, v38
	v_subrev_nc_u32_e32 v39, 29, v38
	v_sub_nc_u32_e32 v38, 30, v38
	s_delay_alu instid0(VALU_DEP_2) | instskip(SKIP_1) | instid1(VALU_DEP_2)
	v_lshlrev_b32_e32 v39, v39, v27
	v_bfe_u32 v27, v27, 2, 5
	v_and_b32_e32 v39, 3, v39
	s_delay_alu instid0(VALU_DEP_2) | instskip(SKIP_1) | instid1(VALU_DEP_1)
	v_cmp_eq_u32_e32 vcc_lo, 0, v27
	v_dual_cndmask_b32 v27, v27, v38 :: v_dual_lshlrev_b32 v36, 24, v36
	v_dual_cndmask_b32 v37, v37, v39 :: v_dual_and_b32 v36, 0x80000000, v36
	s_delay_alu instid0(VALU_DEP_2) | instskip(NEXT) | instid1(VALU_DEP_2)
	v_lshl_add_u32 v27, v27, 23, 0x37800000
	v_lshlrev_b32_e32 v37, 21, v37
	s_delay_alu instid0(VALU_DEP_1)
	v_or3_b32 v27, v36, v27, v37
.LBB6_10936:                            ;   in Loop: Header=BB6_10651 Depth=3
	s_or_b32 exec_lo, exec_lo, s15
	v_lshrrev_b16 v36, 8, v9
	s_mov_b32 s14, 0
	s_mov_b32 s34, exec_lo
                                        ; implicit-def: $sgpr15
	s_delay_alu instid0(VALU_DEP_1)
	v_cmpx_lt_i16_e32 0x7f, v36
	s_xor_b32 s34, exec_lo, s34
	s_cbranch_execnz .LBB6_11219
; %bb.10937:                            ;   in Loop: Header=BB6_10651 Depth=3
	s_or_saveexec_b32 s34, s34
	v_mov_b32_e32 v37, s15
	s_xor_b32 exec_lo, exec_lo, s34
	s_cbranch_execnz .LBB6_11222
.LBB6_10938:                            ;   in Loop: Header=BB6_10651 Depth=3
	s_or_b32 exec_lo, exec_lo, s34
	s_and_saveexec_b32 s15, s14
	s_cbranch_execz .LBB6_10940
.LBB6_10939:                            ;   in Loop: Header=BB6_10651 Depth=3
	v_and_b32_e32 v37, 0xffff, v36
	v_lshlrev_b32_e32 v36, 24, v36
	s_delay_alu instid0(VALU_DEP_2) | instskip(NEXT) | instid1(VALU_DEP_2)
	v_and_b32_e32 v38, 3, v37
	v_and_b32_e32 v36, 0x80000000, v36
	s_delay_alu instid0(VALU_DEP_2) | instskip(NEXT) | instid1(VALU_DEP_1)
	v_clz_i32_u32_e32 v39, v38
	v_min_u32_e32 v39, 32, v39
	s_delay_alu instid0(VALU_DEP_1) | instskip(SKIP_1) | instid1(VALU_DEP_2)
	v_subrev_nc_u32_e32 v48, 29, v39
	v_sub_nc_u32_e32 v39, 30, v39
	v_lshlrev_b32_e32 v48, v48, v37
	v_bfe_u32 v37, v37, 2, 5
	s_delay_alu instid0(VALU_DEP_2) | instskip(NEXT) | instid1(VALU_DEP_2)
	v_and_b32_e32 v48, 3, v48
	v_cmp_eq_u32_e32 vcc_lo, 0, v37
	s_delay_alu instid0(VALU_DEP_2) | instskip(NEXT) | instid1(VALU_DEP_1)
	v_dual_cndmask_b32 v37, v37, v39 :: v_dual_cndmask_b32 v38, v38, v48
	v_lshl_add_u32 v37, v37, 23, 0x37800000
	s_delay_alu instid0(VALU_DEP_2) | instskip(NEXT) | instid1(VALU_DEP_1)
	v_lshlrev_b32_e32 v38, 21, v38
	v_or3_b32 v37, v36, v37, v38
.LBB6_10940:                            ;   in Loop: Header=BB6_10651 Depth=3
	s_or_b32 exec_lo, exec_lo, s15
	s_delay_alu instid0(VALU_DEP_1) | instskip(SKIP_2) | instid1(VALU_DEP_2)
	v_add_f32_e32 v27, v27, v37
	v_mov_b32_e32 v115, 0x8000
	s_mov_b32 s15, exec_lo
	v_and_b32_e32 v36, 0x7f800000, v27
	s_delay_alu instid0(VALU_DEP_1)
	v_cmpx_ne_u32_e32 0x7f800000, v36
	s_cbranch_execz .LBB6_10948
; %bb.10941:                            ;   in Loop: Header=BB6_10651 Depth=3
	v_mov_b32_e32 v115, 0
	s_mov_b32 s34, exec_lo
	v_cmpx_ne_u32_e32 0, v27
	s_cbranch_execz .LBB6_10947
; %bb.10942:                            ;   in Loop: Header=BB6_10651 Depth=3
	v_bfe_u32 v36, v27, 23, 8
	s_delay_alu instid0(VALU_DEP_1) | instskip(SKIP_1) | instid1(VALU_DEP_2)
	v_sub_nc_u32_e32 v38, 0x70, v36
	v_cmp_gt_u32_e32 vcc_lo, 0x71, v36
	v_dual_cndmask_b32 v38, 0, v38 :: v_dual_and_b32 v37, 0x7fffff, v27
	s_delay_alu instid0(VALU_DEP_1) | instskip(SKIP_2) | instid1(VALU_DEP_4)
	v_or_b32_e32 v39, 0x800000, v37
	v_cmp_eq_u32_e32 vcc_lo, 0, v36
	v_add_nc_u32_e32 v36, 0xffffff91, v36
	v_cndmask_b32_e64 v38, v38, 0x6f, vcc_lo
	s_delay_alu instid0(VALU_DEP_4) | instskip(NEXT) | instid1(VALU_DEP_3)
	v_cndmask_b32_e32 v37, v39, v37, vcc_lo
	v_cndmask_b32_e64 v36, v36, 0xffffff92, vcc_lo
	s_delay_alu instid0(VALU_DEP_3) | instskip(NEXT) | instid1(VALU_DEP_3)
	v_lshl_add_u32 v39, 0x200000, v38, -1
	v_lshrrev_b32_e32 v48, v38, v37
	v_lshlrev_b32_e64 v50, v38, 0x100000
	s_delay_alu instid0(VALU_DEP_4) | instskip(NEXT) | instid1(VALU_DEP_4)
	v_add_nc_u32_e32 v38, v38, v36
	v_and_b32_e32 v37, v39, v37
	s_delay_alu instid0(VALU_DEP_4) | instskip(NEXT) | instid1(VALU_DEP_2)
	v_bfe_u32 v49, v48, 21, 1
	v_cmp_eq_u32_e64 s14, v37, v50
	s_delay_alu instid0(VALU_DEP_2) | instskip(NEXT) | instid1(VALU_DEP_1)
	v_add_nc_u32_e32 v39, -1, v49
	v_cndmask_b32_e64 v37, 0, v39, s14
	v_lshrrev_b32_e32 v39, 23, v48
	s_mov_b32 s14, exec_lo
	s_delay_alu instid0(VALU_DEP_2) | instskip(NEXT) | instid1(VALU_DEP_2)
	v_add_nc_u32_e32 v37, v37, v48
	v_xor_b32_e32 v39, 1, v39
	s_delay_alu instid0(VALU_DEP_2) | instskip(NEXT) | instid1(VALU_DEP_1)
	v_and_b32_e32 v36, 0x1fffff, v37
	v_add_nc_u32_e32 v37, v36, v48
                                        ; implicit-def: $vgpr36
	s_delay_alu instid0(VALU_DEP_3)
	v_cmpx_ne_u32_e64 v38, v39
	s_xor_b32 s14, exec_lo, s14
; %bb.10943:                            ;   in Loop: Header=BB6_10651 Depth=3
	s_delay_alu instid0(VALU_DEP_2) | instskip(SKIP_2) | instid1(VALU_DEP_2)
	v_cmp_lt_u32_e32 vcc_lo, 0xffffff, v37
	v_sub_nc_u32_e32 v36, v38, v39
	v_cndmask_b32_e64 v38, 0, 1, vcc_lo
	v_add_co_ci_u32_e32 v36, vcc_lo, 0, v36, vcc_lo
	s_delay_alu instid0(VALU_DEP_2)
	v_lshrrev_b32_e32 v37, v38, v37
; %bb.10944:                            ;   in Loop: Header=BB6_10651 Depth=3
	s_and_not1_saveexec_b32 s14, s14
; %bb.10945:                            ;   in Loop: Header=BB6_10651 Depth=3
	s_delay_alu instid0(VALU_DEP_1)
	v_bfe_u32 v36, v37, 23, 1
; %bb.10946:                            ;   in Loop: Header=BB6_10651 Depth=3
	s_or_b32 exec_lo, exec_lo, s14
	v_lshrrev_b32_e32 v37, 21, v37
	s_delay_alu instid0(VALU_DEP_2) | instskip(SKIP_2) | instid1(VALU_DEP_2)
	v_cmp_gt_i32_e32 vcc_lo, 32, v36
	v_min_i32_e32 v38, 31, v36
	v_lshrrev_b32_e32 v27, 24, v27
	v_dual_cndmask_b32 v37, 3, v37 :: v_dual_lshlrev_b32 v38, 2, v38
	s_delay_alu instid0(VALU_DEP_2) | instskip(NEXT) | instid1(VALU_DEP_2)
	v_and_b32_e32 v27, 0x80, v27
	v_or_b32_e32 v36, v36, v37
	v_and_b32_e32 v39, 3, v37
	s_delay_alu instid0(VALU_DEP_2) | instskip(SKIP_1) | instid1(VALU_DEP_1)
	v_cmp_ne_u32_e32 vcc_lo, 0, v36
	v_and_b32_e32 v38, 0xfc, v38
	v_or3_b32 v27, v27, v38, v39
	s_delay_alu instid0(VALU_DEP_1) | instskip(NEXT) | instid1(VALU_DEP_1)
	v_lshlrev_b32_e32 v27, 8, v27
	v_cndmask_b32_e32 v115, 0, v27, vcc_lo
.LBB6_10947:                            ;   in Loop: Header=BB6_10651 Depth=3
	s_or_b32 exec_lo, exec_lo, s34
.LBB6_10948:                            ;   in Loop: Header=BB6_10651 Depth=3
	s_delay_alu instid0(SALU_CYCLE_1) | instskip(SKIP_3) | instid1(VALU_DEP_1)
	s_or_b32 exec_lo, exec_lo, s15
	v_or_b32_e32 v36, v162, v129
	s_mov_b32 s14, 0
	s_mov_b32 s34, exec_lo
                                        ; implicit-def: $sgpr15
	v_and_b32_e32 v37, 0xff, v36
	s_delay_alu instid0(VALU_DEP_1)
	v_cmpx_lt_i16_e32 0x7f, v37
	s_xor_b32 s34, exec_lo, s34
	s_cbranch_execnz .LBB6_11223
; %bb.10949:                            ;   in Loop: Header=BB6_10651 Depth=3
	s_or_saveexec_b32 s34, s34
	v_mov_b32_e32 v27, s15
	s_xor_b32 exec_lo, exec_lo, s34
	s_cbranch_execnz .LBB6_11226
.LBB6_10950:                            ;   in Loop: Header=BB6_10651 Depth=3
	s_or_b32 exec_lo, exec_lo, s34
	v_lshl_or_b32 v26, v36, 16, v26
	s_and_saveexec_b32 s15, s14
	s_cbranch_execz .LBB6_10952
.LBB6_10951:                            ;   in Loop: Header=BB6_10651 Depth=3
	s_delay_alu instid0(VALU_DEP_1) | instskip(SKIP_2) | instid1(VALU_DEP_3)
	v_bfe_u32 v27, v26, 16, 2
	v_lshrrev_b32_e32 v37, 16, v26
	v_lshlrev_b32_e32 v39, 8, v26
	v_clz_i32_u32_e32 v36, v27
	s_delay_alu instid0(VALU_DEP_1) | instskip(NEXT) | instid1(VALU_DEP_1)
	v_min_u32_e32 v36, 32, v36
	v_subrev_nc_u32_e32 v38, 29, v36
	v_sub_nc_u32_e32 v36, 30, v36
	s_delay_alu instid0(VALU_DEP_2) | instskip(SKIP_1) | instid1(VALU_DEP_1)
	v_lshlrev_b32_e32 v37, v38, v37
	v_bfe_u32 v38, v26, 18, 5
	v_cmp_eq_u32_e32 vcc_lo, 0, v38
	s_delay_alu instid0(VALU_DEP_3) | instskip(NEXT) | instid1(VALU_DEP_1)
	v_dual_cndmask_b32 v36, v38, v36 :: v_dual_and_b32 v37, 3, v37
	v_cndmask_b32_e32 v27, v27, v37, vcc_lo
	v_and_b32_e32 v37, 0x80000000, v39
	s_delay_alu instid0(VALU_DEP_3) | instskip(NEXT) | instid1(VALU_DEP_3)
	v_lshl_add_u32 v36, v36, 23, 0x37800000
	v_lshlrev_b32_e32 v27, 21, v27
	s_delay_alu instid0(VALU_DEP_1)
	v_or3_b32 v27, v37, v36, v27
.LBB6_10952:                            ;   in Loop: Header=BB6_10651 Depth=3
	s_or_b32 exec_lo, exec_lo, s15
	v_lshrrev_b32_e32 v36, 16, v9
	s_mov_b32 s14, 0
	s_mov_b32 s34, exec_lo
                                        ; implicit-def: $sgpr15
	s_delay_alu instid0(VALU_DEP_1) | instskip(NEXT) | instid1(VALU_DEP_1)
	v_and_b32_e32 v38, 0xff, v36
	v_cmpx_lt_i16_e32 0x7f, v38
	s_xor_b32 s34, exec_lo, s34
	s_cbranch_execnz .LBB6_11227
; %bb.10953:                            ;   in Loop: Header=BB6_10651 Depth=3
	s_or_saveexec_b32 s34, s34
	v_mov_b32_e32 v37, s15
	s_xor_b32 exec_lo, exec_lo, s34
	s_cbranch_execnz .LBB6_11230
.LBB6_10954:                            ;   in Loop: Header=BB6_10651 Depth=3
	s_or_b32 exec_lo, exec_lo, s34
	s_and_saveexec_b32 s15, s14
	s_cbranch_execz .LBB6_10956
.LBB6_10955:                            ;   in Loop: Header=BB6_10651 Depth=3
	v_bfe_u32 v37, v9, 16, 2
	v_lshlrev_b32_e32 v48, 8, v9
	s_delay_alu instid0(VALU_DEP_2) | instskip(NEXT) | instid1(VALU_DEP_1)
	v_clz_i32_u32_e32 v38, v37
	v_min_u32_e32 v38, 32, v38
	s_delay_alu instid0(VALU_DEP_1) | instskip(SKIP_1) | instid1(VALU_DEP_2)
	v_subrev_nc_u32_e32 v39, 29, v38
	v_sub_nc_u32_e32 v38, 30, v38
	v_lshlrev_b32_e32 v36, v39, v36
	v_bfe_u32 v39, v9, 18, 5
	s_delay_alu instid0(VALU_DEP_2) | instskip(NEXT) | instid1(VALU_DEP_2)
	v_and_b32_e32 v36, 3, v36
	v_cmp_eq_u32_e32 vcc_lo, 0, v39
	v_cndmask_b32_e32 v38, v39, v38, vcc_lo
	s_delay_alu instid0(VALU_DEP_3) | instskip(SKIP_1) | instid1(VALU_DEP_3)
	v_cndmask_b32_e32 v36, v37, v36, vcc_lo
	v_and_b32_e32 v37, 0x80000000, v48
	v_lshl_add_u32 v38, v38, 23, 0x37800000
	s_delay_alu instid0(VALU_DEP_3) | instskip(NEXT) | instid1(VALU_DEP_1)
	v_lshlrev_b32_e32 v36, 21, v36
	v_or3_b32 v37, v37, v38, v36
.LBB6_10956:                            ;   in Loop: Header=BB6_10651 Depth=3
	s_or_b32 exec_lo, exec_lo, s15
	s_delay_alu instid0(VALU_DEP_1) | instskip(SKIP_2) | instid1(VALU_DEP_2)
	v_add_f32_e32 v27, v27, v37
	v_mov_b32_e32 v129, 0x80
	s_mov_b32 s15, exec_lo
	v_and_b32_e32 v36, 0x7f800000, v27
	s_delay_alu instid0(VALU_DEP_1)
	v_cmpx_ne_u32_e32 0x7f800000, v36
	s_cbranch_execz .LBB6_10964
; %bb.10957:                            ;   in Loop: Header=BB6_10651 Depth=3
	v_mov_b32_e32 v129, 0
	s_mov_b32 s34, exec_lo
	v_cmpx_ne_u32_e32 0, v27
	s_cbranch_execz .LBB6_10963
; %bb.10958:                            ;   in Loop: Header=BB6_10651 Depth=3
	v_bfe_u32 v36, v27, 23, 8
	s_delay_alu instid0(VALU_DEP_1) | instskip(SKIP_1) | instid1(VALU_DEP_2)
	v_sub_nc_u32_e32 v38, 0x70, v36
	v_cmp_gt_u32_e32 vcc_lo, 0x71, v36
	v_dual_cndmask_b32 v38, 0, v38 :: v_dual_and_b32 v37, 0x7fffff, v27
	s_delay_alu instid0(VALU_DEP_1) | instskip(SKIP_2) | instid1(VALU_DEP_4)
	v_or_b32_e32 v39, 0x800000, v37
	v_cmp_eq_u32_e32 vcc_lo, 0, v36
	v_add_nc_u32_e32 v36, 0xffffff91, v36
	v_cndmask_b32_e64 v38, v38, 0x6f, vcc_lo
	s_delay_alu instid0(VALU_DEP_4) | instskip(NEXT) | instid1(VALU_DEP_3)
	v_cndmask_b32_e32 v37, v39, v37, vcc_lo
	v_cndmask_b32_e64 v36, v36, 0xffffff92, vcc_lo
	s_delay_alu instid0(VALU_DEP_3) | instskip(NEXT) | instid1(VALU_DEP_3)
	v_lshl_add_u32 v39, 0x200000, v38, -1
	v_lshrrev_b32_e32 v48, v38, v37
	v_lshlrev_b32_e64 v50, v38, 0x100000
	s_delay_alu instid0(VALU_DEP_4) | instskip(NEXT) | instid1(VALU_DEP_4)
	v_add_nc_u32_e32 v38, v38, v36
	v_and_b32_e32 v37, v39, v37
	s_delay_alu instid0(VALU_DEP_4) | instskip(NEXT) | instid1(VALU_DEP_2)
	v_bfe_u32 v49, v48, 21, 1
	v_cmp_eq_u32_e64 s14, v37, v50
	s_delay_alu instid0(VALU_DEP_2) | instskip(NEXT) | instid1(VALU_DEP_1)
	v_add_nc_u32_e32 v39, -1, v49
	v_cndmask_b32_e64 v37, 0, v39, s14
	v_lshrrev_b32_e32 v39, 23, v48
	s_mov_b32 s14, exec_lo
	s_delay_alu instid0(VALU_DEP_2) | instskip(NEXT) | instid1(VALU_DEP_2)
	v_add_nc_u32_e32 v37, v37, v48
	v_xor_b32_e32 v39, 1, v39
	s_delay_alu instid0(VALU_DEP_2) | instskip(NEXT) | instid1(VALU_DEP_1)
	v_and_b32_e32 v36, 0x1fffff, v37
	v_add_nc_u32_e32 v37, v36, v48
                                        ; implicit-def: $vgpr36
	s_delay_alu instid0(VALU_DEP_3)
	v_cmpx_ne_u32_e64 v38, v39
	s_xor_b32 s14, exec_lo, s14
; %bb.10959:                            ;   in Loop: Header=BB6_10651 Depth=3
	s_delay_alu instid0(VALU_DEP_2) | instskip(SKIP_2) | instid1(VALU_DEP_2)
	v_cmp_lt_u32_e32 vcc_lo, 0xffffff, v37
	v_sub_nc_u32_e32 v36, v38, v39
	v_cndmask_b32_e64 v38, 0, 1, vcc_lo
	v_add_co_ci_u32_e32 v36, vcc_lo, 0, v36, vcc_lo
	s_delay_alu instid0(VALU_DEP_2)
	v_lshrrev_b32_e32 v37, v38, v37
; %bb.10960:                            ;   in Loop: Header=BB6_10651 Depth=3
	s_and_not1_saveexec_b32 s14, s14
; %bb.10961:                            ;   in Loop: Header=BB6_10651 Depth=3
	s_delay_alu instid0(VALU_DEP_1)
	v_bfe_u32 v36, v37, 23, 1
; %bb.10962:                            ;   in Loop: Header=BB6_10651 Depth=3
	s_or_b32 exec_lo, exec_lo, s14
	v_lshrrev_b32_e32 v37, 21, v37
	s_delay_alu instid0(VALU_DEP_2) | instskip(SKIP_2) | instid1(VALU_DEP_2)
	v_cmp_gt_i32_e32 vcc_lo, 32, v36
	v_min_i32_e32 v38, 31, v36
	v_lshrrev_b32_e32 v27, 24, v27
	v_dual_cndmask_b32 v37, 3, v37 :: v_dual_lshlrev_b32 v38, 2, v38
	s_delay_alu instid0(VALU_DEP_2) | instskip(NEXT) | instid1(VALU_DEP_2)
	v_and_b32_e32 v27, 0x80, v27
	v_or_b32_e32 v36, v36, v37
	v_and_b32_e32 v39, 3, v37
	s_delay_alu instid0(VALU_DEP_2) | instskip(SKIP_1) | instid1(VALU_DEP_1)
	v_cmp_ne_u32_e32 vcc_lo, 0, v36
	v_and_b32_e32 v38, 0xfc, v38
	v_or3_b32 v27, v38, v27, v39
	s_delay_alu instid0(VALU_DEP_1)
	v_cndmask_b32_e32 v129, 0, v27, vcc_lo
.LBB6_10963:                            ;   in Loop: Header=BB6_10651 Depth=3
	s_or_b32 exec_lo, exec_lo, s34
.LBB6_10964:                            ;   in Loop: Header=BB6_10651 Depth=3
	s_delay_alu instid0(SALU_CYCLE_1) | instskip(SKIP_3) | instid1(VALU_DEP_1)
	s_or_b32 exec_lo, exec_lo, s15
	v_lshrrev_b32_e32 v36, 24, v26
	s_mov_b32 s14, 0
	s_mov_b32 s34, exec_lo
                                        ; implicit-def: $sgpr15
	v_cmpx_lt_i16_e32 0x7f, v36
	s_xor_b32 s34, exec_lo, s34
	s_cbranch_execnz .LBB6_11231
; %bb.10965:                            ;   in Loop: Header=BB6_10651 Depth=3
	s_or_saveexec_b32 s34, s34
	v_mov_b32_e32 v27, s15
	s_xor_b32 exec_lo, exec_lo, s34
	s_cbranch_execnz .LBB6_11234
.LBB6_10966:                            ;   in Loop: Header=BB6_10651 Depth=3
	s_or_b32 exec_lo, exec_lo, s34
	s_and_saveexec_b32 s15, s14
	s_cbranch_execz .LBB6_10968
.LBB6_10967:                            ;   in Loop: Header=BB6_10651 Depth=3
	v_bfe_u32 v27, v26, 24, 2
	s_delay_alu instid0(VALU_DEP_1) | instskip(NEXT) | instid1(VALU_DEP_1)
	v_clz_i32_u32_e32 v37, v27
	v_min_u32_e32 v37, 32, v37
	s_delay_alu instid0(VALU_DEP_1) | instskip(SKIP_1) | instid1(VALU_DEP_2)
	v_subrev_nc_u32_e32 v38, 29, v37
	v_sub_nc_u32_e32 v37, 30, v37
	v_lshlrev_b32_e32 v36, v38, v36
	v_bfe_u32 v38, v26, 26, 5
	v_and_b32_e32 v26, 0x80000000, v26
	s_delay_alu instid0(VALU_DEP_2) | instskip(NEXT) | instid1(VALU_DEP_4)
	v_cmp_eq_u32_e32 vcc_lo, 0, v38
	v_dual_cndmask_b32 v37, v38, v37 :: v_dual_and_b32 v36, 3, v36
	s_delay_alu instid0(VALU_DEP_1) | instskip(NEXT) | instid1(VALU_DEP_2)
	v_cndmask_b32_e32 v27, v27, v36, vcc_lo
	v_lshl_add_u32 v36, v37, 23, 0x37800000
	s_delay_alu instid0(VALU_DEP_2) | instskip(NEXT) | instid1(VALU_DEP_1)
	v_lshlrev_b32_e32 v27, 21, v27
	v_or3_b32 v27, v26, v36, v27
.LBB6_10968:                            ;   in Loop: Header=BB6_10651 Depth=3
	s_or_b32 exec_lo, exec_lo, s15
	v_lshrrev_b32_e32 v26, 24, v9
	s_mov_b32 s14, 0
	s_mov_b32 s34, exec_lo
                                        ; implicit-def: $sgpr15
	s_delay_alu instid0(VALU_DEP_1)
	v_cmpx_lt_i16_e32 0x7f, v26
	s_xor_b32 s34, exec_lo, s34
	s_cbranch_execnz .LBB6_11235
; %bb.10969:                            ;   in Loop: Header=BB6_10651 Depth=3
	s_or_saveexec_b32 s34, s34
	v_mov_b32_e32 v36, s15
	s_xor_b32 exec_lo, exec_lo, s34
	s_cbranch_execnz .LBB6_11238
.LBB6_10970:                            ;   in Loop: Header=BB6_10651 Depth=3
	s_or_b32 exec_lo, exec_lo, s34
	s_and_saveexec_b32 s15, s14
	s_cbranch_execz .LBB6_10972
.LBB6_10971:                            ;   in Loop: Header=BB6_10651 Depth=3
	v_bfe_u32 v36, v9, 24, 2
	s_delay_alu instid0(VALU_DEP_1) | instskip(NEXT) | instid1(VALU_DEP_1)
	v_clz_i32_u32_e32 v37, v36
	v_min_u32_e32 v37, 32, v37
	s_delay_alu instid0(VALU_DEP_1) | instskip(SKIP_1) | instid1(VALU_DEP_2)
	v_subrev_nc_u32_e32 v38, 29, v37
	v_sub_nc_u32_e32 v37, 30, v37
	v_lshlrev_b32_e32 v26, v38, v26
	v_bfe_u32 v38, v9, 26, 5
	v_and_b32_e32 v9, 0x80000000, v9
	s_delay_alu instid0(VALU_DEP_2) | instskip(NEXT) | instid1(VALU_DEP_4)
	v_cmp_eq_u32_e32 vcc_lo, 0, v38
	v_dual_cndmask_b32 v37, v38, v37 :: v_dual_and_b32 v26, 3, v26
	s_delay_alu instid0(VALU_DEP_1) | instskip(NEXT) | instid1(VALU_DEP_2)
	v_cndmask_b32_e32 v26, v36, v26, vcc_lo
	v_lshl_add_u32 v36, v37, 23, 0x37800000
	s_delay_alu instid0(VALU_DEP_2) | instskip(NEXT) | instid1(VALU_DEP_1)
	v_lshlrev_b32_e32 v26, 21, v26
	v_or3_b32 v36, v9, v36, v26
.LBB6_10972:                            ;   in Loop: Header=BB6_10651 Depth=3
	s_or_b32 exec_lo, exec_lo, s15
	s_delay_alu instid0(VALU_DEP_1) | instskip(NEXT) | instid1(VALU_DEP_1)
	v_add_f32_e32 v26, v27, v36
	v_and_b32_e32 v9, 0x7f800000, v26
	s_delay_alu instid0(VALU_DEP_1)
	v_cmp_ne_u32_e32 vcc_lo, 0x7f800000, v9
	v_mov_b32_e32 v9, 0x8000
	s_and_saveexec_b32 s15, vcc_lo
	s_cbranch_execz .LBB6_10980
; %bb.10973:                            ;   in Loop: Header=BB6_10651 Depth=3
	v_mov_b32_e32 v9, 0
	s_mov_b32 s34, exec_lo
	v_cmpx_ne_u32_e32 0, v26
	s_cbranch_execz .LBB6_10979
; %bb.10974:                            ;   in Loop: Header=BB6_10651 Depth=3
	v_bfe_u32 v9, v26, 23, 8
	s_delay_alu instid0(VALU_DEP_1) | instskip(SKIP_1) | instid1(VALU_DEP_2)
	v_sub_nc_u32_e32 v36, 0x70, v9
	v_cmp_gt_u32_e32 vcc_lo, 0x71, v9
	v_dual_cndmask_b32 v36, 0, v36 :: v_dual_and_b32 v27, 0x7fffff, v26
	s_delay_alu instid0(VALU_DEP_1) | instskip(SKIP_2) | instid1(VALU_DEP_4)
	v_or_b32_e32 v37, 0x800000, v27
	v_cmp_eq_u32_e32 vcc_lo, 0, v9
	v_add_nc_u32_e32 v9, 0xffffff91, v9
	v_cndmask_b32_e64 v36, v36, 0x6f, vcc_lo
	s_delay_alu instid0(VALU_DEP_2) | instskip(SKIP_1) | instid1(VALU_DEP_3)
	v_cndmask_b32_e64 v9, v9, 0xffffff92, vcc_lo
	v_cndmask_b32_e32 v27, v37, v27, vcc_lo
	v_lshl_add_u32 v37, 0x200000, v36, -1
	v_lshlrev_b32_e64 v48, v36, 0x100000
	s_delay_alu instid0(VALU_DEP_3) | instskip(SKIP_1) | instid1(VALU_DEP_4)
	v_lshrrev_b32_e32 v38, v36, v27
	v_add_nc_u32_e32 v36, v36, v9
	v_and_b32_e32 v27, v37, v27
	s_delay_alu instid0(VALU_DEP_3) | instskip(NEXT) | instid1(VALU_DEP_2)
	v_bfe_u32 v39, v38, 21, 1
	v_cmp_eq_u32_e64 s14, v27, v48
	s_delay_alu instid0(VALU_DEP_2) | instskip(NEXT) | instid1(VALU_DEP_1)
	v_add_nc_u32_e32 v37, -1, v39
	v_cndmask_b32_e64 v27, 0, v37, s14
	v_lshrrev_b32_e32 v37, 23, v38
	s_mov_b32 s14, exec_lo
	s_delay_alu instid0(VALU_DEP_2) | instskip(NEXT) | instid1(VALU_DEP_2)
	v_add_nc_u32_e32 v27, v27, v38
	v_xor_b32_e32 v37, 1, v37
	s_delay_alu instid0(VALU_DEP_2) | instskip(NEXT) | instid1(VALU_DEP_1)
	v_and_b32_e32 v9, 0x1fffff, v27
	v_add_nc_u32_e32 v27, v9, v38
                                        ; implicit-def: $vgpr9
	s_delay_alu instid0(VALU_DEP_3)
	v_cmpx_ne_u32_e64 v36, v37
	s_xor_b32 s14, exec_lo, s14
; %bb.10975:                            ;   in Loop: Header=BB6_10651 Depth=3
	s_delay_alu instid0(VALU_DEP_2) | instskip(SKIP_2) | instid1(VALU_DEP_2)
	v_cmp_lt_u32_e32 vcc_lo, 0xffffff, v27
	v_sub_nc_u32_e32 v9, v36, v37
	v_cndmask_b32_e64 v36, 0, 1, vcc_lo
	v_add_co_ci_u32_e32 v9, vcc_lo, 0, v9, vcc_lo
	s_delay_alu instid0(VALU_DEP_2)
	v_lshrrev_b32_e32 v27, v36, v27
; %bb.10976:                            ;   in Loop: Header=BB6_10651 Depth=3
	s_and_not1_saveexec_b32 s14, s14
; %bb.10977:                            ;   in Loop: Header=BB6_10651 Depth=3
	s_delay_alu instid0(VALU_DEP_1)
	v_bfe_u32 v9, v27, 23, 1
; %bb.10978:                            ;   in Loop: Header=BB6_10651 Depth=3
	s_or_b32 exec_lo, exec_lo, s14
	v_lshrrev_b32_e32 v27, 21, v27
	s_delay_alu instid0(VALU_DEP_2) | instskip(SKIP_2) | instid1(VALU_DEP_2)
	v_cmp_gt_i32_e32 vcc_lo, 32, v9
	v_min_i32_e32 v36, 31, v9
	v_lshrrev_b32_e32 v26, 24, v26
	v_dual_cndmask_b32 v27, 3, v27 :: v_dual_lshlrev_b32 v36, 2, v36
	s_delay_alu instid0(VALU_DEP_2) | instskip(NEXT) | instid1(VALU_DEP_2)
	v_and_b32_e32 v26, 0x80, v26
	v_or_b32_e32 v9, v9, v27
	v_and_b32_e32 v37, 3, v27
	s_delay_alu instid0(VALU_DEP_2) | instskip(SKIP_1) | instid1(VALU_DEP_1)
	v_cmp_ne_u32_e32 vcc_lo, 0, v9
	v_and_b32_e32 v36, 0xfc, v36
	v_or3_b32 v26, v26, v36, v37
	s_delay_alu instid0(VALU_DEP_1) | instskip(NEXT) | instid1(VALU_DEP_1)
	v_lshlrev_b32_e32 v26, 8, v26
	v_cndmask_b32_e32 v9, 0, v26, vcc_lo
.LBB6_10979:                            ;   in Loop: Header=BB6_10651 Depth=3
	s_or_b32 exec_lo, exec_lo, s34
.LBB6_10980:                            ;   in Loop: Header=BB6_10651 Depth=3
	s_delay_alu instid0(SALU_CYCLE_1) | instskip(SKIP_3) | instid1(VALU_DEP_1)
	s_or_b32 exec_lo, exec_lo, s15
	v_and_b32_e32 v27, 0xff, v144
	s_mov_b32 s14, 0
	s_mov_b32 s34, exec_lo
                                        ; implicit-def: $sgpr15
	v_cmpx_lt_i16_e32 0x7f, v27
	s_xor_b32 s34, exec_lo, s34
	s_cbranch_execnz .LBB6_11239
; %bb.10981:                            ;   in Loop: Header=BB6_10651 Depth=3
	s_or_saveexec_b32 s34, s34
	v_mov_b32_e32 v26, s15
	s_xor_b32 exec_lo, exec_lo, s34
	s_cbranch_execnz .LBB6_11242
.LBB6_10982:                            ;   in Loop: Header=BB6_10651 Depth=3
	s_or_b32 exec_lo, exec_lo, s34
	s_and_saveexec_b32 s15, s14
	s_cbranch_execz .LBB6_10984
.LBB6_10983:                            ;   in Loop: Header=BB6_10651 Depth=3
	v_bfe_u32 v37, v144, 2, 5
	v_lshlrev_b32_e32 v38, 24, v144
	s_delay_alu instid0(VALU_DEP_2) | instskip(SKIP_1) | instid1(VALU_DEP_1)
	v_cmp_eq_u32_e32 vcc_lo, 0, v37
	v_and_b32_e32 v26, 3, v144
	v_clz_i32_u32_e32 v27, v26
	s_delay_alu instid0(VALU_DEP_1) | instskip(NEXT) | instid1(VALU_DEP_1)
	v_min_u32_e32 v27, 32, v27
	v_subrev_nc_u32_e32 v36, 29, v27
	v_sub_nc_u32_e32 v27, 30, v27
	s_delay_alu instid0(VALU_DEP_1) | instskip(NEXT) | instid1(VALU_DEP_1)
	v_dual_cndmask_b32 v27, v37, v27 :: v_dual_lshlrev_b32 v36, v36, v144
	v_and_b32_e32 v36, 3, v36
	s_delay_alu instid0(VALU_DEP_2) | instskip(NEXT) | instid1(VALU_DEP_2)
	v_lshl_add_u32 v27, v27, 23, 0x37800000
	v_cndmask_b32_e32 v26, v26, v36, vcc_lo
	v_and_b32_e32 v36, 0x80000000, v38
	s_delay_alu instid0(VALU_DEP_2) | instskip(NEXT) | instid1(VALU_DEP_1)
	v_lshlrev_b32_e32 v26, 21, v26
	v_or3_b32 v26, v36, v27, v26
.LBB6_10984:                            ;   in Loop: Header=BB6_10651 Depth=3
	s_or_b32 exec_lo, exec_lo, s15
	v_and_b32_e32 v36, 0xff, v10
	s_mov_b32 s14, 0
	s_mov_b32 s34, exec_lo
                                        ; implicit-def: $sgpr15
	s_delay_alu instid0(VALU_DEP_1)
	v_cmpx_lt_i16_e32 0x7f, v36
	s_xor_b32 s34, exec_lo, s34
	s_cbranch_execnz .LBB6_11243
; %bb.10985:                            ;   in Loop: Header=BB6_10651 Depth=3
	s_or_saveexec_b32 s34, s34
	v_mov_b32_e32 v27, s15
	s_xor_b32 exec_lo, exec_lo, s34
	s_cbranch_execnz .LBB6_11246
.LBB6_10986:                            ;   in Loop: Header=BB6_10651 Depth=3
	s_or_b32 exec_lo, exec_lo, s34
	s_and_saveexec_b32 s15, s14
	s_cbranch_execz .LBB6_10988
.LBB6_10987:                            ;   in Loop: Header=BB6_10651 Depth=3
	v_bfe_u32 v38, v10, 2, 5
	v_lshlrev_b32_e32 v39, 24, v10
	s_delay_alu instid0(VALU_DEP_2) | instskip(SKIP_1) | instid1(VALU_DEP_1)
	v_cmp_eq_u32_e32 vcc_lo, 0, v38
	v_and_b32_e32 v27, 3, v10
	v_clz_i32_u32_e32 v36, v27
	s_delay_alu instid0(VALU_DEP_1) | instskip(NEXT) | instid1(VALU_DEP_1)
	v_min_u32_e32 v36, 32, v36
	v_subrev_nc_u32_e32 v37, 29, v36
	v_sub_nc_u32_e32 v36, 30, v36
	s_delay_alu instid0(VALU_DEP_1) | instskip(NEXT) | instid1(VALU_DEP_1)
	v_dual_cndmask_b32 v36, v38, v36 :: v_dual_lshlrev_b32 v37, v37, v10
	v_and_b32_e32 v37, 3, v37
	s_delay_alu instid0(VALU_DEP_2) | instskip(NEXT) | instid1(VALU_DEP_2)
	v_lshl_add_u32 v36, v36, 23, 0x37800000
	v_cndmask_b32_e32 v27, v27, v37, vcc_lo
	v_and_b32_e32 v37, 0x80000000, v39
	s_delay_alu instid0(VALU_DEP_2) | instskip(NEXT) | instid1(VALU_DEP_1)
	v_lshlrev_b32_e32 v27, 21, v27
	v_or3_b32 v27, v37, v36, v27
.LBB6_10988:                            ;   in Loop: Header=BB6_10651 Depth=3
	s_or_b32 exec_lo, exec_lo, s15
	s_delay_alu instid0(VALU_DEP_1) | instskip(SKIP_2) | instid1(VALU_DEP_2)
	v_add_f32_e32 v26, v26, v27
	v_mov_b32_e32 v36, 0x80
	s_mov_b32 s15, exec_lo
	v_and_b32_e32 v27, 0x7f800000, v26
	s_delay_alu instid0(VALU_DEP_1)
	v_cmpx_ne_u32_e32 0x7f800000, v27
	s_cbranch_execz .LBB6_10996
; %bb.10989:                            ;   in Loop: Header=BB6_10651 Depth=3
	v_mov_b32_e32 v36, 0
	s_mov_b32 s34, exec_lo
	v_cmpx_ne_u32_e32 0, v26
	s_cbranch_execz .LBB6_10995
; %bb.10990:                            ;   in Loop: Header=BB6_10651 Depth=3
	v_bfe_u32 v27, v26, 23, 8
	s_delay_alu instid0(VALU_DEP_1) | instskip(SKIP_1) | instid1(VALU_DEP_2)
	v_sub_nc_u32_e32 v37, 0x70, v27
	v_cmp_gt_u32_e32 vcc_lo, 0x71, v27
	v_dual_cndmask_b32 v37, 0, v37 :: v_dual_and_b32 v36, 0x7fffff, v26
	s_delay_alu instid0(VALU_DEP_1) | instskip(SKIP_2) | instid1(VALU_DEP_4)
	v_or_b32_e32 v38, 0x800000, v36
	v_cmp_eq_u32_e32 vcc_lo, 0, v27
	v_add_nc_u32_e32 v27, 0xffffff91, v27
	v_cndmask_b32_e64 v37, v37, 0x6f, vcc_lo
	s_delay_alu instid0(VALU_DEP_4) | instskip(NEXT) | instid1(VALU_DEP_3)
	v_cndmask_b32_e32 v36, v38, v36, vcc_lo
	v_cndmask_b32_e64 v27, v27, 0xffffff92, vcc_lo
	s_delay_alu instid0(VALU_DEP_3) | instskip(NEXT) | instid1(VALU_DEP_3)
	v_lshl_add_u32 v38, 0x200000, v37, -1
	v_lshrrev_b32_e32 v39, v37, v36
	v_lshlrev_b32_e64 v49, v37, 0x100000
	s_delay_alu instid0(VALU_DEP_4) | instskip(NEXT) | instid1(VALU_DEP_4)
	v_add_nc_u32_e32 v37, v37, v27
	v_and_b32_e32 v36, v38, v36
	s_delay_alu instid0(VALU_DEP_4) | instskip(NEXT) | instid1(VALU_DEP_2)
	v_bfe_u32 v48, v39, 21, 1
	v_cmp_eq_u32_e64 s14, v36, v49
	s_delay_alu instid0(VALU_DEP_2) | instskip(NEXT) | instid1(VALU_DEP_1)
	v_add_nc_u32_e32 v38, -1, v48
	v_cndmask_b32_e64 v36, 0, v38, s14
	v_lshrrev_b32_e32 v38, 23, v39
	s_mov_b32 s14, exec_lo
	s_delay_alu instid0(VALU_DEP_2) | instskip(NEXT) | instid1(VALU_DEP_2)
	v_add_nc_u32_e32 v36, v36, v39
	v_xor_b32_e32 v38, 1, v38
	s_delay_alu instid0(VALU_DEP_2) | instskip(NEXT) | instid1(VALU_DEP_1)
	v_and_b32_e32 v27, 0x1fffff, v36
	v_add_nc_u32_e32 v36, v27, v39
                                        ; implicit-def: $vgpr27
	s_delay_alu instid0(VALU_DEP_3)
	v_cmpx_ne_u32_e64 v37, v38
	s_xor_b32 s14, exec_lo, s14
; %bb.10991:                            ;   in Loop: Header=BB6_10651 Depth=3
	s_delay_alu instid0(VALU_DEP_2) | instskip(SKIP_2) | instid1(VALU_DEP_2)
	v_cmp_lt_u32_e32 vcc_lo, 0xffffff, v36
	v_sub_nc_u32_e32 v27, v37, v38
	v_cndmask_b32_e64 v37, 0, 1, vcc_lo
	v_add_co_ci_u32_e32 v27, vcc_lo, 0, v27, vcc_lo
	s_delay_alu instid0(VALU_DEP_2)
	v_lshrrev_b32_e32 v36, v37, v36
; %bb.10992:                            ;   in Loop: Header=BB6_10651 Depth=3
	s_and_not1_saveexec_b32 s14, s14
; %bb.10993:                            ;   in Loop: Header=BB6_10651 Depth=3
	s_delay_alu instid0(VALU_DEP_1)
	v_bfe_u32 v27, v36, 23, 1
; %bb.10994:                            ;   in Loop: Header=BB6_10651 Depth=3
	s_or_b32 exec_lo, exec_lo, s14
	v_lshrrev_b32_e32 v36, 21, v36
	s_delay_alu instid0(VALU_DEP_2) | instskip(SKIP_2) | instid1(VALU_DEP_4)
	v_cmp_gt_i32_e32 vcc_lo, 32, v27
	v_lshrrev_b32_e32 v26, 24, v26
	v_min_i32_e32 v37, 31, v27
	v_cndmask_b32_e32 v36, 3, v36, vcc_lo
	s_delay_alu instid0(VALU_DEP_3) | instskip(NEXT) | instid1(VALU_DEP_3)
	v_and_b32_e32 v26, 0x80, v26
	v_lshlrev_b32_e32 v37, 2, v37
	s_delay_alu instid0(VALU_DEP_3) | instskip(SKIP_1) | instid1(VALU_DEP_2)
	v_and_b32_e32 v38, 3, v36
	v_or_b32_e32 v27, v27, v36
	v_or3_b32 v26, v37, v26, v38
	s_delay_alu instid0(VALU_DEP_2) | instskip(NEXT) | instid1(VALU_DEP_2)
	v_cmp_ne_u32_e32 vcc_lo, 0, v27
	v_cndmask_b32_e32 v36, 0, v26, vcc_lo
.LBB6_10995:                            ;   in Loop: Header=BB6_10651 Depth=3
	s_or_b32 exec_lo, exec_lo, s34
.LBB6_10996:                            ;   in Loop: Header=BB6_10651 Depth=3
	s_delay_alu instid0(SALU_CYCLE_1) | instskip(SKIP_3) | instid1(VALU_DEP_1)
	s_or_b32 exec_lo, exec_lo, s15
	v_and_b32_e32 v27, 0xff, v103
	s_mov_b32 s14, 0
	s_mov_b32 s34, exec_lo
                                        ; implicit-def: $sgpr15
	v_cmpx_lt_i16_e32 0x7f, v27
	s_xor_b32 s34, exec_lo, s34
	s_cbranch_execnz .LBB6_11247
; %bb.10997:                            ;   in Loop: Header=BB6_10651 Depth=3
	s_or_saveexec_b32 s34, s34
	v_mov_b32_e32 v26, s15
	s_xor_b32 exec_lo, exec_lo, s34
	s_cbranch_execnz .LBB6_11250
.LBB6_10998:                            ;   in Loop: Header=BB6_10651 Depth=3
	s_or_b32 exec_lo, exec_lo, s34
	s_and_saveexec_b32 s15, s14
	s_cbranch_execz .LBB6_11000
.LBB6_10999:                            ;   in Loop: Header=BB6_10651 Depth=3
	v_and_b32_e32 v26, 3, v103
	v_bfe_u32 v38, v103, 2, 5
	s_delay_alu instid0(VALU_DEP_2) | instskip(NEXT) | instid1(VALU_DEP_2)
	v_clz_i32_u32_e32 v27, v26
	v_cmp_eq_u32_e32 vcc_lo, 0, v38
	s_delay_alu instid0(VALU_DEP_2) | instskip(NEXT) | instid1(VALU_DEP_1)
	v_min_u32_e32 v27, 32, v27
	v_subrev_nc_u32_e32 v37, 29, v27
	v_sub_nc_u32_e32 v27, 30, v27
	s_delay_alu instid0(VALU_DEP_2) | instskip(NEXT) | instid1(VALU_DEP_1)
	v_lshlrev_b32_e32 v37, v37, v103
	v_and_b32_e32 v37, 3, v37
	s_delay_alu instid0(VALU_DEP_1) | instskip(NEXT) | instid1(VALU_DEP_4)
	v_dual_cndmask_b32 v26, v26, v37 :: v_dual_lshlrev_b32 v39, 24, v103
	v_cndmask_b32_e32 v27, v38, v27, vcc_lo
	s_delay_alu instid0(VALU_DEP_2) | instskip(NEXT) | instid1(VALU_DEP_3)
	v_and_b32_e32 v37, 0x80000000, v39
	v_lshlrev_b32_e32 v26, 21, v26
	s_delay_alu instid0(VALU_DEP_3) | instskip(NEXT) | instid1(VALU_DEP_1)
	v_lshl_add_u32 v27, v27, 23, 0x37800000
	v_or3_b32 v26, v37, v27, v26
.LBB6_11000:                            ;   in Loop: Header=BB6_10651 Depth=3
	s_or_b32 exec_lo, exec_lo, s15
	v_lshrrev_b16 v27, 8, v10
	s_mov_b32 s14, 0
	s_mov_b32 s34, exec_lo
                                        ; implicit-def: $sgpr15
	s_delay_alu instid0(VALU_DEP_1)
	v_cmpx_lt_i16_e32 0x7f, v27
	s_xor_b32 s34, exec_lo, s34
	s_cbranch_execnz .LBB6_11251
; %bb.11001:                            ;   in Loop: Header=BB6_10651 Depth=3
	s_or_saveexec_b32 s34, s34
	v_mov_b32_e32 v37, s15
	s_xor_b32 exec_lo, exec_lo, s34
	s_cbranch_execnz .LBB6_11254
.LBB6_11002:                            ;   in Loop: Header=BB6_10651 Depth=3
	s_or_b32 exec_lo, exec_lo, s34
	s_and_saveexec_b32 s15, s14
	s_cbranch_execz .LBB6_11004
.LBB6_11003:                            ;   in Loop: Header=BB6_10651 Depth=3
	v_and_b32_e32 v37, 0xffff, v27
	v_lshlrev_b32_e32 v27, 24, v27
	s_delay_alu instid0(VALU_DEP_2) | instskip(NEXT) | instid1(VALU_DEP_2)
	v_and_b32_e32 v38, 3, v37
	v_and_b32_e32 v27, 0x80000000, v27
	s_delay_alu instid0(VALU_DEP_2) | instskip(NEXT) | instid1(VALU_DEP_1)
	v_clz_i32_u32_e32 v39, v38
	v_min_u32_e32 v39, 32, v39
	s_delay_alu instid0(VALU_DEP_1) | instskip(SKIP_1) | instid1(VALU_DEP_2)
	v_subrev_nc_u32_e32 v48, 29, v39
	v_sub_nc_u32_e32 v39, 30, v39
	v_lshlrev_b32_e32 v48, v48, v37
	v_bfe_u32 v37, v37, 2, 5
	s_delay_alu instid0(VALU_DEP_2) | instskip(NEXT) | instid1(VALU_DEP_2)
	v_and_b32_e32 v48, 3, v48
	v_cmp_eq_u32_e32 vcc_lo, 0, v37
	s_delay_alu instid0(VALU_DEP_2) | instskip(NEXT) | instid1(VALU_DEP_1)
	v_dual_cndmask_b32 v37, v37, v39 :: v_dual_cndmask_b32 v38, v38, v48
	v_lshl_add_u32 v37, v37, 23, 0x37800000
	s_delay_alu instid0(VALU_DEP_2) | instskip(NEXT) | instid1(VALU_DEP_1)
	v_lshlrev_b32_e32 v38, 21, v38
	v_or3_b32 v37, v27, v37, v38
.LBB6_11004:                            ;   in Loop: Header=BB6_10651 Depth=3
	s_or_b32 exec_lo, exec_lo, s15
	s_delay_alu instid0(VALU_DEP_1) | instskip(NEXT) | instid1(VALU_DEP_1)
	v_add_f32_e32 v27, v26, v37
	v_and_b32_e32 v26, 0x7f800000, v27
	s_delay_alu instid0(VALU_DEP_1)
	v_cmp_ne_u32_e32 vcc_lo, 0x7f800000, v26
	v_mov_b32_e32 v26, 0x80
	s_and_saveexec_b32 s15, vcc_lo
	s_cbranch_execz .LBB6_11012
; %bb.11005:                            ;   in Loop: Header=BB6_10651 Depth=3
	v_mov_b32_e32 v26, 0
	s_mov_b32 s34, exec_lo
	v_cmpx_ne_u32_e32 0, v27
	s_cbranch_execz .LBB6_11011
; %bb.11006:                            ;   in Loop: Header=BB6_10651 Depth=3
	v_bfe_u32 v26, v27, 23, 8
	s_delay_alu instid0(VALU_DEP_1) | instskip(SKIP_1) | instid1(VALU_DEP_2)
	v_sub_nc_u32_e32 v38, 0x70, v26
	v_cmp_gt_u32_e32 vcc_lo, 0x71, v26
	v_dual_cndmask_b32 v38, 0, v38 :: v_dual_and_b32 v37, 0x7fffff, v27
	s_delay_alu instid0(VALU_DEP_1) | instskip(SKIP_2) | instid1(VALU_DEP_4)
	v_or_b32_e32 v39, 0x800000, v37
	v_cmp_eq_u32_e32 vcc_lo, 0, v26
	v_add_nc_u32_e32 v26, 0xffffff91, v26
	v_cndmask_b32_e64 v38, v38, 0x6f, vcc_lo
	s_delay_alu instid0(VALU_DEP_4) | instskip(NEXT) | instid1(VALU_DEP_3)
	v_cndmask_b32_e32 v37, v39, v37, vcc_lo
	v_cndmask_b32_e64 v26, v26, 0xffffff92, vcc_lo
	s_delay_alu instid0(VALU_DEP_3) | instskip(NEXT) | instid1(VALU_DEP_3)
	v_lshl_add_u32 v39, 0x200000, v38, -1
	v_lshrrev_b32_e32 v48, v38, v37
	v_lshlrev_b32_e64 v50, v38, 0x100000
	s_delay_alu instid0(VALU_DEP_4) | instskip(NEXT) | instid1(VALU_DEP_4)
	v_add_nc_u32_e32 v38, v38, v26
	v_and_b32_e32 v37, v39, v37
	s_delay_alu instid0(VALU_DEP_4) | instskip(NEXT) | instid1(VALU_DEP_2)
	v_bfe_u32 v49, v48, 21, 1
	v_cmp_eq_u32_e64 s14, v37, v50
	s_delay_alu instid0(VALU_DEP_2) | instskip(NEXT) | instid1(VALU_DEP_1)
	v_add_nc_u32_e32 v39, -1, v49
	v_cndmask_b32_e64 v37, 0, v39, s14
	v_lshrrev_b32_e32 v39, 23, v48
	s_mov_b32 s14, exec_lo
	s_delay_alu instid0(VALU_DEP_2) | instskip(NEXT) | instid1(VALU_DEP_2)
	v_add_nc_u32_e32 v37, v37, v48
	v_xor_b32_e32 v39, 1, v39
	s_delay_alu instid0(VALU_DEP_2) | instskip(NEXT) | instid1(VALU_DEP_1)
	v_and_b32_e32 v26, 0x1fffff, v37
	v_add_nc_u32_e32 v37, v26, v48
                                        ; implicit-def: $vgpr26
	s_delay_alu instid0(VALU_DEP_3)
	v_cmpx_ne_u32_e64 v38, v39
	s_xor_b32 s14, exec_lo, s14
; %bb.11007:                            ;   in Loop: Header=BB6_10651 Depth=3
	s_delay_alu instid0(VALU_DEP_2) | instskip(SKIP_2) | instid1(VALU_DEP_2)
	v_cmp_lt_u32_e32 vcc_lo, 0xffffff, v37
	v_sub_nc_u32_e32 v26, v38, v39
	v_cndmask_b32_e64 v38, 0, 1, vcc_lo
	v_add_co_ci_u32_e32 v26, vcc_lo, 0, v26, vcc_lo
	s_delay_alu instid0(VALU_DEP_2)
	v_lshrrev_b32_e32 v37, v38, v37
; %bb.11008:                            ;   in Loop: Header=BB6_10651 Depth=3
	s_and_not1_saveexec_b32 s14, s14
; %bb.11009:                            ;   in Loop: Header=BB6_10651 Depth=3
	s_delay_alu instid0(VALU_DEP_1)
	v_bfe_u32 v26, v37, 23, 1
; %bb.11010:                            ;   in Loop: Header=BB6_10651 Depth=3
	s_or_b32 exec_lo, exec_lo, s14
	v_lshrrev_b32_e32 v37, 21, v37
	s_delay_alu instid0(VALU_DEP_2) | instskip(SKIP_2) | instid1(VALU_DEP_2)
	v_cmp_gt_i32_e32 vcc_lo, 32, v26
	v_min_i32_e32 v38, 31, v26
	v_lshrrev_b32_e32 v27, 24, v27
	v_dual_cndmask_b32 v37, 3, v37 :: v_dual_lshlrev_b32 v38, 2, v38
	s_delay_alu instid0(VALU_DEP_2) | instskip(NEXT) | instid1(VALU_DEP_2)
	v_and_b32_e32 v27, 0x80, v27
	v_or_b32_e32 v26, v26, v37
	s_delay_alu instid0(VALU_DEP_1) | instskip(SKIP_1) | instid1(VALU_DEP_1)
	v_cmp_ne_u32_e32 vcc_lo, 0, v26
	v_and_b32_e32 v39, 3, v37
	v_or3_b32 v27, v38, v27, v39
	s_delay_alu instid0(VALU_DEP_1)
	v_cndmask_b32_e32 v26, 0, v27, vcc_lo
.LBB6_11011:                            ;   in Loop: Header=BB6_10651 Depth=3
	s_or_b32 exec_lo, exec_lo, s34
.LBB6_11012:                            ;   in Loop: Header=BB6_10651 Depth=3
	s_delay_alu instid0(SALU_CYCLE_1) | instskip(SKIP_3) | instid1(VALU_DEP_1)
	s_or_b32 exec_lo, exec_lo, s15
	v_and_b32_e32 v37, 0xff, v96
	s_mov_b32 s14, 0
	s_mov_b32 s34, exec_lo
                                        ; implicit-def: $sgpr15
	v_cmpx_lt_i16_e32 0x7f, v37
	s_xor_b32 s34, exec_lo, s34
	s_cbranch_execnz .LBB6_11255
; %bb.11013:                            ;   in Loop: Header=BB6_10651 Depth=3
	s_or_saveexec_b32 s34, s34
	v_mov_b32_e32 v27, s15
	s_xor_b32 exec_lo, exec_lo, s34
	s_cbranch_execnz .LBB6_11258
.LBB6_11014:                            ;   in Loop: Header=BB6_10651 Depth=3
	s_or_b32 exec_lo, exec_lo, s34
	s_and_saveexec_b32 s15, s14
	s_cbranch_execz .LBB6_11016
.LBB6_11015:                            ;   in Loop: Header=BB6_10651 Depth=3
	v_and_b32_e32 v27, 3, v96
	v_bfe_u32 v39, v96, 2, 5
	s_delay_alu instid0(VALU_DEP_2) | instskip(NEXT) | instid1(VALU_DEP_2)
	v_clz_i32_u32_e32 v37, v27
	v_cmp_eq_u32_e32 vcc_lo, 0, v39
	s_delay_alu instid0(VALU_DEP_2) | instskip(NEXT) | instid1(VALU_DEP_1)
	v_min_u32_e32 v37, 32, v37
	v_subrev_nc_u32_e32 v38, 29, v37
	v_sub_nc_u32_e32 v37, 30, v37
	s_delay_alu instid0(VALU_DEP_1) | instskip(NEXT) | instid1(VALU_DEP_1)
	v_dual_cndmask_b32 v37, v39, v37 :: v_dual_lshlrev_b32 v38, v38, v96
	v_and_b32_e32 v38, 3, v38
	v_lshlrev_b32_e32 v48, 24, v96
	s_delay_alu instid0(VALU_DEP_3) | instskip(NEXT) | instid1(VALU_DEP_2)
	v_lshl_add_u32 v37, v37, 23, 0x37800000
	v_dual_cndmask_b32 v27, v27, v38 :: v_dual_and_b32 v38, 0x80000000, v48
	s_delay_alu instid0(VALU_DEP_1) | instskip(NEXT) | instid1(VALU_DEP_1)
	v_lshlrev_b32_e32 v27, 21, v27
	v_or3_b32 v27, v38, v37, v27
.LBB6_11016:                            ;   in Loop: Header=BB6_10651 Depth=3
	s_or_b32 exec_lo, exec_lo, s15
	v_lshrrev_b32_e32 v37, 16, v10
	s_mov_b32 s14, 0
	s_mov_b32 s34, exec_lo
                                        ; implicit-def: $sgpr15
	s_delay_alu instid0(VALU_DEP_1) | instskip(NEXT) | instid1(VALU_DEP_1)
	v_and_b32_e32 v39, 0xff, v37
	v_cmpx_lt_i16_e32 0x7f, v39
	s_xor_b32 s34, exec_lo, s34
	s_cbranch_execnz .LBB6_11259
; %bb.11017:                            ;   in Loop: Header=BB6_10651 Depth=3
	s_or_saveexec_b32 s34, s34
	v_mov_b32_e32 v38, s15
	s_xor_b32 exec_lo, exec_lo, s34
	s_cbranch_execnz .LBB6_11262
.LBB6_11018:                            ;   in Loop: Header=BB6_10651 Depth=3
	s_or_b32 exec_lo, exec_lo, s34
	s_and_saveexec_b32 s15, s14
	s_cbranch_execz .LBB6_11020
.LBB6_11019:                            ;   in Loop: Header=BB6_10651 Depth=3
	v_bfe_u32 v38, v10, 16, 2
	v_lshlrev_b32_e32 v49, 8, v10
	s_delay_alu instid0(VALU_DEP_2) | instskip(NEXT) | instid1(VALU_DEP_1)
	v_clz_i32_u32_e32 v39, v38
	v_min_u32_e32 v39, 32, v39
	s_delay_alu instid0(VALU_DEP_1) | instskip(SKIP_1) | instid1(VALU_DEP_2)
	v_subrev_nc_u32_e32 v48, 29, v39
	v_sub_nc_u32_e32 v39, 30, v39
	v_lshlrev_b32_e32 v37, v48, v37
	v_bfe_u32 v48, v10, 18, 5
	s_delay_alu instid0(VALU_DEP_2) | instskip(NEXT) | instid1(VALU_DEP_2)
	v_and_b32_e32 v37, 3, v37
	v_cmp_eq_u32_e32 vcc_lo, 0, v48
	v_cndmask_b32_e32 v39, v48, v39, vcc_lo
	s_delay_alu instid0(VALU_DEP_3) | instskip(SKIP_1) | instid1(VALU_DEP_3)
	v_cndmask_b32_e32 v37, v38, v37, vcc_lo
	v_and_b32_e32 v38, 0x80000000, v49
	v_lshl_add_u32 v39, v39, 23, 0x37800000
	s_delay_alu instid0(VALU_DEP_3) | instskip(NEXT) | instid1(VALU_DEP_1)
	v_lshlrev_b32_e32 v37, 21, v37
	v_or3_b32 v38, v38, v39, v37
.LBB6_11020:                            ;   in Loop: Header=BB6_10651 Depth=3
	s_or_b32 exec_lo, exec_lo, s15
	s_delay_alu instid0(VALU_DEP_1) | instskip(NEXT) | instid1(VALU_DEP_1)
	v_add_f32_e32 v37, v27, v38
	v_and_b32_e32 v27, 0x7f800000, v37
	s_delay_alu instid0(VALU_DEP_1)
	v_cmp_ne_u32_e32 vcc_lo, 0x7f800000, v27
	v_mov_b32_e32 v27, 0x80
	s_and_saveexec_b32 s15, vcc_lo
	s_cbranch_execz .LBB6_11028
; %bb.11021:                            ;   in Loop: Header=BB6_10651 Depth=3
	v_mov_b32_e32 v27, 0
	s_mov_b32 s34, exec_lo
	v_cmpx_ne_u32_e32 0, v37
	s_cbranch_execz .LBB6_11027
; %bb.11022:                            ;   in Loop: Header=BB6_10651 Depth=3
	v_bfe_u32 v27, v37, 23, 8
	s_delay_alu instid0(VALU_DEP_1) | instskip(SKIP_1) | instid1(VALU_DEP_2)
	v_sub_nc_u32_e32 v39, 0x70, v27
	v_cmp_gt_u32_e32 vcc_lo, 0x71, v27
	v_dual_cndmask_b32 v39, 0, v39 :: v_dual_and_b32 v38, 0x7fffff, v37
	s_delay_alu instid0(VALU_DEP_1) | instskip(SKIP_2) | instid1(VALU_DEP_4)
	v_or_b32_e32 v48, 0x800000, v38
	v_cmp_eq_u32_e32 vcc_lo, 0, v27
	v_add_nc_u32_e32 v27, 0xffffff91, v27
	v_cndmask_b32_e64 v39, v39, 0x6f, vcc_lo
	s_delay_alu instid0(VALU_DEP_4) | instskip(NEXT) | instid1(VALU_DEP_3)
	v_cndmask_b32_e32 v38, v48, v38, vcc_lo
	v_cndmask_b32_e64 v27, v27, 0xffffff92, vcc_lo
	s_delay_alu instid0(VALU_DEP_3) | instskip(NEXT) | instid1(VALU_DEP_3)
	v_lshl_add_u32 v48, 0x200000, v39, -1
	v_lshrrev_b32_e32 v49, v39, v38
	v_lshlrev_b32_e64 v51, v39, 0x100000
	s_delay_alu instid0(VALU_DEP_4) | instskip(NEXT) | instid1(VALU_DEP_4)
	v_add_nc_u32_e32 v39, v39, v27
	v_and_b32_e32 v38, v48, v38
	s_delay_alu instid0(VALU_DEP_4) | instskip(NEXT) | instid1(VALU_DEP_2)
	v_bfe_u32 v50, v49, 21, 1
	v_cmp_eq_u32_e64 s14, v38, v51
	s_delay_alu instid0(VALU_DEP_2) | instskip(NEXT) | instid1(VALU_DEP_1)
	v_add_nc_u32_e32 v48, -1, v50
	v_cndmask_b32_e64 v38, 0, v48, s14
	v_lshrrev_b32_e32 v48, 23, v49
	s_mov_b32 s14, exec_lo
	s_delay_alu instid0(VALU_DEP_2) | instskip(NEXT) | instid1(VALU_DEP_2)
	v_add_nc_u32_e32 v38, v38, v49
	v_xor_b32_e32 v48, 1, v48
	s_delay_alu instid0(VALU_DEP_2) | instskip(NEXT) | instid1(VALU_DEP_1)
	v_and_b32_e32 v27, 0x1fffff, v38
	v_add_nc_u32_e32 v38, v27, v49
                                        ; implicit-def: $vgpr27
	s_delay_alu instid0(VALU_DEP_3)
	v_cmpx_ne_u32_e64 v39, v48
	s_xor_b32 s14, exec_lo, s14
; %bb.11023:                            ;   in Loop: Header=BB6_10651 Depth=3
	s_delay_alu instid0(VALU_DEP_2) | instskip(SKIP_2) | instid1(VALU_DEP_2)
	v_cmp_lt_u32_e32 vcc_lo, 0xffffff, v38
	v_sub_nc_u32_e32 v27, v39, v48
	v_cndmask_b32_e64 v39, 0, 1, vcc_lo
	v_add_co_ci_u32_e32 v27, vcc_lo, 0, v27, vcc_lo
	s_delay_alu instid0(VALU_DEP_2)
	v_lshrrev_b32_e32 v38, v39, v38
; %bb.11024:                            ;   in Loop: Header=BB6_10651 Depth=3
	s_and_not1_saveexec_b32 s14, s14
; %bb.11025:                            ;   in Loop: Header=BB6_10651 Depth=3
	s_delay_alu instid0(VALU_DEP_1)
	v_bfe_u32 v27, v38, 23, 1
; %bb.11026:                            ;   in Loop: Header=BB6_10651 Depth=3
	s_or_b32 exec_lo, exec_lo, s14
	v_lshrrev_b32_e32 v38, 21, v38
	s_delay_alu instid0(VALU_DEP_2) | instskip(SKIP_2) | instid1(VALU_DEP_2)
	v_cmp_gt_i32_e32 vcc_lo, 32, v27
	v_lshrrev_b32_e32 v37, 24, v37
	v_min_i32_e32 v39, 31, v27
	v_dual_cndmask_b32 v38, 3, v38 :: v_dual_and_b32 v37, 0x80, v37
	s_delay_alu instid0(VALU_DEP_2) | instskip(NEXT) | instid1(VALU_DEP_2)
	v_lshlrev_b32_e32 v39, 2, v39
	v_or_b32_e32 v27, v27, v38
	s_delay_alu instid0(VALU_DEP_1) | instskip(SKIP_1) | instid1(VALU_DEP_1)
	v_cmp_ne_u32_e32 vcc_lo, 0, v27
	v_and_b32_e32 v48, 3, v38
	v_or3_b32 v37, v39, v37, v48
	s_delay_alu instid0(VALU_DEP_1)
	v_cndmask_b32_e32 v27, 0, v37, vcc_lo
.LBB6_11027:                            ;   in Loop: Header=BB6_10651 Depth=3
	s_or_b32 exec_lo, exec_lo, s34
.LBB6_11028:                            ;   in Loop: Header=BB6_10651 Depth=3
	s_delay_alu instid0(SALU_CYCLE_1) | instskip(SKIP_3) | instid1(VALU_DEP_1)
	s_or_b32 exec_lo, exec_lo, s15
	v_and_b32_e32 v38, 0xff, v83
	s_mov_b32 s14, 0
	s_mov_b32 s34, exec_lo
                                        ; implicit-def: $sgpr15
	v_cmpx_lt_i16_e32 0x7f, v38
	s_xor_b32 s34, exec_lo, s34
	s_cbranch_execnz .LBB6_11263
; %bb.11029:                            ;   in Loop: Header=BB6_10651 Depth=3
	s_or_saveexec_b32 s34, s34
	v_mov_b32_e32 v37, s15
	s_xor_b32 exec_lo, exec_lo, s34
	s_cbranch_execnz .LBB6_11266
.LBB6_11030:                            ;   in Loop: Header=BB6_10651 Depth=3
	s_or_b32 exec_lo, exec_lo, s34
	s_and_saveexec_b32 s15, s14
	s_cbranch_execz .LBB6_11032
.LBB6_11031:                            ;   in Loop: Header=BB6_10651 Depth=3
	v_lshlrev_b32_e32 v37, 8, v83
	s_delay_alu instid0(VALU_DEP_1) | instskip(SKIP_1) | instid1(VALU_DEP_2)
	v_and_b32_e32 v39, 0xff00, v37
	v_bfe_u32 v37, v37, 10, 5
	v_bfe_u32 v48, v39, 8, 2
	s_delay_alu instid0(VALU_DEP_2) | instskip(SKIP_1) | instid1(VALU_DEP_3)
	v_cmp_eq_u32_e32 vcc_lo, 0, v37
	v_lshlrev_b32_e32 v39, 16, v39
	v_clz_i32_u32_e32 v49, v48
	s_delay_alu instid0(VALU_DEP_2) | instskip(NEXT) | instid1(VALU_DEP_2)
	v_and_b32_e32 v39, 0x80000000, v39
	v_min_u32_e32 v49, 32, v49
	s_delay_alu instid0(VALU_DEP_1) | instskip(SKIP_1) | instid1(VALU_DEP_1)
	v_subrev_nc_u32_e32 v50, 29, v49
	v_sub_nc_u32_e32 v49, 30, v49
	v_dual_cndmask_b32 v37, v37, v49 :: v_dual_lshlrev_b32 v38, v50, v38
	s_delay_alu instid0(VALU_DEP_1) | instskip(NEXT) | instid1(VALU_DEP_2)
	v_and_b32_e32 v38, 3, v38
	v_lshl_add_u32 v37, v37, 23, 0x37800000
	s_delay_alu instid0(VALU_DEP_2) | instskip(NEXT) | instid1(VALU_DEP_1)
	v_cndmask_b32_e32 v38, v48, v38, vcc_lo
	v_lshlrev_b32_e32 v38, 21, v38
	s_delay_alu instid0(VALU_DEP_1)
	v_or3_b32 v37, v39, v37, v38
.LBB6_11032:                            ;   in Loop: Header=BB6_10651 Depth=3
	s_or_b32 exec_lo, exec_lo, s15
	v_lshrrev_b32_e32 v38, 24, v10
	s_mov_b32 s14, 0
	s_mov_b32 s34, exec_lo
                                        ; implicit-def: $sgpr15
	s_delay_alu instid0(VALU_DEP_1)
	v_cmpx_lt_i16_e32 0x7f, v38
	s_xor_b32 s34, exec_lo, s34
	s_cbranch_execnz .LBB6_11267
; %bb.11033:                            ;   in Loop: Header=BB6_10651 Depth=3
	s_or_saveexec_b32 s34, s34
	v_mov_b32_e32 v39, s15
	s_xor_b32 exec_lo, exec_lo, s34
	s_cbranch_execnz .LBB6_11270
.LBB6_11034:                            ;   in Loop: Header=BB6_10651 Depth=3
	s_or_b32 exec_lo, exec_lo, s34
	s_and_saveexec_b32 s15, s14
	s_cbranch_execz .LBB6_11036
.LBB6_11035:                            ;   in Loop: Header=BB6_10651 Depth=3
	v_bfe_u32 v39, v10, 24, 2
	s_delay_alu instid0(VALU_DEP_1) | instskip(NEXT) | instid1(VALU_DEP_1)
	v_clz_i32_u32_e32 v48, v39
	v_min_u32_e32 v48, 32, v48
	s_delay_alu instid0(VALU_DEP_1) | instskip(SKIP_1) | instid1(VALU_DEP_2)
	v_subrev_nc_u32_e32 v49, 29, v48
	v_sub_nc_u32_e32 v48, 30, v48
	v_lshlrev_b32_e32 v38, v49, v38
	v_bfe_u32 v49, v10, 26, 5
	v_and_b32_e32 v10, 0x80000000, v10
	s_delay_alu instid0(VALU_DEP_3) | instskip(NEXT) | instid1(VALU_DEP_3)
	v_and_b32_e32 v38, 3, v38
	v_cmp_eq_u32_e32 vcc_lo, 0, v49
	v_cndmask_b32_e32 v48, v49, v48, vcc_lo
	s_delay_alu instid0(VALU_DEP_3) | instskip(NEXT) | instid1(VALU_DEP_2)
	v_cndmask_b32_e32 v38, v39, v38, vcc_lo
	v_lshl_add_u32 v39, v48, 23, 0x37800000
	s_delay_alu instid0(VALU_DEP_2) | instskip(NEXT) | instid1(VALU_DEP_1)
	v_lshlrev_b32_e32 v38, 21, v38
	v_or3_b32 v39, v10, v39, v38
.LBB6_11036:                            ;   in Loop: Header=BB6_10651 Depth=3
	s_or_b32 exec_lo, exec_lo, s15
	s_delay_alu instid0(VALU_DEP_1) | instskip(NEXT) | instid1(VALU_DEP_1)
	v_add_f32_e32 v37, v37, v39
	v_and_b32_e32 v10, 0x7f800000, v37
	s_delay_alu instid0(VALU_DEP_1)
	v_cmp_ne_u32_e32 vcc_lo, 0x7f800000, v10
	v_mov_b32_e32 v10, 0x80
	s_and_saveexec_b32 s15, vcc_lo
	s_cbranch_execz .LBB6_11044
; %bb.11037:                            ;   in Loop: Header=BB6_10651 Depth=3
	v_mov_b32_e32 v10, 0
	s_mov_b32 s34, exec_lo
	v_cmpx_ne_u32_e32 0, v37
	s_cbranch_execz .LBB6_11043
; %bb.11038:                            ;   in Loop: Header=BB6_10651 Depth=3
	v_bfe_u32 v10, v37, 23, 8
	s_delay_alu instid0(VALU_DEP_1) | instskip(SKIP_1) | instid1(VALU_DEP_2)
	v_sub_nc_u32_e32 v39, 0x70, v10
	v_cmp_gt_u32_e32 vcc_lo, 0x71, v10
	v_dual_cndmask_b32 v39, 0, v39 :: v_dual_and_b32 v38, 0x7fffff, v37
	s_delay_alu instid0(VALU_DEP_1) | instskip(SKIP_2) | instid1(VALU_DEP_4)
	v_or_b32_e32 v48, 0x800000, v38
	v_cmp_eq_u32_e32 vcc_lo, 0, v10
	v_add_nc_u32_e32 v10, 0xffffff91, v10
	v_cndmask_b32_e64 v39, v39, 0x6f, vcc_lo
	s_delay_alu instid0(VALU_DEP_4) | instskip(NEXT) | instid1(VALU_DEP_3)
	v_cndmask_b32_e32 v38, v48, v38, vcc_lo
	v_cndmask_b32_e64 v10, v10, 0xffffff92, vcc_lo
	s_delay_alu instid0(VALU_DEP_3) | instskip(NEXT) | instid1(VALU_DEP_3)
	v_lshl_add_u32 v48, 0x200000, v39, -1
	v_lshrrev_b32_e32 v49, v39, v38
	v_lshlrev_b32_e64 v51, v39, 0x100000
	s_delay_alu instid0(VALU_DEP_4) | instskip(NEXT) | instid1(VALU_DEP_4)
	v_add_nc_u32_e32 v39, v39, v10
	v_and_b32_e32 v38, v48, v38
	s_delay_alu instid0(VALU_DEP_4) | instskip(NEXT) | instid1(VALU_DEP_2)
	v_bfe_u32 v50, v49, 21, 1
	v_cmp_eq_u32_e64 s14, v38, v51
	s_delay_alu instid0(VALU_DEP_2) | instskip(NEXT) | instid1(VALU_DEP_1)
	v_add_nc_u32_e32 v48, -1, v50
	v_cndmask_b32_e64 v38, 0, v48, s14
	v_lshrrev_b32_e32 v48, 23, v49
	s_mov_b32 s14, exec_lo
	s_delay_alu instid0(VALU_DEP_2) | instskip(NEXT) | instid1(VALU_DEP_2)
	v_add_nc_u32_e32 v38, v38, v49
	v_xor_b32_e32 v48, 1, v48
	s_delay_alu instid0(VALU_DEP_2) | instskip(NEXT) | instid1(VALU_DEP_1)
	v_and_b32_e32 v10, 0x1fffff, v38
	v_add_nc_u32_e32 v38, v10, v49
                                        ; implicit-def: $vgpr10
	s_delay_alu instid0(VALU_DEP_3)
	v_cmpx_ne_u32_e64 v39, v48
	s_xor_b32 s14, exec_lo, s14
; %bb.11039:                            ;   in Loop: Header=BB6_10651 Depth=3
	s_delay_alu instid0(VALU_DEP_2) | instskip(SKIP_2) | instid1(VALU_DEP_2)
	v_cmp_lt_u32_e32 vcc_lo, 0xffffff, v38
	v_sub_nc_u32_e32 v10, v39, v48
	v_cndmask_b32_e64 v39, 0, 1, vcc_lo
	v_add_co_ci_u32_e32 v10, vcc_lo, 0, v10, vcc_lo
	s_delay_alu instid0(VALU_DEP_2)
	v_lshrrev_b32_e32 v38, v39, v38
; %bb.11040:                            ;   in Loop: Header=BB6_10651 Depth=3
	s_and_not1_saveexec_b32 s14, s14
; %bb.11041:                            ;   in Loop: Header=BB6_10651 Depth=3
	s_delay_alu instid0(VALU_DEP_1)
	v_bfe_u32 v10, v38, 23, 1
; %bb.11042:                            ;   in Loop: Header=BB6_10651 Depth=3
	s_or_b32 exec_lo, exec_lo, s14
	v_lshrrev_b32_e32 v38, 21, v38
	s_delay_alu instid0(VALU_DEP_2) | instskip(SKIP_2) | instid1(VALU_DEP_2)
	v_cmp_gt_i32_e32 vcc_lo, 32, v10
	v_lshrrev_b32_e32 v37, 24, v37
	v_min_i32_e32 v39, 31, v10
	v_dual_cndmask_b32 v38, 3, v38 :: v_dual_and_b32 v37, 0x80, v37
	s_delay_alu instid0(VALU_DEP_1) | instskip(SKIP_1) | instid1(VALU_DEP_2)
	v_or_b32_e32 v10, v10, v38
	v_and_b32_e32 v48, 3, v38
	v_cmp_ne_u32_e32 vcc_lo, 0, v10
	v_lshlrev_b32_e32 v39, 2, v39
	s_delay_alu instid0(VALU_DEP_1) | instskip(NEXT) | instid1(VALU_DEP_1)
	v_or3_b32 v37, v39, v37, v48
	v_cndmask_b32_e32 v10, 0, v37, vcc_lo
.LBB6_11043:                            ;   in Loop: Header=BB6_10651 Depth=3
	s_or_b32 exec_lo, exec_lo, s34
.LBB6_11044:                            ;   in Loop: Header=BB6_10651 Depth=3
	s_delay_alu instid0(SALU_CYCLE_1) | instskip(SKIP_3) | instid1(VALU_DEP_1)
	s_or_b32 exec_lo, exec_lo, s15
	v_or_b32_e32 v38, v133, v82
	s_mov_b32 s14, 0
	s_mov_b32 s34, exec_lo
                                        ; implicit-def: $sgpr15
	v_and_b32_e32 v39, 0xff, v38
	s_delay_alu instid0(VALU_DEP_1)
	v_cmpx_lt_i16_e32 0x7f, v39
	s_xor_b32 s34, exec_lo, s34
	s_cbranch_execnz .LBB6_11271
; %bb.11045:                            ;   in Loop: Header=BB6_10651 Depth=3
	s_or_saveexec_b32 s34, s34
	v_mov_b32_e32 v37, s15
	s_xor_b32 exec_lo, exec_lo, s34
	s_cbranch_execnz .LBB6_11274
.LBB6_11046:                            ;   in Loop: Header=BB6_10651 Depth=3
	s_or_b32 exec_lo, exec_lo, s34
	s_and_saveexec_b32 s15, s14
	s_cbranch_execz .LBB6_11048
.LBB6_11047:                            ;   in Loop: Header=BB6_10651 Depth=3
	v_and_b32_e32 v37, 3, v38
	v_bfe_u32 v49, v38, 2, 5
	s_delay_alu instid0(VALU_DEP_2) | instskip(NEXT) | instid1(VALU_DEP_2)
	v_clz_i32_u32_e32 v39, v37
	v_cmp_eq_u32_e32 vcc_lo, 0, v49
	s_delay_alu instid0(VALU_DEP_2) | instskip(NEXT) | instid1(VALU_DEP_1)
	v_min_u32_e32 v39, 32, v39
	v_subrev_nc_u32_e32 v48, 29, v39
	v_sub_nc_u32_e32 v39, 30, v39
	s_delay_alu instid0(VALU_DEP_1) | instskip(NEXT) | instid1(VALU_DEP_1)
	v_dual_cndmask_b32 v39, v49, v39 :: v_dual_lshlrev_b32 v48, v48, v38
	v_and_b32_e32 v48, 3, v48
	v_lshlrev_b32_e32 v50, 24, v38
	s_delay_alu instid0(VALU_DEP_3) | instskip(NEXT) | instid1(VALU_DEP_2)
	v_lshl_add_u32 v39, v39, 23, 0x37800000
	v_dual_cndmask_b32 v37, v37, v48 :: v_dual_and_b32 v48, 0x80000000, v50
	s_delay_alu instid0(VALU_DEP_1) | instskip(NEXT) | instid1(VALU_DEP_1)
	v_lshlrev_b32_e32 v37, 21, v37
	v_or3_b32 v37, v48, v39, v37
.LBB6_11048:                            ;   in Loop: Header=BB6_10651 Depth=3
	s_or_b32 exec_lo, exec_lo, s15
	v_and_b32_e32 v48, 0xff, v11
	s_mov_b32 s14, 0
	s_mov_b32 s34, exec_lo
                                        ; implicit-def: $sgpr15
	s_delay_alu instid0(VALU_DEP_1)
	v_cmpx_lt_i16_e32 0x7f, v48
	s_xor_b32 s34, exec_lo, s34
	s_cbranch_execnz .LBB6_11275
; %bb.11049:                            ;   in Loop: Header=BB6_10651 Depth=3
	s_or_saveexec_b32 s34, s34
	v_mov_b32_e32 v39, s15
	s_xor_b32 exec_lo, exec_lo, s34
	s_cbranch_execnz .LBB6_11278
.LBB6_11050:                            ;   in Loop: Header=BB6_10651 Depth=3
	s_or_b32 exec_lo, exec_lo, s34
	s_and_saveexec_b32 s15, s14
	s_cbranch_execz .LBB6_11052
.LBB6_11051:                            ;   in Loop: Header=BB6_10651 Depth=3
	v_bfe_u32 v50, v11, 2, 5
	v_lshlrev_b32_e32 v51, 24, v11
	s_delay_alu instid0(VALU_DEP_2) | instskip(SKIP_1) | instid1(VALU_DEP_1)
	v_cmp_eq_u32_e32 vcc_lo, 0, v50
	v_and_b32_e32 v39, 3, v11
	v_clz_i32_u32_e32 v48, v39
	s_delay_alu instid0(VALU_DEP_1) | instskip(NEXT) | instid1(VALU_DEP_1)
	v_min_u32_e32 v48, 32, v48
	v_subrev_nc_u32_e32 v49, 29, v48
	v_sub_nc_u32_e32 v48, 30, v48
	s_delay_alu instid0(VALU_DEP_1) | instskip(NEXT) | instid1(VALU_DEP_1)
	v_dual_cndmask_b32 v48, v50, v48 :: v_dual_lshlrev_b32 v49, v49, v11
	v_and_b32_e32 v49, 3, v49
	s_delay_alu instid0(VALU_DEP_2) | instskip(NEXT) | instid1(VALU_DEP_2)
	v_lshl_add_u32 v48, v48, 23, 0x37800000
	v_cndmask_b32_e32 v39, v39, v49, vcc_lo
	v_and_b32_e32 v49, 0x80000000, v51
	s_delay_alu instid0(VALU_DEP_2) | instskip(NEXT) | instid1(VALU_DEP_1)
	v_lshlrev_b32_e32 v39, 21, v39
	v_or3_b32 v39, v49, v48, v39
.LBB6_11052:                            ;   in Loop: Header=BB6_10651 Depth=3
	s_or_b32 exec_lo, exec_lo, s15
	s_delay_alu instid0(VALU_DEP_1) | instskip(NEXT) | instid1(VALU_DEP_1)
	v_add_f32_e32 v39, v37, v39
	v_and_b32_e32 v37, 0x7f800000, v39
	s_delay_alu instid0(VALU_DEP_1)
	v_cmp_ne_u32_e32 vcc_lo, 0x7f800000, v37
	v_mov_b32_e32 v37, 0x80
	s_and_saveexec_b32 s15, vcc_lo
	s_cbranch_execz .LBB6_11060
; %bb.11053:                            ;   in Loop: Header=BB6_10651 Depth=3
	v_mov_b32_e32 v37, 0
	s_mov_b32 s34, exec_lo
	v_cmpx_ne_u32_e32 0, v39
	s_cbranch_execz .LBB6_11059
; %bb.11054:                            ;   in Loop: Header=BB6_10651 Depth=3
	v_bfe_u32 v37, v39, 23, 8
	s_delay_alu instid0(VALU_DEP_1) | instskip(SKIP_1) | instid1(VALU_DEP_2)
	v_sub_nc_u32_e32 v49, 0x70, v37
	v_cmp_gt_u32_e32 vcc_lo, 0x71, v37
	v_dual_cndmask_b32 v49, 0, v49 :: v_dual_and_b32 v48, 0x7fffff, v39
	s_delay_alu instid0(VALU_DEP_1) | instskip(SKIP_2) | instid1(VALU_DEP_4)
	v_or_b32_e32 v50, 0x800000, v48
	v_cmp_eq_u32_e32 vcc_lo, 0, v37
	v_add_nc_u32_e32 v37, 0xffffff91, v37
	v_cndmask_b32_e64 v49, v49, 0x6f, vcc_lo
	s_delay_alu instid0(VALU_DEP_4) | instskip(NEXT) | instid1(VALU_DEP_3)
	v_cndmask_b32_e32 v48, v50, v48, vcc_lo
	v_cndmask_b32_e64 v37, v37, 0xffffff92, vcc_lo
	s_delay_alu instid0(VALU_DEP_3) | instskip(NEXT) | instid1(VALU_DEP_3)
	v_lshl_add_u32 v51, 0x200000, v49, -1
	v_lshrrev_b32_e32 v50, v49, v48
	v_lshlrev_b32_e64 v53, v49, 0x100000
	s_delay_alu instid0(VALU_DEP_4) | instskip(NEXT) | instid1(VALU_DEP_4)
	v_add_nc_u32_e32 v49, v49, v37
	v_and_b32_e32 v48, v51, v48
	s_delay_alu instid0(VALU_DEP_4) | instskip(NEXT) | instid1(VALU_DEP_2)
	v_bfe_u32 v52, v50, 21, 1
	v_cmp_eq_u32_e64 s14, v48, v53
	s_delay_alu instid0(VALU_DEP_2) | instskip(NEXT) | instid1(VALU_DEP_1)
	v_add_nc_u32_e32 v51, -1, v52
	v_cndmask_b32_e64 v48, 0, v51, s14
	v_lshrrev_b32_e32 v51, 23, v50
	s_mov_b32 s14, exec_lo
	s_delay_alu instid0(VALU_DEP_2) | instskip(NEXT) | instid1(VALU_DEP_2)
	v_add_nc_u32_e32 v48, v48, v50
	v_xor_b32_e32 v52, 1, v51
	s_delay_alu instid0(VALU_DEP_2) | instskip(NEXT) | instid1(VALU_DEP_1)
	v_and_b32_e32 v37, 0x1fffff, v48
	v_add_nc_u32_e32 v48, v37, v50
                                        ; implicit-def: $vgpr37
	s_delay_alu instid0(VALU_DEP_3)
	v_cmpx_ne_u32_e64 v49, v52
	s_xor_b32 s14, exec_lo, s14
; %bb.11055:                            ;   in Loop: Header=BB6_10651 Depth=3
	s_delay_alu instid0(VALU_DEP_2) | instskip(SKIP_2) | instid1(VALU_DEP_2)
	v_cmp_lt_u32_e32 vcc_lo, 0xffffff, v48
	v_sub_nc_u32_e32 v37, v49, v52
	v_cndmask_b32_e64 v49, 0, 1, vcc_lo
	v_add_co_ci_u32_e32 v37, vcc_lo, 0, v37, vcc_lo
	s_delay_alu instid0(VALU_DEP_2)
	v_lshrrev_b32_e32 v48, v49, v48
; %bb.11056:                            ;   in Loop: Header=BB6_10651 Depth=3
	s_and_not1_saveexec_b32 s14, s14
; %bb.11057:                            ;   in Loop: Header=BB6_10651 Depth=3
	s_delay_alu instid0(VALU_DEP_1)
	v_bfe_u32 v37, v48, 23, 1
; %bb.11058:                            ;   in Loop: Header=BB6_10651 Depth=3
	s_or_b32 exec_lo, exec_lo, s14
	v_lshrrev_b32_e32 v48, 21, v48
	s_delay_alu instid0(VALU_DEP_2) | instskip(SKIP_2) | instid1(VALU_DEP_2)
	v_cmp_gt_i32_e32 vcc_lo, 32, v37
	v_lshrrev_b32_e32 v39, 24, v39
	v_min_i32_e32 v49, 31, v37
	v_dual_cndmask_b32 v48, 3, v48 :: v_dual_and_b32 v39, 0x80, v39
	s_delay_alu instid0(VALU_DEP_2) | instskip(NEXT) | instid1(VALU_DEP_2)
	v_lshlrev_b32_e32 v49, 2, v49
	v_or_b32_e32 v37, v37, v48
	s_delay_alu instid0(VALU_DEP_1) | instskip(SKIP_1) | instid1(VALU_DEP_1)
	v_cmp_ne_u32_e32 vcc_lo, 0, v37
	v_and_b32_e32 v50, 3, v48
	v_or3_b32 v39, v49, v39, v50
	s_delay_alu instid0(VALU_DEP_1)
	v_cndmask_b32_e32 v37, 0, v39, vcc_lo
.LBB6_11059:                            ;   in Loop: Header=BB6_10651 Depth=3
	s_or_b32 exec_lo, exec_lo, s34
.LBB6_11060:                            ;   in Loop: Header=BB6_10651 Depth=3
	s_delay_alu instid0(SALU_CYCLE_1) | instskip(SKIP_3) | instid1(VALU_DEP_1)
	s_or_b32 exec_lo, exec_lo, s15
	v_lshrrev_b16 v48, 8, v38
	s_mov_b32 s14, 0
	s_mov_b32 s34, exec_lo
                                        ; implicit-def: $sgpr15
	v_cmpx_lt_i16_e32 0x7f, v48
	s_xor_b32 s34, exec_lo, s34
	s_cbranch_execnz .LBB6_11279
; %bb.11061:                            ;   in Loop: Header=BB6_10651 Depth=3
	s_or_saveexec_b32 s34, s34
	v_mov_b32_e32 v39, s15
	s_xor_b32 exec_lo, exec_lo, s34
	s_cbranch_execnz .LBB6_11282
.LBB6_11062:                            ;   in Loop: Header=BB6_10651 Depth=3
	s_or_b32 exec_lo, exec_lo, s34
	s_and_saveexec_b32 s15, s14
	s_cbranch_execz .LBB6_11064
.LBB6_11063:                            ;   in Loop: Header=BB6_10651 Depth=3
	v_and_b32_e32 v39, 0xffff, v48
	s_delay_alu instid0(VALU_DEP_1) | instskip(NEXT) | instid1(VALU_DEP_1)
	v_and_b32_e32 v49, 3, v39
	v_clz_i32_u32_e32 v50, v49
	s_delay_alu instid0(VALU_DEP_1) | instskip(NEXT) | instid1(VALU_DEP_1)
	v_min_u32_e32 v50, 32, v50
	v_subrev_nc_u32_e32 v51, 29, v50
	v_sub_nc_u32_e32 v50, 30, v50
	s_delay_alu instid0(VALU_DEP_2) | instskip(SKIP_1) | instid1(VALU_DEP_2)
	v_lshlrev_b32_e32 v51, v51, v39
	v_bfe_u32 v39, v39, 2, 5
	v_and_b32_e32 v51, 3, v51
	s_delay_alu instid0(VALU_DEP_2) | instskip(SKIP_1) | instid1(VALU_DEP_1)
	v_cmp_eq_u32_e32 vcc_lo, 0, v39
	v_dual_cndmask_b32 v39, v39, v50 :: v_dual_lshlrev_b32 v48, 24, v48
	v_dual_cndmask_b32 v49, v49, v51 :: v_dual_and_b32 v48, 0x80000000, v48
	s_delay_alu instid0(VALU_DEP_2) | instskip(NEXT) | instid1(VALU_DEP_2)
	v_lshl_add_u32 v39, v39, 23, 0x37800000
	v_lshlrev_b32_e32 v49, 21, v49
	s_delay_alu instid0(VALU_DEP_1)
	v_or3_b32 v39, v48, v39, v49
.LBB6_11064:                            ;   in Loop: Header=BB6_10651 Depth=3
	s_or_b32 exec_lo, exec_lo, s15
	v_lshrrev_b16 v48, 8, v11
	s_mov_b32 s14, 0
	s_mov_b32 s34, exec_lo
                                        ; implicit-def: $sgpr15
	s_delay_alu instid0(VALU_DEP_1)
	v_cmpx_lt_i16_e32 0x7f, v48
	s_xor_b32 s34, exec_lo, s34
	s_cbranch_execnz .LBB6_11283
; %bb.11065:                            ;   in Loop: Header=BB6_10651 Depth=3
	s_or_saveexec_b32 s34, s34
	v_mov_b32_e32 v49, s15
	s_xor_b32 exec_lo, exec_lo, s34
	s_cbranch_execnz .LBB6_11286
.LBB6_11066:                            ;   in Loop: Header=BB6_10651 Depth=3
	s_or_b32 exec_lo, exec_lo, s34
	s_and_saveexec_b32 s15, s14
	s_cbranch_execz .LBB6_11068
.LBB6_11067:                            ;   in Loop: Header=BB6_10651 Depth=3
	v_and_b32_e32 v49, 0xffff, v48
	v_lshlrev_b32_e32 v48, 24, v48
	s_delay_alu instid0(VALU_DEP_2) | instskip(NEXT) | instid1(VALU_DEP_2)
	v_and_b32_e32 v50, 3, v49
	v_and_b32_e32 v48, 0x80000000, v48
	s_delay_alu instid0(VALU_DEP_2) | instskip(NEXT) | instid1(VALU_DEP_1)
	v_clz_i32_u32_e32 v51, v50
	v_min_u32_e32 v51, 32, v51
	s_delay_alu instid0(VALU_DEP_1) | instskip(SKIP_1) | instid1(VALU_DEP_2)
	v_subrev_nc_u32_e32 v52, 29, v51
	v_sub_nc_u32_e32 v51, 30, v51
	v_lshlrev_b32_e32 v52, v52, v49
	v_bfe_u32 v49, v49, 2, 5
	s_delay_alu instid0(VALU_DEP_2) | instskip(NEXT) | instid1(VALU_DEP_2)
	v_and_b32_e32 v52, 3, v52
	v_cmp_eq_u32_e32 vcc_lo, 0, v49
	s_delay_alu instid0(VALU_DEP_2) | instskip(NEXT) | instid1(VALU_DEP_1)
	v_dual_cndmask_b32 v49, v49, v51 :: v_dual_cndmask_b32 v50, v50, v52
	v_lshl_add_u32 v49, v49, 23, 0x37800000
	s_delay_alu instid0(VALU_DEP_2) | instskip(NEXT) | instid1(VALU_DEP_1)
	v_lshlrev_b32_e32 v50, 21, v50
	v_or3_b32 v49, v48, v49, v50
.LBB6_11068:                            ;   in Loop: Header=BB6_10651 Depth=3
	s_or_b32 exec_lo, exec_lo, s15
	s_delay_alu instid0(VALU_DEP_1) | instskip(NEXT) | instid1(VALU_DEP_1)
	v_add_f32_e32 v48, v39, v49
	v_and_b32_e32 v39, 0x7f800000, v48
	s_delay_alu instid0(VALU_DEP_1)
	v_cmp_ne_u32_e32 vcc_lo, 0x7f800000, v39
	v_mov_b32_e32 v39, 0x8000
	s_and_saveexec_b32 s15, vcc_lo
	s_cbranch_execz .LBB6_11076
; %bb.11069:                            ;   in Loop: Header=BB6_10651 Depth=3
	v_mov_b32_e32 v39, 0
	s_mov_b32 s34, exec_lo
	v_cmpx_ne_u32_e32 0, v48
	s_cbranch_execz .LBB6_11075
; %bb.11070:                            ;   in Loop: Header=BB6_10651 Depth=3
	v_bfe_u32 v39, v48, 23, 8
	s_delay_alu instid0(VALU_DEP_1) | instskip(SKIP_1) | instid1(VALU_DEP_2)
	v_sub_nc_u32_e32 v50, 0x70, v39
	v_cmp_gt_u32_e32 vcc_lo, 0x71, v39
	v_dual_cndmask_b32 v50, 0, v50 :: v_dual_and_b32 v49, 0x7fffff, v48
	s_delay_alu instid0(VALU_DEP_1) | instskip(SKIP_2) | instid1(VALU_DEP_4)
	v_or_b32_e32 v51, 0x800000, v49
	v_cmp_eq_u32_e32 vcc_lo, 0, v39
	v_add_nc_u32_e32 v39, 0xffffff91, v39
	v_cndmask_b32_e64 v50, v50, 0x6f, vcc_lo
	s_delay_alu instid0(VALU_DEP_2) | instskip(SKIP_1) | instid1(VALU_DEP_3)
	v_cndmask_b32_e64 v39, v39, 0xffffff92, vcc_lo
	v_cndmask_b32_e32 v49, v51, v49, vcc_lo
	v_lshl_add_u32 v52, 0x200000, v50, -1
	v_lshlrev_b32_e64 v54, v50, 0x100000
	s_delay_alu instid0(VALU_DEP_3) | instskip(NEXT) | instid1(VALU_DEP_3)
	v_lshrrev_b32_e32 v51, v50, v49
	v_and_b32_e32 v49, v52, v49
	s_delay_alu instid0(VALU_DEP_2) | instskip(NEXT) | instid1(VALU_DEP_2)
	v_bfe_u32 v53, v51, 21, 1
	v_cmp_eq_u32_e64 s14, v49, v54
	s_delay_alu instid0(VALU_DEP_2) | instskip(SKIP_1) | instid1(VALU_DEP_2)
	v_add_nc_u32_e32 v52, -1, v53
	v_lshrrev_b32_e32 v53, 23, v51
	v_cndmask_b32_e64 v49, 0, v52, s14
	v_add_nc_u32_e32 v52, v50, v39
	s_delay_alu instid0(VALU_DEP_3) | instskip(SKIP_1) | instid1(VALU_DEP_3)
	v_xor_b32_e32 v53, 1, v53
	s_mov_b32 s14, exec_lo
	v_add_nc_u32_e32 v49, v49, v51
	s_delay_alu instid0(VALU_DEP_1) | instskip(NEXT) | instid1(VALU_DEP_1)
	v_and_b32_e32 v39, 0x1fffff, v49
	v_add_nc_u32_e32 v49, v39, v51
                                        ; implicit-def: $vgpr39
	v_cmpx_ne_u32_e64 v52, v53
	s_xor_b32 s14, exec_lo, s14
; %bb.11071:                            ;   in Loop: Header=BB6_10651 Depth=3
	s_delay_alu instid0(VALU_DEP_2) | instskip(SKIP_2) | instid1(VALU_DEP_2)
	v_cmp_lt_u32_e32 vcc_lo, 0xffffff, v49
	v_sub_nc_u32_e32 v39, v52, v53
	v_cndmask_b32_e64 v50, 0, 1, vcc_lo
	v_add_co_ci_u32_e32 v39, vcc_lo, 0, v39, vcc_lo
	s_delay_alu instid0(VALU_DEP_2)
	v_lshrrev_b32_e32 v49, v50, v49
; %bb.11072:                            ;   in Loop: Header=BB6_10651 Depth=3
	s_and_not1_saveexec_b32 s14, s14
; %bb.11073:                            ;   in Loop: Header=BB6_10651 Depth=3
	s_delay_alu instid0(VALU_DEP_1)
	v_bfe_u32 v39, v49, 23, 1
; %bb.11074:                            ;   in Loop: Header=BB6_10651 Depth=3
	s_or_b32 exec_lo, exec_lo, s14
	v_lshrrev_b32_e32 v49, 21, v49
	s_delay_alu instid0(VALU_DEP_2) | instskip(SKIP_2) | instid1(VALU_DEP_2)
	v_cmp_gt_i32_e32 vcc_lo, 32, v39
	v_min_i32_e32 v50, 31, v39
	v_lshrrev_b32_e32 v48, 24, v48
	v_dual_cndmask_b32 v49, 3, v49 :: v_dual_lshlrev_b32 v50, 2, v50
	s_delay_alu instid0(VALU_DEP_2) | instskip(NEXT) | instid1(VALU_DEP_2)
	v_and_b32_e32 v48, 0x80, v48
	v_or_b32_e32 v39, v39, v49
	v_and_b32_e32 v51, 3, v49
	s_delay_alu instid0(VALU_DEP_2) | instskip(SKIP_1) | instid1(VALU_DEP_1)
	v_cmp_ne_u32_e32 vcc_lo, 0, v39
	v_and_b32_e32 v50, 0xfc, v50
	v_or3_b32 v48, v48, v50, v51
	s_delay_alu instid0(VALU_DEP_1) | instskip(NEXT) | instid1(VALU_DEP_1)
	v_lshlrev_b32_e32 v48, 8, v48
	v_cndmask_b32_e32 v39, 0, v48, vcc_lo
.LBB6_11075:                            ;   in Loop: Header=BB6_10651 Depth=3
	s_or_b32 exec_lo, exec_lo, s34
.LBB6_11076:                            ;   in Loop: Header=BB6_10651 Depth=3
	s_delay_alu instid0(SALU_CYCLE_1) | instskip(SKIP_3) | instid1(VALU_DEP_1)
	s_or_b32 exec_lo, exec_lo, s15
	v_or_b32_e32 v48, v85, v81
	s_mov_b32 s14, 0
	s_mov_b32 s34, exec_lo
                                        ; implicit-def: $sgpr15
	v_and_b32_e32 v52, 0xff, v48
	s_delay_alu instid0(VALU_DEP_1)
	v_cmpx_lt_i16_e32 0x7f, v52
	s_xor_b32 s34, exec_lo, s34
	s_cbranch_execnz .LBB6_11287
; %bb.11077:                            ;   in Loop: Header=BB6_10651 Depth=3
	s_or_saveexec_b32 s34, s34
	v_mov_b32_e32 v49, s15
	s_xor_b32 exec_lo, exec_lo, s34
	s_cbranch_execnz .LBB6_11290
.LBB6_11078:                            ;   in Loop: Header=BB6_10651 Depth=3
	s_or_b32 exec_lo, exec_lo, s34
	v_lshl_or_b32 v48, v48, 16, v38
	s_and_saveexec_b32 s15, s14
	s_cbranch_execz .LBB6_11080
.LBB6_11079:                            ;   in Loop: Header=BB6_10651 Depth=3
	s_delay_alu instid0(VALU_DEP_1) | instskip(SKIP_2) | instid1(VALU_DEP_3)
	v_bfe_u32 v38, v48, 16, 2
	v_lshrrev_b32_e32 v50, 16, v48
	v_lshlrev_b32_e32 v52, 8, v48
	v_clz_i32_u32_e32 v49, v38
	s_delay_alu instid0(VALU_DEP_1) | instskip(NEXT) | instid1(VALU_DEP_1)
	v_min_u32_e32 v49, 32, v49
	v_subrev_nc_u32_e32 v51, 29, v49
	v_sub_nc_u32_e32 v49, 30, v49
	s_delay_alu instid0(VALU_DEP_2) | instskip(SKIP_1) | instid1(VALU_DEP_1)
	v_lshlrev_b32_e32 v50, v51, v50
	v_bfe_u32 v51, v48, 18, 5
	v_cmp_eq_u32_e32 vcc_lo, 0, v51
	s_delay_alu instid0(VALU_DEP_3) | instskip(NEXT) | instid1(VALU_DEP_1)
	v_dual_cndmask_b32 v49, v51, v49 :: v_dual_and_b32 v50, 3, v50
	v_cndmask_b32_e32 v38, v38, v50, vcc_lo
	v_and_b32_e32 v50, 0x80000000, v52
	s_delay_alu instid0(VALU_DEP_3) | instskip(NEXT) | instid1(VALU_DEP_3)
	v_lshl_add_u32 v49, v49, 23, 0x37800000
	v_lshlrev_b32_e32 v38, 21, v38
	s_delay_alu instid0(VALU_DEP_1)
	v_or3_b32 v49, v50, v49, v38
.LBB6_11080:                            ;   in Loop: Header=BB6_10651 Depth=3
	s_or_b32 exec_lo, exec_lo, s15
	v_lshrrev_b32_e32 v38, 16, v11
	s_mov_b32 s14, 0
	s_mov_b32 s34, exec_lo
                                        ; implicit-def: $sgpr15
	s_delay_alu instid0(VALU_DEP_1) | instskip(NEXT) | instid1(VALU_DEP_1)
	v_and_b32_e32 v53, 0xff, v38
	v_cmpx_lt_i16_e32 0x7f, v53
	s_xor_b32 s34, exec_lo, s34
	s_cbranch_execnz .LBB6_11291
; %bb.11081:                            ;   in Loop: Header=BB6_10651 Depth=3
	s_or_saveexec_b32 s34, s34
	v_mov_b32_e32 v52, s15
	s_xor_b32 exec_lo, exec_lo, s34
	s_cbranch_execnz .LBB6_11294
.LBB6_11082:                            ;   in Loop: Header=BB6_10651 Depth=3
	s_or_b32 exec_lo, exec_lo, s34
	s_and_saveexec_b32 s15, s14
	s_cbranch_execz .LBB6_11084
.LBB6_11083:                            ;   in Loop: Header=BB6_10651 Depth=3
	v_bfe_u32 v50, v11, 16, 2
	s_delay_alu instid0(VALU_DEP_1) | instskip(NEXT) | instid1(VALU_DEP_1)
	v_clz_i32_u32_e32 v51, v50
	v_min_u32_e32 v51, 32, v51
	s_delay_alu instid0(VALU_DEP_1) | instskip(SKIP_1) | instid1(VALU_DEP_2)
	v_subrev_nc_u32_e32 v52, 29, v51
	v_sub_nc_u32_e32 v51, 30, v51
	v_lshlrev_b32_e32 v38, v52, v38
	v_bfe_u32 v52, v11, 18, 5
	s_delay_alu instid0(VALU_DEP_1) | instskip(NEXT) | instid1(VALU_DEP_3)
	v_cmp_eq_u32_e32 vcc_lo, 0, v52
	v_dual_cndmask_b32 v51, v52, v51 :: v_dual_and_b32 v38, 3, v38
	s_delay_alu instid0(VALU_DEP_1) | instskip(NEXT) | instid1(VALU_DEP_2)
	v_dual_cndmask_b32 v38, v50, v38 :: v_dual_lshlrev_b32 v53, 8, v11
	v_lshl_add_u32 v51, v51, 23, 0x37800000
	s_delay_alu instid0(VALU_DEP_2) | instskip(NEXT) | instid1(VALU_DEP_3)
	v_and_b32_e32 v50, 0x80000000, v53
	v_lshlrev_b32_e32 v38, 21, v38
	s_delay_alu instid0(VALU_DEP_1)
	v_or3_b32 v52, v50, v51, v38
.LBB6_11084:                            ;   in Loop: Header=BB6_10651 Depth=3
	s_or_b32 exec_lo, exec_lo, s15
	s_delay_alu instid0(VALU_DEP_1) | instskip(NEXT) | instid1(VALU_DEP_1)
	v_add_f32_e32 v49, v49, v52
	v_and_b32_e32 v38, 0x7f800000, v49
	s_delay_alu instid0(VALU_DEP_1)
	v_cmp_ne_u32_e32 vcc_lo, 0x7f800000, v38
	v_mov_b32_e32 v38, 0x80
	s_and_saveexec_b32 s15, vcc_lo
	s_cbranch_execz .LBB6_11092
; %bb.11085:                            ;   in Loop: Header=BB6_10651 Depth=3
	v_mov_b32_e32 v38, 0
	s_mov_b32 s34, exec_lo
	v_cmpx_ne_u32_e32 0, v49
	s_cbranch_execz .LBB6_11091
; %bb.11086:                            ;   in Loop: Header=BB6_10651 Depth=3
	v_bfe_u32 v38, v49, 23, 8
	s_delay_alu instid0(VALU_DEP_1) | instskip(SKIP_1) | instid1(VALU_DEP_2)
	v_sub_nc_u32_e32 v51, 0x70, v38
	v_cmp_gt_u32_e32 vcc_lo, 0x71, v38
	v_dual_cndmask_b32 v51, 0, v51 :: v_dual_and_b32 v50, 0x7fffff, v49
	s_delay_alu instid0(VALU_DEP_1) | instskip(SKIP_2) | instid1(VALU_DEP_4)
	v_or_b32_e32 v52, 0x800000, v50
	v_cmp_eq_u32_e32 vcc_lo, 0, v38
	v_add_nc_u32_e32 v38, 0xffffff91, v38
	v_cndmask_b32_e64 v51, v51, 0x6f, vcc_lo
	s_delay_alu instid0(VALU_DEP_4) | instskip(NEXT) | instid1(VALU_DEP_3)
	v_cndmask_b32_e32 v50, v52, v50, vcc_lo
	v_cndmask_b32_e64 v38, v38, 0xffffff92, vcc_lo
	s_delay_alu instid0(VALU_DEP_3) | instskip(NEXT) | instid1(VALU_DEP_3)
	v_lshl_add_u32 v53, 0x200000, v51, -1
	v_lshrrev_b32_e32 v52, v51, v50
	v_lshlrev_b32_e64 v55, v51, 0x100000
	s_delay_alu instid0(VALU_DEP_3) | instskip(NEXT) | instid1(VALU_DEP_3)
	v_and_b32_e32 v50, v53, v50
	v_bfe_u32 v54, v52, 21, 1
	s_delay_alu instid0(VALU_DEP_2) | instskip(NEXT) | instid1(VALU_DEP_2)
	v_cmp_eq_u32_e64 s14, v50, v55
	v_add_nc_u32_e32 v53, -1, v54
	v_lshrrev_b32_e32 v54, 23, v52
	s_delay_alu instid0(VALU_DEP_2) | instskip(SKIP_1) | instid1(VALU_DEP_3)
	v_cndmask_b32_e64 v50, 0, v53, s14
	v_add_nc_u32_e32 v53, v51, v38
	v_xor_b32_e32 v54, 1, v54
	s_mov_b32 s14, exec_lo
	s_delay_alu instid0(VALU_DEP_3) | instskip(NEXT) | instid1(VALU_DEP_1)
	v_add_nc_u32_e32 v50, v50, v52
	v_and_b32_e32 v38, 0x1fffff, v50
	s_delay_alu instid0(VALU_DEP_1)
	v_add_nc_u32_e32 v52, v38, v52
                                        ; implicit-def: $vgpr38
	v_cmpx_ne_u32_e64 v53, v54
	s_xor_b32 s14, exec_lo, s14
; %bb.11087:                            ;   in Loop: Header=BB6_10651 Depth=3
	s_delay_alu instid0(VALU_DEP_2) | instskip(SKIP_2) | instid1(VALU_DEP_2)
	v_cmp_lt_u32_e32 vcc_lo, 0xffffff, v52
	v_sub_nc_u32_e32 v38, v53, v54
	v_cndmask_b32_e64 v50, 0, 1, vcc_lo
	v_add_co_ci_u32_e32 v38, vcc_lo, 0, v38, vcc_lo
	s_delay_alu instid0(VALU_DEP_2)
	v_lshrrev_b32_e32 v52, v50, v52
; %bb.11088:                            ;   in Loop: Header=BB6_10651 Depth=3
	s_and_not1_saveexec_b32 s14, s14
; %bb.11089:                            ;   in Loop: Header=BB6_10651 Depth=3
	s_delay_alu instid0(VALU_DEP_1)
	v_bfe_u32 v38, v52, 23, 1
; %bb.11090:                            ;   in Loop: Header=BB6_10651 Depth=3
	s_or_b32 exec_lo, exec_lo, s14
	v_lshrrev_b32_e32 v50, 21, v52
	s_delay_alu instid0(VALU_DEP_2) | instskip(SKIP_2) | instid1(VALU_DEP_2)
	v_cmp_gt_i32_e32 vcc_lo, 32, v38
	v_min_i32_e32 v51, 31, v38
	v_lshrrev_b32_e32 v49, 24, v49
	v_dual_cndmask_b32 v50, 3, v50 :: v_dual_lshlrev_b32 v51, 2, v51
	s_delay_alu instid0(VALU_DEP_2) | instskip(NEXT) | instid1(VALU_DEP_2)
	v_and_b32_e32 v49, 0x80, v49
	v_or_b32_e32 v38, v38, v50
	v_and_b32_e32 v52, 3, v50
	s_delay_alu instid0(VALU_DEP_2) | instskip(SKIP_1) | instid1(VALU_DEP_1)
	v_cmp_ne_u32_e32 vcc_lo, 0, v38
	v_and_b32_e32 v51, 0xfc, v51
	v_or3_b32 v49, v51, v49, v52
	s_delay_alu instid0(VALU_DEP_1)
	v_cndmask_b32_e32 v38, 0, v49, vcc_lo
.LBB6_11091:                            ;   in Loop: Header=BB6_10651 Depth=3
	s_or_b32 exec_lo, exec_lo, s34
.LBB6_11092:                            ;   in Loop: Header=BB6_10651 Depth=3
	s_delay_alu instid0(SALU_CYCLE_1) | instskip(SKIP_3) | instid1(VALU_DEP_1)
	s_or_b32 exec_lo, exec_lo, s15
	v_lshrrev_b32_e32 v52, 24, v48
	s_mov_b32 s14, 0
	s_mov_b32 s34, exec_lo
                                        ; implicit-def: $sgpr15
	v_cmpx_lt_i16_e32 0x7f, v52
	s_xor_b32 s34, exec_lo, s34
	s_cbranch_execnz .LBB6_11295
; %bb.11093:                            ;   in Loop: Header=BB6_10651 Depth=3
	s_or_saveexec_b32 s34, s34
	v_mov_b32_e32 v49, s15
	s_xor_b32 exec_lo, exec_lo, s34
	s_cbranch_execnz .LBB6_11298
.LBB6_11094:                            ;   in Loop: Header=BB6_10651 Depth=3
	s_or_b32 exec_lo, exec_lo, s34
	s_and_saveexec_b32 s15, s14
	s_cbranch_execz .LBB6_11096
.LBB6_11095:                            ;   in Loop: Header=BB6_10651 Depth=3
	v_bfe_u32 v49, v48, 24, 2
	s_delay_alu instid0(VALU_DEP_1) | instskip(NEXT) | instid1(VALU_DEP_1)
	v_clz_i32_u32_e32 v50, v49
	v_min_u32_e32 v50, 32, v50
	s_delay_alu instid0(VALU_DEP_1) | instskip(SKIP_1) | instid1(VALU_DEP_2)
	v_subrev_nc_u32_e32 v51, 29, v50
	v_sub_nc_u32_e32 v50, 30, v50
	v_lshlrev_b32_e32 v51, v51, v52
	v_bfe_u32 v52, v48, 26, 5
	v_and_b32_e32 v48, 0x80000000, v48
	s_delay_alu instid0(VALU_DEP_2) | instskip(NEXT) | instid1(VALU_DEP_4)
	v_cmp_eq_u32_e32 vcc_lo, 0, v52
	v_dual_cndmask_b32 v50, v52, v50 :: v_dual_and_b32 v51, 3, v51
	s_delay_alu instid0(VALU_DEP_1) | instskip(NEXT) | instid1(VALU_DEP_2)
	v_lshl_add_u32 v50, v50, 23, 0x37800000
	v_cndmask_b32_e32 v49, v49, v51, vcc_lo
	s_delay_alu instid0(VALU_DEP_1) | instskip(NEXT) | instid1(VALU_DEP_1)
	v_lshlrev_b32_e32 v49, 21, v49
	v_or3_b32 v49, v48, v50, v49
.LBB6_11096:                            ;   in Loop: Header=BB6_10651 Depth=3
	s_or_b32 exec_lo, exec_lo, s15
	v_lshrrev_b32_e32 v48, 24, v11
	s_mov_b32 s14, 0
	s_mov_b32 s34, exec_lo
                                        ; implicit-def: $sgpr15
	s_delay_alu instid0(VALU_DEP_1)
	v_cmpx_lt_i16_e32 0x7f, v48
	s_xor_b32 s34, exec_lo, s34
	s_cbranch_execnz .LBB6_11299
; %bb.11097:                            ;   in Loop: Header=BB6_10651 Depth=3
	s_or_saveexec_b32 s34, s34
	v_mov_b32_e32 v52, s15
	s_xor_b32 exec_lo, exec_lo, s34
	s_cbranch_execnz .LBB6_11302
.LBB6_11098:                            ;   in Loop: Header=BB6_10651 Depth=3
	s_or_b32 exec_lo, exec_lo, s34
	s_and_saveexec_b32 s15, s14
	s_cbranch_execz .LBB6_11100
.LBB6_11099:                            ;   in Loop: Header=BB6_10651 Depth=3
	v_bfe_u32 v50, v11, 24, 2
	s_delay_alu instid0(VALU_DEP_1) | instskip(NEXT) | instid1(VALU_DEP_1)
	v_clz_i32_u32_e32 v51, v50
	v_min_u32_e32 v51, 32, v51
	s_delay_alu instid0(VALU_DEP_1) | instskip(SKIP_1) | instid1(VALU_DEP_2)
	v_subrev_nc_u32_e32 v52, 29, v51
	v_sub_nc_u32_e32 v51, 30, v51
	v_lshlrev_b32_e32 v48, v52, v48
	v_bfe_u32 v52, v11, 26, 5
	v_and_b32_e32 v11, 0x80000000, v11
	s_delay_alu instid0(VALU_DEP_2) | instskip(NEXT) | instid1(VALU_DEP_4)
	v_cmp_eq_u32_e32 vcc_lo, 0, v52
	v_dual_cndmask_b32 v51, v52, v51 :: v_dual_and_b32 v48, 3, v48
	s_delay_alu instid0(VALU_DEP_1) | instskip(NEXT) | instid1(VALU_DEP_2)
	v_cndmask_b32_e32 v48, v50, v48, vcc_lo
	v_lshl_add_u32 v50, v51, 23, 0x37800000
	s_delay_alu instid0(VALU_DEP_2) | instskip(NEXT) | instid1(VALU_DEP_1)
	v_lshlrev_b32_e32 v48, 21, v48
	v_or3_b32 v52, v11, v50, v48
.LBB6_11100:                            ;   in Loop: Header=BB6_10651 Depth=3
	s_or_b32 exec_lo, exec_lo, s15
	s_delay_alu instid0(VALU_DEP_1) | instskip(NEXT) | instid1(VALU_DEP_1)
	v_add_f32_e32 v11, v49, v52
	v_and_b32_e32 v48, 0x7f800000, v11
	s_delay_alu instid0(VALU_DEP_1)
	v_cmp_ne_u32_e32 vcc_lo, 0x7f800000, v48
	v_mov_b32_e32 v48, 0x8000
	s_and_saveexec_b32 s15, vcc_lo
	s_cbranch_execz .LBB6_11108
; %bb.11101:                            ;   in Loop: Header=BB6_10651 Depth=3
	v_mov_b32_e32 v48, 0
	s_mov_b32 s34, exec_lo
	v_cmpx_ne_u32_e32 0, v11
	s_cbranch_execz .LBB6_11107
; %bb.11102:                            ;   in Loop: Header=BB6_10651 Depth=3
	v_bfe_u32 v48, v11, 23, 8
	s_delay_alu instid0(VALU_DEP_1) | instskip(SKIP_1) | instid1(VALU_DEP_2)
	v_sub_nc_u32_e32 v50, 0x70, v48
	v_cmp_gt_u32_e32 vcc_lo, 0x71, v48
	v_dual_cndmask_b32 v50, 0, v50 :: v_dual_and_b32 v49, 0x7fffff, v11
	s_delay_alu instid0(VALU_DEP_1) | instskip(SKIP_2) | instid1(VALU_DEP_4)
	v_or_b32_e32 v51, 0x800000, v49
	v_cmp_eq_u32_e32 vcc_lo, 0, v48
	v_add_nc_u32_e32 v48, 0xffffff91, v48
	v_cndmask_b32_e64 v50, v50, 0x6f, vcc_lo
	s_delay_alu instid0(VALU_DEP_4) | instskip(NEXT) | instid1(VALU_DEP_3)
	v_cndmask_b32_e32 v49, v51, v49, vcc_lo
	v_cndmask_b32_e64 v48, v48, 0xffffff92, vcc_lo
	s_delay_alu instid0(VALU_DEP_3) | instskip(NEXT) | instid1(VALU_DEP_3)
	v_lshl_add_u32 v52, 0x200000, v50, -1
	v_lshrrev_b32_e32 v51, v50, v49
	v_lshlrev_b32_e64 v54, v50, 0x100000
	s_delay_alu instid0(VALU_DEP_3) | instskip(NEXT) | instid1(VALU_DEP_3)
	v_and_b32_e32 v49, v52, v49
	v_bfe_u32 v53, v51, 21, 1
	s_delay_alu instid0(VALU_DEP_2) | instskip(NEXT) | instid1(VALU_DEP_2)
	v_cmp_eq_u32_e64 s14, v49, v54
	v_add_nc_u32_e32 v52, -1, v53
	v_lshrrev_b32_e32 v53, 23, v51
	s_delay_alu instid0(VALU_DEP_2) | instskip(SKIP_1) | instid1(VALU_DEP_3)
	v_cndmask_b32_e64 v49, 0, v52, s14
	v_add_nc_u32_e32 v52, v50, v48
	v_xor_b32_e32 v53, 1, v53
	s_mov_b32 s14, exec_lo
	s_delay_alu instid0(VALU_DEP_3) | instskip(NEXT) | instid1(VALU_DEP_1)
	v_add_nc_u32_e32 v49, v49, v51
	v_and_b32_e32 v48, 0x1fffff, v49
	s_delay_alu instid0(VALU_DEP_1)
	v_add_nc_u32_e32 v49, v48, v51
                                        ; implicit-def: $vgpr48
	v_cmpx_ne_u32_e64 v52, v53
	s_xor_b32 s14, exec_lo, s14
; %bb.11103:                            ;   in Loop: Header=BB6_10651 Depth=3
	s_delay_alu instid0(VALU_DEP_2) | instskip(SKIP_2) | instid1(VALU_DEP_2)
	v_cmp_lt_u32_e32 vcc_lo, 0xffffff, v49
	v_sub_nc_u32_e32 v48, v52, v53
	v_cndmask_b32_e64 v50, 0, 1, vcc_lo
	v_add_co_ci_u32_e32 v48, vcc_lo, 0, v48, vcc_lo
	s_delay_alu instid0(VALU_DEP_2)
	v_lshrrev_b32_e32 v49, v50, v49
; %bb.11104:                            ;   in Loop: Header=BB6_10651 Depth=3
	s_and_not1_saveexec_b32 s14, s14
; %bb.11105:                            ;   in Loop: Header=BB6_10651 Depth=3
	s_delay_alu instid0(VALU_DEP_1)
	v_bfe_u32 v48, v49, 23, 1
; %bb.11106:                            ;   in Loop: Header=BB6_10651 Depth=3
	s_or_b32 exec_lo, exec_lo, s14
	v_lshrrev_b32_e32 v49, 21, v49
	s_delay_alu instid0(VALU_DEP_2) | instskip(SKIP_2) | instid1(VALU_DEP_2)
	v_cmp_gt_i32_e32 vcc_lo, 32, v48
	v_min_i32_e32 v50, 31, v48
	v_lshrrev_b32_e32 v11, 24, v11
	v_dual_cndmask_b32 v49, 3, v49 :: v_dual_lshlrev_b32 v50, 2, v50
	s_delay_alu instid0(VALU_DEP_2) | instskip(NEXT) | instid1(VALU_DEP_2)
	v_and_b32_e32 v11, 0x80, v11
	v_or_b32_e32 v48, v48, v49
	s_delay_alu instid0(VALU_DEP_3) | instskip(NEXT) | instid1(VALU_DEP_2)
	v_and_b32_e32 v50, 0xfc, v50
	v_cmp_ne_u32_e32 vcc_lo, 0, v48
	v_and_b32_e32 v51, 3, v49
	s_delay_alu instid0(VALU_DEP_1) | instskip(NEXT) | instid1(VALU_DEP_1)
	v_or3_b32 v11, v11, v50, v51
	v_lshlrev_b32_e32 v11, 8, v11
	s_delay_alu instid0(VALU_DEP_1)
	v_cndmask_b32_e32 v48, 0, v11, vcc_lo
.LBB6_11107:                            ;   in Loop: Header=BB6_10651 Depth=3
	s_or_b32 exec_lo, exec_lo, s34
.LBB6_11108:                            ;   in Loop: Header=BB6_10651 Depth=3
	s_delay_alu instid0(SALU_CYCLE_1)
	s_or_b32 exec_lo, exec_lo, s15
	v_or_b32_e32 v9, v9, v129
	v_and_b32_e32 v11, 0xff, v151
	v_lshlrev_b32_e32 v50, 8, v84
	v_and_b32_e32 v27, 0xff, v27
	v_lshlrev_b32_e32 v26, 8, v26
	v_or_b32_e32 v38, v48, v38
	v_and_b32_e32 v49, 0xff, v132
	v_lshlrev_b32_e32 v8, 24, v8
	v_lshlrev_b32_e32 v9, 16, v9
	;; [unrolled: 1-line block ×3, first 2 shown]
	v_perm_b32 v50, v50, v80, 0xc0c0500
	v_lshlrev_b32_e32 v10, 24, v10
	v_lshlrev_b32_e32 v27, 16, v27
	v_perm_b32 v26, v26, v36, 0xc0c0500
	v_and_b32_e32 v36, 0xff, v37
	v_lshlrev_b32_e32 v37, 16, v38
	v_or3_b32 v9, v115, v49, v9
	v_or3_b32 v8, v8, v11, v50
	;; [unrolled: 1-line block ×3, first 2 shown]
	s_mov_b64 s[14:15], 0
	v_or3_b32 v11, v39, v36, v37
	s_mov_b32 s34, -1
.LBB6_11109:                            ;   Parent Loop BB6_51 Depth=1
                                        ;     Parent Loop BB6_7988 Depth=2
                                        ;       Parent Loop BB6_10651 Depth=3
                                        ; =>      This Inner Loop Header: Depth=4
	s_cmp_eq_u32 s14, 0
	v_cndmask_b32_e64 v36, 0, 1, s34
	s_cselect_b32 vcc_lo, -1, 0
	s_cmp_eq_u32 s14, 1
	s_mov_b32 s34, 0
	s_cselect_b32 s14, -1, 0
	s_delay_alu instid0(SALU_CYCLE_1) | instskip(SKIP_1) | instid1(VALU_DEP_2)
	v_cndmask_b32_e64 v26, v12, v14, s14
	v_cndmask_b32_e64 v27, v13, v15, s14
	v_add_co_u32 v37, s15, 0x200, v26
	s_delay_alu instid0(VALU_DEP_1) | instskip(SKIP_1) | instid1(VALU_DEP_3)
	v_add_co_ci_u32_e64 v38, s15, 0, v27, s15
	v_cmp_ne_u32_e64 s15, 1, v36
	v_cndmask_b32_e64 v14, v14, v37, s14
	v_cndmask_b32_e32 v12, v12, v37, vcc_lo
	s_delay_alu instid0(VALU_DEP_4)
	v_cndmask_b32_e64 v15, v15, v38, s14
	v_cndmask_b32_e32 v13, v13, v38, vcc_lo
	s_and_b32 vcc_lo, exec_lo, s15
	s_mov_b64 s[14:15], 1
	global_store_b128 v[26:27], v[8:11], off glc slc dlc
	s_cbranch_vccz .LBB6_11109
; %bb.11110:                            ;   in Loop: Header=BB6_10651 Depth=3
	v_dual_mov_b32 v8, v172 :: v_dual_mov_b32 v9, v173
	v_sub_nc_u32_e32 v20, v20, v158
	v_sub_nc_u32_e32 v69, v69, v97
	s_delay_alu instid0(VALU_DEP_3) | instskip(NEXT) | instid1(VALU_DEP_4)
	v_add_co_u32 v16, vcc_lo, v16, v8
	v_add_co_ci_u32_e32 v17, vcc_lo, v17, v9, vcc_lo
	v_add_co_u32 v18, vcc_lo, v18, v8
	v_mov_b32_e32 v8, v159
	v_add_co_ci_u32_e32 v19, vcc_lo, v19, v9, vcc_lo
	v_mov_b32_e32 v9, v170
	s_delay_alu instid0(VALU_DEP_3) | instskip(SKIP_1) | instid1(VALU_DEP_3)
	v_add_co_u32 v12, vcc_lo, v12, v8
	v_add_co_u32 v14, s14, v14, v8
	v_add_co_ci_u32_e32 v13, vcc_lo, v13, v9, vcc_lo
	v_cmp_gt_i32_e32 vcc_lo, 16, v20
	v_add_co_ci_u32_e64 v15, s14, v15, v9, s14
	s_or_b32 s30, vcc_lo, s30
	s_delay_alu instid0(SALU_CYCLE_1)
	s_and_not1_b32 exec_lo, exec_lo, s30
	s_cbranch_execnz .LBB6_10651
	s_branch .LBB6_11303
.LBB6_11111:                            ;   in Loop: Header=BB6_10651 Depth=3
	s_mov_b32 s14, -1
	s_mov_b32 s36, exec_lo
                                        ; implicit-def: $sgpr34
	v_cmpx_eq_u16_e32 0x80, v27
; %bb.11112:                            ;   in Loop: Header=BB6_10651 Depth=3
	s_mov_b32 s34, 0x7f800001
	s_xor_b32 s14, exec_lo, -1
; %bb.11113:                            ;   in Loop: Header=BB6_10651 Depth=3
	s_or_b32 exec_lo, exec_lo, s36
	s_delay_alu instid0(SALU_CYCLE_1)
	s_and_b32 s14, s14, exec_lo
                                        ; implicit-def: $vgpr27
	s_or_saveexec_b32 s35, s35
	v_mov_b32_e32 v26, s34
	s_xor_b32 exec_lo, exec_lo, s35
	s_cbranch_execz .LBB6_10662
.LBB6_11114:                            ;   in Loop: Header=BB6_10651 Depth=3
	v_cmp_ne_u16_e32 vcc_lo, 0, v27
	v_mov_b32_e32 v26, 0
	s_and_not1_b32 s14, s14, exec_lo
	s_and_b32 vcc_lo, vcc_lo, exec_lo
	s_delay_alu instid0(SALU_CYCLE_1)
	s_or_b32 s14, s14, vcc_lo
	s_or_b32 exec_lo, exec_lo, s35
	s_and_saveexec_b32 s34, s14
	s_cbranch_execnz .LBB6_10663
	s_branch .LBB6_10664
.LBB6_11115:                            ;   in Loop: Header=BB6_10651 Depth=3
	s_mov_b32 s14, -1
	s_mov_b32 s36, exec_lo
                                        ; implicit-def: $sgpr34
	v_cmpx_eq_u16_e32 0x80, v26
; %bb.11116:                            ;   in Loop: Header=BB6_10651 Depth=3
	s_mov_b32 s34, 0x7f800001
	s_xor_b32 s14, exec_lo, -1
; %bb.11117:                            ;   in Loop: Header=BB6_10651 Depth=3
	s_or_b32 exec_lo, exec_lo, s36
	s_delay_alu instid0(SALU_CYCLE_1)
	s_and_b32 s14, s14, exec_lo
	s_or_saveexec_b32 s35, s35
	v_mov_b32_e32 v27, s34
	s_xor_b32 exec_lo, exec_lo, s35
	s_cbranch_execz .LBB6_10674
.LBB6_11118:                            ;   in Loop: Header=BB6_10651 Depth=3
	v_cmp_ne_u16_e32 vcc_lo, 0, v26
	v_mov_b32_e32 v27, 0
	s_and_not1_b32 s14, s14, exec_lo
	s_and_b32 vcc_lo, vcc_lo, exec_lo
	s_delay_alu instid0(SALU_CYCLE_1)
	s_or_b32 s14, s14, vcc_lo
	s_or_b32 exec_lo, exec_lo, s35
	s_and_saveexec_b32 s34, s14
	s_cbranch_execnz .LBB6_10675
	s_branch .LBB6_10676
.LBB6_11119:                            ;   in Loop: Header=BB6_10651 Depth=3
	s_mov_b32 s14, -1
	s_mov_b32 s36, exec_lo
                                        ; implicit-def: $sgpr34
	v_cmpx_eq_u16_e32 0x80, v36
; %bb.11120:                            ;   in Loop: Header=BB6_10651 Depth=3
	s_mov_b32 s34, 0x7f800001
	s_xor_b32 s14, exec_lo, -1
; %bb.11121:                            ;   in Loop: Header=BB6_10651 Depth=3
	s_or_b32 exec_lo, exec_lo, s36
	s_delay_alu instid0(SALU_CYCLE_1)
	s_and_b32 s14, s14, exec_lo
                                        ; implicit-def: $vgpr36
	s_or_saveexec_b32 s35, s35
	v_mov_b32_e32 v27, s34
	s_xor_b32 exec_lo, exec_lo, s35
	s_cbranch_execz .LBB6_10686
.LBB6_11122:                            ;   in Loop: Header=BB6_10651 Depth=3
	v_cmp_ne_u16_e32 vcc_lo, 0, v36
	v_mov_b32_e32 v27, 0
	s_and_not1_b32 s14, s14, exec_lo
	s_and_b32 vcc_lo, vcc_lo, exec_lo
	s_delay_alu instid0(SALU_CYCLE_1)
	s_or_b32 s14, s14, vcc_lo
	s_or_b32 exec_lo, exec_lo, s35
	s_and_saveexec_b32 s34, s14
	s_cbranch_execnz .LBB6_10687
	s_branch .LBB6_10688
.LBB6_11123:                            ;   in Loop: Header=BB6_10651 Depth=3
	s_mov_b32 s14, -1
	s_mov_b32 s36, exec_lo
                                        ; implicit-def: $sgpr34
	v_cmpx_eq_u16_e32 0x80, v26
; %bb.11124:                            ;   in Loop: Header=BB6_10651 Depth=3
	s_mov_b32 s34, 0x7f800001
	s_xor_b32 s14, exec_lo, -1
; %bb.11125:                            ;   in Loop: Header=BB6_10651 Depth=3
	s_or_b32 exec_lo, exec_lo, s36
	s_delay_alu instid0(SALU_CYCLE_1)
	s_and_b32 s14, s14, exec_lo
	s_or_saveexec_b32 s35, s35
	v_mov_b32_e32 v27, s34
	s_xor_b32 exec_lo, exec_lo, s35
	s_cbranch_execz .LBB6_10698
.LBB6_11126:                            ;   in Loop: Header=BB6_10651 Depth=3
	v_cmp_ne_u16_e32 vcc_lo, 0, v26
	v_mov_b32_e32 v27, 0
	s_and_not1_b32 s14, s14, exec_lo
	s_and_b32 vcc_lo, vcc_lo, exec_lo
	s_delay_alu instid0(SALU_CYCLE_1)
	s_or_b32 s14, s14, vcc_lo
	s_or_b32 exec_lo, exec_lo, s35
	s_and_saveexec_b32 s34, s14
	s_cbranch_execnz .LBB6_10699
	s_branch .LBB6_10700
.LBB6_11127:                            ;   in Loop: Header=BB6_10651 Depth=3
	s_mov_b32 s14, -1
	s_mov_b32 s36, exec_lo
                                        ; implicit-def: $sgpr34
	v_cmpx_eq_u16_e32 0x80, v26
; %bb.11128:                            ;   in Loop: Header=BB6_10651 Depth=3
	s_mov_b32 s34, 0x7f800001
	s_xor_b32 s14, exec_lo, -1
; %bb.11129:                            ;   in Loop: Header=BB6_10651 Depth=3
	s_or_b32 exec_lo, exec_lo, s36
	s_delay_alu instid0(SALU_CYCLE_1)
	s_and_b32 s14, s14, exec_lo
                                        ; implicit-def: $vgpr26
	s_or_saveexec_b32 s35, s35
	v_mov_b32_e32 v8, s34
	s_xor_b32 exec_lo, exec_lo, s35
	s_cbranch_execz .LBB6_10710
.LBB6_11130:                            ;   in Loop: Header=BB6_10651 Depth=3
	v_cmp_ne_u16_e32 vcc_lo, 0, v26
	v_mov_b32_e32 v8, 0
	s_and_not1_b32 s14, s14, exec_lo
	s_and_b32 vcc_lo, vcc_lo, exec_lo
	s_delay_alu instid0(SALU_CYCLE_1)
	s_or_b32 s14, s14, vcc_lo
	s_or_b32 exec_lo, exec_lo, s35
	s_and_saveexec_b32 s34, s14
	s_cbranch_execnz .LBB6_10711
	s_branch .LBB6_10712
.LBB6_11131:                            ;   in Loop: Header=BB6_10651 Depth=3
	s_mov_b32 s14, -1
	s_mov_b32 s36, exec_lo
                                        ; implicit-def: $sgpr34
	v_cmpx_eq_u16_e32 0x80, v8
; %bb.11132:                            ;   in Loop: Header=BB6_10651 Depth=3
	s_mov_b32 s34, 0x7f800001
	s_xor_b32 s14, exec_lo, -1
; %bb.11133:                            ;   in Loop: Header=BB6_10651 Depth=3
	s_or_b32 exec_lo, exec_lo, s36
	s_delay_alu instid0(SALU_CYCLE_1)
	s_and_b32 s14, s14, exec_lo
	s_or_saveexec_b32 s35, s35
	v_mov_b32_e32 v26, s34
	s_xor_b32 exec_lo, exec_lo, s35
	s_cbranch_execz .LBB6_10722
.LBB6_11134:                            ;   in Loop: Header=BB6_10651 Depth=3
	v_cmp_ne_u16_e32 vcc_lo, 0, v8
	v_mov_b32_e32 v26, 0
	s_and_not1_b32 s14, s14, exec_lo
	s_and_b32 vcc_lo, vcc_lo, exec_lo
	s_delay_alu instid0(SALU_CYCLE_1)
	s_or_b32 s14, s14, vcc_lo
	s_or_b32 exec_lo, exec_lo, s35
	s_and_saveexec_b32 s34, s14
	s_cbranch_execnz .LBB6_10723
	s_branch .LBB6_10724
.LBB6_11135:                            ;   in Loop: Header=BB6_10651 Depth=3
	s_mov_b32 s14, -1
	s_mov_b32 s36, exec_lo
                                        ; implicit-def: $sgpr34
	v_cmpx_eq_u16_e32 0x80, v27
; %bb.11136:                            ;   in Loop: Header=BB6_10651 Depth=3
	s_mov_b32 s34, 0x7f800001
	s_xor_b32 s14, exec_lo, -1
; %bb.11137:                            ;   in Loop: Header=BB6_10651 Depth=3
	s_or_b32 exec_lo, exec_lo, s36
	s_delay_alu instid0(SALU_CYCLE_1)
	s_and_b32 s14, s14, exec_lo
                                        ; implicit-def: $vgpr27
	s_or_saveexec_b32 s35, s35
	v_mov_b32_e32 v26, s34
	s_xor_b32 exec_lo, exec_lo, s35
	s_cbranch_execz .LBB6_10734
.LBB6_11138:                            ;   in Loop: Header=BB6_10651 Depth=3
	v_cmp_ne_u16_e32 vcc_lo, 0, v27
	v_mov_b32_e32 v26, 0
	s_and_not1_b32 s14, s14, exec_lo
	s_and_b32 vcc_lo, vcc_lo, exec_lo
	s_delay_alu instid0(SALU_CYCLE_1)
	s_or_b32 s14, s14, vcc_lo
	s_or_b32 exec_lo, exec_lo, s35
	s_and_saveexec_b32 s34, s14
	s_cbranch_execnz .LBB6_10735
	s_branch .LBB6_10736
.LBB6_11139:                            ;   in Loop: Header=BB6_10651 Depth=3
	s_mov_b32 s14, -1
	s_mov_b32 s36, exec_lo
                                        ; implicit-def: $sgpr34
	v_cmpx_eq_u16_e32 0x80, v8
; %bb.11140:                            ;   in Loop: Header=BB6_10651 Depth=3
	s_mov_b32 s34, 0x7f800001
	s_xor_b32 s14, exec_lo, -1
; %bb.11141:                            ;   in Loop: Header=BB6_10651 Depth=3
	s_or_b32 exec_lo, exec_lo, s36
	s_delay_alu instid0(SALU_CYCLE_1)
	s_and_b32 s14, s14, exec_lo
	s_or_saveexec_b32 s35, s35
	v_mov_b32_e32 v26, s34
	s_xor_b32 exec_lo, exec_lo, s35
	s_cbranch_execz .LBB6_10746
.LBB6_11142:                            ;   in Loop: Header=BB6_10651 Depth=3
	v_cmp_ne_u16_e32 vcc_lo, 0, v8
	v_mov_b32_e32 v26, 0
	s_and_not1_b32 s14, s14, exec_lo
	s_and_b32 vcc_lo, vcc_lo, exec_lo
	s_delay_alu instid0(SALU_CYCLE_1)
	s_or_b32 s14, s14, vcc_lo
	s_or_b32 exec_lo, exec_lo, s35
	s_and_saveexec_b32 s34, s14
	s_cbranch_execnz .LBB6_10747
	s_branch .LBB6_10748
.LBB6_11143:                            ;   in Loop: Header=BB6_10651 Depth=3
	s_mov_b32 s14, -1
	s_mov_b32 s36, exec_lo
                                        ; implicit-def: $sgpr34
	v_cmpx_eq_u16_e32 0x80, v9
; %bb.11144:                            ;   in Loop: Header=BB6_10651 Depth=3
	s_mov_b32 s34, 0x7f800001
	s_xor_b32 s14, exec_lo, -1
; %bb.11145:                            ;   in Loop: Header=BB6_10651 Depth=3
	s_or_b32 exec_lo, exec_lo, s36
	s_delay_alu instid0(SALU_CYCLE_1)
	s_and_b32 s14, s14, exec_lo
                                        ; implicit-def: $vgpr9
	s_or_saveexec_b32 s35, s35
	v_mov_b32_e32 v8, s34
	s_xor_b32 exec_lo, exec_lo, s35
	s_cbranch_execz .LBB6_10758
.LBB6_11146:                            ;   in Loop: Header=BB6_10651 Depth=3
	v_cmp_ne_u16_e32 vcc_lo, 0, v9
	v_mov_b32_e32 v8, 0
	s_and_not1_b32 s14, s14, exec_lo
	s_and_b32 vcc_lo, vcc_lo, exec_lo
	s_delay_alu instid0(SALU_CYCLE_1)
	s_or_b32 s14, s14, vcc_lo
	s_or_b32 exec_lo, exec_lo, s35
	s_and_saveexec_b32 s34, s14
	s_cbranch_execnz .LBB6_10759
	s_branch .LBB6_10760
.LBB6_11147:                            ;   in Loop: Header=BB6_10651 Depth=3
	s_mov_b32 s14, -1
	s_mov_b32 s36, exec_lo
                                        ; implicit-def: $sgpr34
	v_cmpx_eq_u16_e32 0x80, v8
; %bb.11148:                            ;   in Loop: Header=BB6_10651 Depth=3
	s_mov_b32 s34, 0x7f800001
	s_xor_b32 s14, exec_lo, -1
; %bb.11149:                            ;   in Loop: Header=BB6_10651 Depth=3
	s_or_b32 exec_lo, exec_lo, s36
	s_delay_alu instid0(SALU_CYCLE_1)
	s_and_b32 s14, s14, exec_lo
	s_or_saveexec_b32 s35, s35
	v_mov_b32_e32 v9, s34
	s_xor_b32 exec_lo, exec_lo, s35
	s_cbranch_execz .LBB6_10770
.LBB6_11150:                            ;   in Loop: Header=BB6_10651 Depth=3
	v_cmp_ne_u16_e32 vcc_lo, 0, v8
	v_mov_b32_e32 v9, 0
	s_and_not1_b32 s14, s14, exec_lo
	s_and_b32 vcc_lo, vcc_lo, exec_lo
	s_delay_alu instid0(SALU_CYCLE_1)
	s_or_b32 s14, s14, vcc_lo
	s_or_b32 exec_lo, exec_lo, s35
	s_and_saveexec_b32 s34, s14
	s_cbranch_execnz .LBB6_10771
	s_branch .LBB6_10772
.LBB6_11151:                            ;   in Loop: Header=BB6_10651 Depth=3
	s_mov_b32 s14, -1
	s_mov_b32 s36, exec_lo
                                        ; implicit-def: $sgpr34
	v_cmpx_eq_u16_e32 0x80, v26
; %bb.11152:                            ;   in Loop: Header=BB6_10651 Depth=3
	s_mov_b32 s34, 0x7f800001
	s_xor_b32 s14, exec_lo, -1
; %bb.11153:                            ;   in Loop: Header=BB6_10651 Depth=3
	s_or_b32 exec_lo, exec_lo, s36
	s_delay_alu instid0(SALU_CYCLE_1)
	s_and_b32 s14, s14, exec_lo
                                        ; implicit-def: $vgpr26
	s_or_saveexec_b32 s35, s35
	v_mov_b32_e32 v9, s34
	s_xor_b32 exec_lo, exec_lo, s35
	s_cbranch_execz .LBB6_10782
.LBB6_11154:                            ;   in Loop: Header=BB6_10651 Depth=3
	v_cmp_ne_u16_e32 vcc_lo, 0, v26
	v_mov_b32_e32 v9, 0
	s_and_not1_b32 s14, s14, exec_lo
	s_and_b32 vcc_lo, vcc_lo, exec_lo
	s_delay_alu instid0(SALU_CYCLE_1)
	s_or_b32 s14, s14, vcc_lo
	s_or_b32 exec_lo, exec_lo, s35
	s_and_saveexec_b32 s34, s14
	s_cbranch_execnz .LBB6_10783
	s_branch .LBB6_10784
.LBB6_11155:                            ;   in Loop: Header=BB6_10651 Depth=3
	s_mov_b32 s14, -1
	s_mov_b32 s36, exec_lo
                                        ; implicit-def: $sgpr34
	v_cmpx_eq_u16_e32 0x80, v8
; %bb.11156:                            ;   in Loop: Header=BB6_10651 Depth=3
	s_mov_b32 s34, 0x7f800001
	s_xor_b32 s14, exec_lo, -1
; %bb.11157:                            ;   in Loop: Header=BB6_10651 Depth=3
	s_or_b32 exec_lo, exec_lo, s36
	s_delay_alu instid0(SALU_CYCLE_1)
	s_and_b32 s14, s14, exec_lo
	s_or_saveexec_b32 s35, s35
	v_mov_b32_e32 v9, s34
	s_xor_b32 exec_lo, exec_lo, s35
	s_cbranch_execz .LBB6_10794
.LBB6_11158:                            ;   in Loop: Header=BB6_10651 Depth=3
	v_cmp_ne_u16_e32 vcc_lo, 0, v8
	v_mov_b32_e32 v9, 0
	s_and_not1_b32 s14, s14, exec_lo
	s_and_b32 vcc_lo, vcc_lo, exec_lo
	s_delay_alu instid0(SALU_CYCLE_1)
	s_or_b32 s14, s14, vcc_lo
	s_or_b32 exec_lo, exec_lo, s35
	s_and_saveexec_b32 s34, s14
	s_cbranch_execnz .LBB6_10795
	s_branch .LBB6_10796
.LBB6_11159:                            ;   in Loop: Header=BB6_10651 Depth=3
	s_mov_b32 s14, -1
	s_mov_b32 s36, exec_lo
                                        ; implicit-def: $sgpr34
	v_cmpx_eq_u16_e32 0x80, v9
; %bb.11160:                            ;   in Loop: Header=BB6_10651 Depth=3
	s_mov_b32 s34, 0x7f800001
	s_xor_b32 s14, exec_lo, -1
; %bb.11161:                            ;   in Loop: Header=BB6_10651 Depth=3
	s_or_b32 exec_lo, exec_lo, s36
	s_delay_alu instid0(SALU_CYCLE_1)
	s_and_b32 s14, s14, exec_lo
                                        ; implicit-def: $vgpr9
	s_or_saveexec_b32 s35, s35
	v_mov_b32_e32 v8, s34
	s_xor_b32 exec_lo, exec_lo, s35
	s_cbranch_execz .LBB6_10806
.LBB6_11162:                            ;   in Loop: Header=BB6_10651 Depth=3
	v_cmp_ne_u16_e32 vcc_lo, 0, v9
	v_mov_b32_e32 v8, 0
	s_and_not1_b32 s14, s14, exec_lo
	s_and_b32 vcc_lo, vcc_lo, exec_lo
	s_delay_alu instid0(SALU_CYCLE_1)
	s_or_b32 s14, s14, vcc_lo
	s_or_b32 exec_lo, exec_lo, s35
	s_and_saveexec_b32 s34, s14
	s_cbranch_execnz .LBB6_10807
	s_branch .LBB6_10808
.LBB6_11163:                            ;   in Loop: Header=BB6_10651 Depth=3
	s_mov_b32 s14, -1
	s_mov_b32 s36, exec_lo
                                        ; implicit-def: $sgpr34
	v_cmpx_eq_u16_e32 0x80, v8
; %bb.11164:                            ;   in Loop: Header=BB6_10651 Depth=3
	s_mov_b32 s34, 0x7f800001
	s_xor_b32 s14, exec_lo, -1
; %bb.11165:                            ;   in Loop: Header=BB6_10651 Depth=3
	s_or_b32 exec_lo, exec_lo, s36
	s_delay_alu instid0(SALU_CYCLE_1)
	s_and_b32 s14, s14, exec_lo
	s_or_saveexec_b32 s35, s35
	v_mov_b32_e32 v9, s34
	s_xor_b32 exec_lo, exec_lo, s35
	s_cbranch_execz .LBB6_10818
.LBB6_11166:                            ;   in Loop: Header=BB6_10651 Depth=3
	v_cmp_ne_u16_e32 vcc_lo, 0, v8
	v_mov_b32_e32 v9, 0
	s_and_not1_b32 s14, s14, exec_lo
	s_and_b32 vcc_lo, vcc_lo, exec_lo
	s_delay_alu instid0(SALU_CYCLE_1)
	s_or_b32 s14, s14, vcc_lo
	s_or_b32 exec_lo, exec_lo, s35
	s_and_saveexec_b32 s34, s14
	s_cbranch_execnz .LBB6_10819
	s_branch .LBB6_10820
.LBB6_11167:                            ;   in Loop: Header=BB6_10651 Depth=3
	s_mov_b32 s14, -1
	s_mov_b32 s36, exec_lo
                                        ; implicit-def: $sgpr34
	v_cmpx_eq_u16_e32 0x80, v10
; %bb.11168:                            ;   in Loop: Header=BB6_10651 Depth=3
	s_mov_b32 s34, 0x7f800001
	s_xor_b32 s14, exec_lo, -1
; %bb.11169:                            ;   in Loop: Header=BB6_10651 Depth=3
	s_or_b32 exec_lo, exec_lo, s36
	s_delay_alu instid0(SALU_CYCLE_1)
	s_and_b32 s14, s14, exec_lo
                                        ; implicit-def: $vgpr10
	s_or_saveexec_b32 s35, s35
	v_mov_b32_e32 v9, s34
	s_xor_b32 exec_lo, exec_lo, s35
	s_cbranch_execz .LBB6_10830
.LBB6_11170:                            ;   in Loop: Header=BB6_10651 Depth=3
	v_cmp_ne_u16_e32 vcc_lo, 0, v10
	v_mov_b32_e32 v9, 0
	s_and_not1_b32 s14, s14, exec_lo
	s_and_b32 vcc_lo, vcc_lo, exec_lo
	s_delay_alu instid0(SALU_CYCLE_1)
	s_or_b32 s14, s14, vcc_lo
	s_or_b32 exec_lo, exec_lo, s35
	s_and_saveexec_b32 s34, s14
	s_cbranch_execnz .LBB6_10831
	s_branch .LBB6_10832
.LBB6_11171:                            ;   in Loop: Header=BB6_10651 Depth=3
	s_mov_b32 s14, -1
	s_mov_b32 s36, exec_lo
                                        ; implicit-def: $sgpr34
	v_cmpx_eq_u16_e32 0x80, v8
; %bb.11172:                            ;   in Loop: Header=BB6_10651 Depth=3
	s_mov_b32 s34, 0x7f800001
	s_xor_b32 s14, exec_lo, -1
; %bb.11173:                            ;   in Loop: Header=BB6_10651 Depth=3
	s_or_b32 exec_lo, exec_lo, s36
	s_delay_alu instid0(SALU_CYCLE_1)
	s_and_b32 s14, s14, exec_lo
	s_or_saveexec_b32 s35, s35
	v_mov_b32_e32 v9, s34
	s_xor_b32 exec_lo, exec_lo, s35
	s_cbranch_execz .LBB6_10842
.LBB6_11174:                            ;   in Loop: Header=BB6_10651 Depth=3
	v_cmp_ne_u16_e32 vcc_lo, 0, v8
	v_mov_b32_e32 v9, 0
	s_and_not1_b32 s14, s14, exec_lo
	s_and_b32 vcc_lo, vcc_lo, exec_lo
	s_delay_alu instid0(SALU_CYCLE_1)
	s_or_b32 s14, s14, vcc_lo
	s_or_b32 exec_lo, exec_lo, s35
	s_and_saveexec_b32 s34, s14
	s_cbranch_execnz .LBB6_10843
	s_branch .LBB6_10844
.LBB6_11175:                            ;   in Loop: Header=BB6_10651 Depth=3
	s_mov_b32 s14, -1
	s_mov_b32 s35, exec_lo
                                        ; implicit-def: $sgpr15
	v_cmpx_eq_u16_e32 0x80, v27
; %bb.11176:                            ;   in Loop: Header=BB6_10651 Depth=3
	s_mov_b32 s15, 0x7f800001
	s_xor_b32 s14, exec_lo, -1
; %bb.11177:                            ;   in Loop: Header=BB6_10651 Depth=3
	s_or_b32 exec_lo, exec_lo, s35
	s_delay_alu instid0(SALU_CYCLE_1)
	s_and_b32 s14, s14, exec_lo
                                        ; implicit-def: $vgpr27
	s_or_saveexec_b32 s34, s34
	v_mov_b32_e32 v26, s15
	s_xor_b32 exec_lo, exec_lo, s34
	s_cbranch_execz .LBB6_10854
.LBB6_11178:                            ;   in Loop: Header=BB6_10651 Depth=3
	v_cmp_ne_u16_e32 vcc_lo, 0, v27
	v_mov_b32_e32 v26, 0
	s_and_not1_b32 s14, s14, exec_lo
	s_and_b32 s15, vcc_lo, exec_lo
	s_delay_alu instid0(SALU_CYCLE_1)
	s_or_b32 s14, s14, s15
	s_or_b32 exec_lo, exec_lo, s34
	s_and_saveexec_b32 s15, s14
	s_cbranch_execnz .LBB6_10855
	s_branch .LBB6_10856
.LBB6_11179:                            ;   in Loop: Header=BB6_10651 Depth=3
	s_mov_b32 s14, -1
	s_mov_b32 s35, exec_lo
                                        ; implicit-def: $sgpr15
	v_cmpx_eq_u16_e32 0x80, v36
; %bb.11180:                            ;   in Loop: Header=BB6_10651 Depth=3
	s_mov_b32 s15, 0x7f800001
	s_xor_b32 s14, exec_lo, -1
; %bb.11181:                            ;   in Loop: Header=BB6_10651 Depth=3
	s_or_b32 exec_lo, exec_lo, s35
	s_delay_alu instid0(SALU_CYCLE_1)
	s_and_b32 s14, s14, exec_lo
                                        ; implicit-def: $vgpr36
	s_or_saveexec_b32 s34, s34
	v_mov_b32_e32 v27, s15
	s_xor_b32 exec_lo, exec_lo, s34
	s_cbranch_execz .LBB6_10858
.LBB6_11182:                            ;   in Loop: Header=BB6_10651 Depth=3
	v_cmp_ne_u16_e32 vcc_lo, 0, v36
	v_mov_b32_e32 v27, 0
	s_and_not1_b32 s14, s14, exec_lo
	s_and_b32 s15, vcc_lo, exec_lo
	s_delay_alu instid0(SALU_CYCLE_1)
	s_or_b32 s14, s14, s15
	s_or_b32 exec_lo, exec_lo, s34
	s_and_saveexec_b32 s15, s14
	s_cbranch_execnz .LBB6_10859
	s_branch .LBB6_10860
.LBB6_11183:                            ;   in Loop: Header=BB6_10651 Depth=3
	s_mov_b32 s14, -1
	s_mov_b32 s35, exec_lo
                                        ; implicit-def: $sgpr15
	v_cmpx_eq_u16_e32 0x80, v27
; %bb.11184:                            ;   in Loop: Header=BB6_10651 Depth=3
	s_mov_b32 s15, 0x7f800001
	s_xor_b32 s14, exec_lo, -1
; %bb.11185:                            ;   in Loop: Header=BB6_10651 Depth=3
	s_or_b32 exec_lo, exec_lo, s35
	s_delay_alu instid0(SALU_CYCLE_1)
	s_and_b32 s14, s14, exec_lo
                                        ; implicit-def: $vgpr27
	s_or_saveexec_b32 s34, s34
	v_mov_b32_e32 v26, s15
	s_xor_b32 exec_lo, exec_lo, s34
	s_cbranch_execz .LBB6_10870
.LBB6_11186:                            ;   in Loop: Header=BB6_10651 Depth=3
	v_cmp_ne_u16_e32 vcc_lo, 0, v27
	v_mov_b32_e32 v26, 0
	s_and_not1_b32 s14, s14, exec_lo
	s_and_b32 s15, vcc_lo, exec_lo
	s_delay_alu instid0(SALU_CYCLE_1)
	s_or_b32 s14, s14, s15
	s_or_b32 exec_lo, exec_lo, s34
	s_and_saveexec_b32 s15, s14
	s_cbranch_execnz .LBB6_10871
	s_branch .LBB6_10872
.LBB6_11187:                            ;   in Loop: Header=BB6_10651 Depth=3
	s_mov_b32 s14, -1
	s_mov_b32 s35, exec_lo
                                        ; implicit-def: $sgpr15
	v_cmpx_eq_u16_e32 0x80, v27
; %bb.11188:                            ;   in Loop: Header=BB6_10651 Depth=3
	s_mov_b32 s15, 0x7f800001
	s_xor_b32 s14, exec_lo, -1
; %bb.11189:                            ;   in Loop: Header=BB6_10651 Depth=3
	s_or_b32 exec_lo, exec_lo, s35
	s_delay_alu instid0(SALU_CYCLE_1)
	s_and_b32 s14, s14, exec_lo
	s_or_saveexec_b32 s34, s34
	v_mov_b32_e32 v36, s15
	s_xor_b32 exec_lo, exec_lo, s34
	s_cbranch_execz .LBB6_10874
.LBB6_11190:                            ;   in Loop: Header=BB6_10651 Depth=3
	v_cmp_ne_u16_e32 vcc_lo, 0, v27
	v_mov_b32_e32 v36, 0
	s_and_not1_b32 s14, s14, exec_lo
	s_and_b32 s15, vcc_lo, exec_lo
	s_delay_alu instid0(SALU_CYCLE_1)
	s_or_b32 s14, s14, s15
	s_or_b32 exec_lo, exec_lo, s34
	s_and_saveexec_b32 s15, s14
	s_cbranch_execnz .LBB6_10875
	s_branch .LBB6_10876
.LBB6_11191:                            ;   in Loop: Header=BB6_10651 Depth=3
	s_mov_b32 s14, -1
	s_mov_b32 s35, exec_lo
                                        ; implicit-def: $sgpr15
	v_cmpx_eq_u16_e32 0x80, v27
; %bb.11192:                            ;   in Loop: Header=BB6_10651 Depth=3
	s_mov_b32 s15, 0x7f800001
	s_xor_b32 s14, exec_lo, -1
; %bb.11193:                            ;   in Loop: Header=BB6_10651 Depth=3
	s_or_b32 exec_lo, exec_lo, s35
	s_delay_alu instid0(SALU_CYCLE_1)
	s_and_b32 s14, s14, exec_lo
                                        ; implicit-def: $vgpr27
	s_or_saveexec_b32 s34, s34
	v_mov_b32_e32 v26, s15
	s_xor_b32 exec_lo, exec_lo, s34
	s_cbranch_execz .LBB6_10886
.LBB6_11194:                            ;   in Loop: Header=BB6_10651 Depth=3
	v_cmp_ne_u16_e32 vcc_lo, 0, v27
	v_mov_b32_e32 v26, 0
	s_and_not1_b32 s14, s14, exec_lo
	s_and_b32 s15, vcc_lo, exec_lo
	s_delay_alu instid0(SALU_CYCLE_1)
	s_or_b32 s14, s14, s15
	s_or_b32 exec_lo, exec_lo, s34
	s_and_saveexec_b32 s15, s14
	s_cbranch_execnz .LBB6_10887
	s_branch .LBB6_10888
.LBB6_11195:                            ;   in Loop: Header=BB6_10651 Depth=3
	s_mov_b32 s14, -1
	s_mov_b32 s35, exec_lo
                                        ; implicit-def: $sgpr15
	v_cmpx_eq_u16_e32 0x80, v37
; %bb.11196:                            ;   in Loop: Header=BB6_10651 Depth=3
	s_mov_b32 s15, 0x7f800001
	s_xor_b32 s14, exec_lo, -1
; %bb.11197:                            ;   in Loop: Header=BB6_10651 Depth=3
	s_or_b32 exec_lo, exec_lo, s35
	s_delay_alu instid0(SALU_CYCLE_1)
	s_and_b32 s14, s14, exec_lo
                                        ; implicit-def: $vgpr37
	s_or_saveexec_b32 s34, s34
	v_mov_b32_e32 v36, s15
	s_xor_b32 exec_lo, exec_lo, s34
	s_cbranch_execz .LBB6_10890
.LBB6_11198:                            ;   in Loop: Header=BB6_10651 Depth=3
	v_cmp_ne_u16_e32 vcc_lo, 0, v37
	v_mov_b32_e32 v36, 0
	s_and_not1_b32 s14, s14, exec_lo
	s_and_b32 s15, vcc_lo, exec_lo
	s_delay_alu instid0(SALU_CYCLE_1)
	s_or_b32 s14, s14, s15
	s_or_b32 exec_lo, exec_lo, s34
	s_and_saveexec_b32 s15, s14
	s_cbranch_execnz .LBB6_10891
	s_branch .LBB6_10892
.LBB6_11199:                            ;   in Loop: Header=BB6_10651 Depth=3
	s_mov_b32 s14, -1
	s_mov_b32 s35, exec_lo
                                        ; implicit-def: $sgpr15
	v_cmpx_eq_u16_e32 0x80, v27
; %bb.11200:                            ;   in Loop: Header=BB6_10651 Depth=3
	s_mov_b32 s15, 0x7f800001
	s_xor_b32 s14, exec_lo, -1
; %bb.11201:                            ;   in Loop: Header=BB6_10651 Depth=3
	s_or_b32 exec_lo, exec_lo, s35
	s_delay_alu instid0(SALU_CYCLE_1)
	s_and_b32 s14, s14, exec_lo
	s_or_saveexec_b32 s34, s34
	v_mov_b32_e32 v26, s15
	s_xor_b32 exec_lo, exec_lo, s34
	s_cbranch_execz .LBB6_10902
.LBB6_11202:                            ;   in Loop: Header=BB6_10651 Depth=3
	v_cmp_ne_u16_e32 vcc_lo, 0, v27
	v_mov_b32_e32 v26, 0
	s_and_not1_b32 s14, s14, exec_lo
	s_and_b32 s15, vcc_lo, exec_lo
	s_delay_alu instid0(SALU_CYCLE_1)
	s_or_b32 s14, s14, s15
	s_or_b32 exec_lo, exec_lo, s34
	s_and_saveexec_b32 s15, s14
	s_cbranch_execnz .LBB6_10903
	s_branch .LBB6_10904
.LBB6_11203:                            ;   in Loop: Header=BB6_10651 Depth=3
	s_mov_b32 s14, -1
	s_mov_b32 s35, exec_lo
                                        ; implicit-def: $sgpr15
	v_cmpx_eq_u16_e32 0x80, v27
; %bb.11204:                            ;   in Loop: Header=BB6_10651 Depth=3
	s_mov_b32 s15, 0x7f800001
	s_xor_b32 s14, exec_lo, -1
; %bb.11205:                            ;   in Loop: Header=BB6_10651 Depth=3
	s_or_b32 exec_lo, exec_lo, s35
	s_delay_alu instid0(SALU_CYCLE_1)
	s_and_b32 s14, s14, exec_lo
	s_or_saveexec_b32 s34, s34
	v_mov_b32_e32 v36, s15
	s_xor_b32 exec_lo, exec_lo, s34
	s_cbranch_execz .LBB6_10906
.LBB6_11206:                            ;   in Loop: Header=BB6_10651 Depth=3
	v_cmp_ne_u16_e32 vcc_lo, 0, v27
	v_mov_b32_e32 v36, 0
	s_and_not1_b32 s14, s14, exec_lo
	s_and_b32 s15, vcc_lo, exec_lo
	s_delay_alu instid0(SALU_CYCLE_1)
	s_or_b32 s14, s14, s15
	s_or_b32 exec_lo, exec_lo, s34
	s_and_saveexec_b32 s15, s14
	s_cbranch_execnz .LBB6_10907
	s_branch .LBB6_10908
.LBB6_11207:                            ;   in Loop: Header=BB6_10651 Depth=3
	s_mov_b32 s14, -1
	s_mov_b32 s35, exec_lo
                                        ; implicit-def: $sgpr15
	v_cmpx_eq_u16_e32 0x80, v36
; %bb.11208:                            ;   in Loop: Header=BB6_10651 Depth=3
	s_mov_b32 s15, 0x7f800001
	s_xor_b32 s14, exec_lo, -1
; %bb.11209:                            ;   in Loop: Header=BB6_10651 Depth=3
	s_or_b32 exec_lo, exec_lo, s35
	s_delay_alu instid0(SALU_CYCLE_1)
	s_and_b32 s14, s14, exec_lo
                                        ; implicit-def: $vgpr36
	s_or_saveexec_b32 s34, s34
	v_mov_b32_e32 v27, s15
	s_xor_b32 exec_lo, exec_lo, s34
	s_cbranch_execz .LBB6_10918
.LBB6_11210:                            ;   in Loop: Header=BB6_10651 Depth=3
	v_cmp_ne_u16_e32 vcc_lo, 0, v36
	v_mov_b32_e32 v27, 0
	s_and_not1_b32 s14, s14, exec_lo
	s_and_b32 s15, vcc_lo, exec_lo
	s_delay_alu instid0(SALU_CYCLE_1)
	s_or_b32 s14, s14, s15
	s_or_b32 exec_lo, exec_lo, s34
	s_and_saveexec_b32 s15, s14
	s_cbranch_execnz .LBB6_10919
	s_branch .LBB6_10920
.LBB6_11211:                            ;   in Loop: Header=BB6_10651 Depth=3
	s_mov_b32 s14, -1
	s_mov_b32 s35, exec_lo
                                        ; implicit-def: $sgpr15
	v_cmpx_eq_u16_e32 0x80, v37
; %bb.11212:                            ;   in Loop: Header=BB6_10651 Depth=3
	s_mov_b32 s15, 0x7f800001
	s_xor_b32 s14, exec_lo, -1
; %bb.11213:                            ;   in Loop: Header=BB6_10651 Depth=3
	s_or_b32 exec_lo, exec_lo, s35
	s_delay_alu instid0(SALU_CYCLE_1)
	s_and_b32 s14, s14, exec_lo
                                        ; implicit-def: $vgpr37
	s_or_saveexec_b32 s34, s34
	v_mov_b32_e32 v36, s15
	s_xor_b32 exec_lo, exec_lo, s34
	s_cbranch_execz .LBB6_10922
.LBB6_11214:                            ;   in Loop: Header=BB6_10651 Depth=3
	v_cmp_ne_u16_e32 vcc_lo, 0, v37
	v_mov_b32_e32 v36, 0
	s_and_not1_b32 s14, s14, exec_lo
	s_and_b32 s15, vcc_lo, exec_lo
	s_delay_alu instid0(SALU_CYCLE_1)
	s_or_b32 s14, s14, s15
	s_or_b32 exec_lo, exec_lo, s34
	s_and_saveexec_b32 s15, s14
	s_cbranch_execnz .LBB6_10923
	s_branch .LBB6_10924
.LBB6_11215:                            ;   in Loop: Header=BB6_10651 Depth=3
	s_mov_b32 s14, -1
	s_mov_b32 s35, exec_lo
                                        ; implicit-def: $sgpr15
	v_cmpx_eq_u16_e32 0x80, v36
; %bb.11216:                            ;   in Loop: Header=BB6_10651 Depth=3
	s_mov_b32 s15, 0x7f800001
	s_xor_b32 s14, exec_lo, -1
; %bb.11217:                            ;   in Loop: Header=BB6_10651 Depth=3
	s_or_b32 exec_lo, exec_lo, s35
	s_delay_alu instid0(SALU_CYCLE_1)
	s_and_b32 s14, s14, exec_lo
	s_or_saveexec_b32 s34, s34
	v_mov_b32_e32 v27, s15
	s_xor_b32 exec_lo, exec_lo, s34
	s_cbranch_execz .LBB6_10934
.LBB6_11218:                            ;   in Loop: Header=BB6_10651 Depth=3
	v_cmp_ne_u16_e32 vcc_lo, 0, v36
	v_mov_b32_e32 v27, 0
	s_and_not1_b32 s14, s14, exec_lo
	s_and_b32 s15, vcc_lo, exec_lo
	s_delay_alu instid0(SALU_CYCLE_1)
	s_or_b32 s14, s14, s15
	s_or_b32 exec_lo, exec_lo, s34
	s_and_saveexec_b32 s15, s14
	s_cbranch_execnz .LBB6_10935
	s_branch .LBB6_10936
.LBB6_11219:                            ;   in Loop: Header=BB6_10651 Depth=3
	s_mov_b32 s14, -1
	s_mov_b32 s35, exec_lo
                                        ; implicit-def: $sgpr15
	v_cmpx_eq_u16_e32 0x80, v36
; %bb.11220:                            ;   in Loop: Header=BB6_10651 Depth=3
	s_mov_b32 s15, 0x7f800001
	s_xor_b32 s14, exec_lo, -1
; %bb.11221:                            ;   in Loop: Header=BB6_10651 Depth=3
	s_or_b32 exec_lo, exec_lo, s35
	s_delay_alu instid0(SALU_CYCLE_1)
	s_and_b32 s14, s14, exec_lo
	s_or_saveexec_b32 s34, s34
	v_mov_b32_e32 v37, s15
	s_xor_b32 exec_lo, exec_lo, s34
	s_cbranch_execz .LBB6_10938
.LBB6_11222:                            ;   in Loop: Header=BB6_10651 Depth=3
	v_cmp_ne_u16_e32 vcc_lo, 0, v36
	v_mov_b32_e32 v37, 0
	s_and_not1_b32 s14, s14, exec_lo
	s_and_b32 s15, vcc_lo, exec_lo
	s_delay_alu instid0(SALU_CYCLE_1)
	s_or_b32 s14, s14, s15
	s_or_b32 exec_lo, exec_lo, s34
	s_and_saveexec_b32 s15, s14
	s_cbranch_execnz .LBB6_10939
	s_branch .LBB6_10940
.LBB6_11223:                            ;   in Loop: Header=BB6_10651 Depth=3
	s_mov_b32 s14, -1
	s_mov_b32 s35, exec_lo
                                        ; implicit-def: $sgpr15
	v_cmpx_eq_u16_e32 0x80, v37
; %bb.11224:                            ;   in Loop: Header=BB6_10651 Depth=3
	s_mov_b32 s15, 0x7f800001
	s_xor_b32 s14, exec_lo, -1
; %bb.11225:                            ;   in Loop: Header=BB6_10651 Depth=3
	s_or_b32 exec_lo, exec_lo, s35
	s_delay_alu instid0(SALU_CYCLE_1)
	s_and_b32 s14, s14, exec_lo
                                        ; implicit-def: $vgpr37
	s_or_saveexec_b32 s34, s34
	v_mov_b32_e32 v27, s15
	s_xor_b32 exec_lo, exec_lo, s34
	s_cbranch_execz .LBB6_10950
.LBB6_11226:                            ;   in Loop: Header=BB6_10651 Depth=3
	v_cmp_ne_u16_e32 vcc_lo, 0, v37
	v_mov_b32_e32 v27, 0
	s_and_not1_b32 s14, s14, exec_lo
	s_and_b32 s15, vcc_lo, exec_lo
	s_delay_alu instid0(SALU_CYCLE_1)
	s_or_b32 s14, s14, s15
	s_or_b32 exec_lo, exec_lo, s34
	v_lshl_or_b32 v26, v36, 16, v26
	s_and_saveexec_b32 s15, s14
	s_cbranch_execnz .LBB6_10951
	s_branch .LBB6_10952
.LBB6_11227:                            ;   in Loop: Header=BB6_10651 Depth=3
	s_mov_b32 s14, -1
	s_mov_b32 s35, exec_lo
                                        ; implicit-def: $sgpr15
	v_cmpx_eq_u16_e32 0x80, v38
; %bb.11228:                            ;   in Loop: Header=BB6_10651 Depth=3
	s_mov_b32 s15, 0x7f800001
	s_xor_b32 s14, exec_lo, -1
; %bb.11229:                            ;   in Loop: Header=BB6_10651 Depth=3
	s_or_b32 exec_lo, exec_lo, s35
	s_delay_alu instid0(SALU_CYCLE_1)
	s_and_b32 s14, s14, exec_lo
                                        ; implicit-def: $vgpr38
	s_or_saveexec_b32 s34, s34
	v_mov_b32_e32 v37, s15
	s_xor_b32 exec_lo, exec_lo, s34
	s_cbranch_execz .LBB6_10954
.LBB6_11230:                            ;   in Loop: Header=BB6_10651 Depth=3
	v_cmp_ne_u16_e32 vcc_lo, 0, v38
	v_mov_b32_e32 v37, 0
	s_and_not1_b32 s14, s14, exec_lo
	s_and_b32 s15, vcc_lo, exec_lo
	s_delay_alu instid0(SALU_CYCLE_1)
	s_or_b32 s14, s14, s15
	s_or_b32 exec_lo, exec_lo, s34
	s_and_saveexec_b32 s15, s14
	s_cbranch_execnz .LBB6_10955
	s_branch .LBB6_10956
.LBB6_11231:                            ;   in Loop: Header=BB6_10651 Depth=3
	s_mov_b32 s14, -1
	s_mov_b32 s35, exec_lo
                                        ; implicit-def: $sgpr15
	v_cmpx_eq_u16_e32 0x80, v36
; %bb.11232:                            ;   in Loop: Header=BB6_10651 Depth=3
	s_mov_b32 s15, 0x7f800001
	s_xor_b32 s14, exec_lo, -1
; %bb.11233:                            ;   in Loop: Header=BB6_10651 Depth=3
	s_or_b32 exec_lo, exec_lo, s35
	s_delay_alu instid0(SALU_CYCLE_1)
	s_and_b32 s14, s14, exec_lo
	s_or_saveexec_b32 s34, s34
	v_mov_b32_e32 v27, s15
	s_xor_b32 exec_lo, exec_lo, s34
	s_cbranch_execz .LBB6_10966
.LBB6_11234:                            ;   in Loop: Header=BB6_10651 Depth=3
	v_cmp_ne_u16_e32 vcc_lo, 0, v36
	v_mov_b32_e32 v27, 0
	s_and_not1_b32 s14, s14, exec_lo
	s_and_b32 s15, vcc_lo, exec_lo
	s_delay_alu instid0(SALU_CYCLE_1)
	s_or_b32 s14, s14, s15
	s_or_b32 exec_lo, exec_lo, s34
	s_and_saveexec_b32 s15, s14
	s_cbranch_execnz .LBB6_10967
	s_branch .LBB6_10968
.LBB6_11235:                            ;   in Loop: Header=BB6_10651 Depth=3
	s_mov_b32 s14, -1
	s_mov_b32 s35, exec_lo
                                        ; implicit-def: $sgpr15
	v_cmpx_eq_u16_e32 0x80, v26
; %bb.11236:                            ;   in Loop: Header=BB6_10651 Depth=3
	s_mov_b32 s15, 0x7f800001
	s_xor_b32 s14, exec_lo, -1
; %bb.11237:                            ;   in Loop: Header=BB6_10651 Depth=3
	s_or_b32 exec_lo, exec_lo, s35
	s_delay_alu instid0(SALU_CYCLE_1)
	s_and_b32 s14, s14, exec_lo
	s_or_saveexec_b32 s34, s34
	v_mov_b32_e32 v36, s15
	s_xor_b32 exec_lo, exec_lo, s34
	s_cbranch_execz .LBB6_10970
.LBB6_11238:                            ;   in Loop: Header=BB6_10651 Depth=3
	v_cmp_ne_u16_e32 vcc_lo, 0, v26
	v_mov_b32_e32 v36, 0
	s_and_not1_b32 s14, s14, exec_lo
	s_and_b32 s15, vcc_lo, exec_lo
	s_delay_alu instid0(SALU_CYCLE_1)
	s_or_b32 s14, s14, s15
	s_or_b32 exec_lo, exec_lo, s34
	s_and_saveexec_b32 s15, s14
	s_cbranch_execnz .LBB6_10971
	s_branch .LBB6_10972
.LBB6_11239:                            ;   in Loop: Header=BB6_10651 Depth=3
	s_mov_b32 s14, -1
	s_mov_b32 s35, exec_lo
                                        ; implicit-def: $sgpr15
	v_cmpx_eq_u16_e32 0x80, v27
; %bb.11240:                            ;   in Loop: Header=BB6_10651 Depth=3
	s_mov_b32 s15, 0x7f800001
	s_xor_b32 s14, exec_lo, -1
; %bb.11241:                            ;   in Loop: Header=BB6_10651 Depth=3
	s_or_b32 exec_lo, exec_lo, s35
	s_delay_alu instid0(SALU_CYCLE_1)
	s_and_b32 s14, s14, exec_lo
                                        ; implicit-def: $vgpr27
	s_or_saveexec_b32 s34, s34
	v_mov_b32_e32 v26, s15
	s_xor_b32 exec_lo, exec_lo, s34
	s_cbranch_execz .LBB6_10982
.LBB6_11242:                            ;   in Loop: Header=BB6_10651 Depth=3
	v_cmp_ne_u16_e32 vcc_lo, 0, v27
	v_mov_b32_e32 v26, 0
	s_and_not1_b32 s14, s14, exec_lo
	s_and_b32 s15, vcc_lo, exec_lo
	s_delay_alu instid0(SALU_CYCLE_1)
	s_or_b32 s14, s14, s15
	s_or_b32 exec_lo, exec_lo, s34
	s_and_saveexec_b32 s15, s14
	s_cbranch_execnz .LBB6_10983
	s_branch .LBB6_10984
.LBB6_11243:                            ;   in Loop: Header=BB6_10651 Depth=3
	s_mov_b32 s14, -1
	s_mov_b32 s35, exec_lo
                                        ; implicit-def: $sgpr15
	v_cmpx_eq_u16_e32 0x80, v36
; %bb.11244:                            ;   in Loop: Header=BB6_10651 Depth=3
	s_mov_b32 s15, 0x7f800001
	s_xor_b32 s14, exec_lo, -1
; %bb.11245:                            ;   in Loop: Header=BB6_10651 Depth=3
	s_or_b32 exec_lo, exec_lo, s35
	s_delay_alu instid0(SALU_CYCLE_1)
	s_and_b32 s14, s14, exec_lo
                                        ; implicit-def: $vgpr36
	s_or_saveexec_b32 s34, s34
	v_mov_b32_e32 v27, s15
	s_xor_b32 exec_lo, exec_lo, s34
	s_cbranch_execz .LBB6_10986
.LBB6_11246:                            ;   in Loop: Header=BB6_10651 Depth=3
	v_cmp_ne_u16_e32 vcc_lo, 0, v36
	v_mov_b32_e32 v27, 0
	s_and_not1_b32 s14, s14, exec_lo
	s_and_b32 s15, vcc_lo, exec_lo
	s_delay_alu instid0(SALU_CYCLE_1)
	s_or_b32 s14, s14, s15
	s_or_b32 exec_lo, exec_lo, s34
	s_and_saveexec_b32 s15, s14
	s_cbranch_execnz .LBB6_10987
	s_branch .LBB6_10988
.LBB6_11247:                            ;   in Loop: Header=BB6_10651 Depth=3
	s_mov_b32 s14, -1
	s_mov_b32 s35, exec_lo
                                        ; implicit-def: $sgpr15
	v_cmpx_eq_u16_e32 0x80, v27
; %bb.11248:                            ;   in Loop: Header=BB6_10651 Depth=3
	s_mov_b32 s15, 0x7f800001
	s_xor_b32 s14, exec_lo, -1
; %bb.11249:                            ;   in Loop: Header=BB6_10651 Depth=3
	s_or_b32 exec_lo, exec_lo, s35
	s_delay_alu instid0(SALU_CYCLE_1)
	s_and_b32 s14, s14, exec_lo
                                        ; implicit-def: $vgpr27
	s_or_saveexec_b32 s34, s34
	v_mov_b32_e32 v26, s15
	s_xor_b32 exec_lo, exec_lo, s34
	s_cbranch_execz .LBB6_10998
.LBB6_11250:                            ;   in Loop: Header=BB6_10651 Depth=3
	v_cmp_ne_u16_e32 vcc_lo, 0, v27
	v_mov_b32_e32 v26, 0
	s_and_not1_b32 s14, s14, exec_lo
	s_and_b32 s15, vcc_lo, exec_lo
	s_delay_alu instid0(SALU_CYCLE_1)
	s_or_b32 s14, s14, s15
	s_or_b32 exec_lo, exec_lo, s34
	s_and_saveexec_b32 s15, s14
	s_cbranch_execnz .LBB6_10999
	s_branch .LBB6_11000
.LBB6_11251:                            ;   in Loop: Header=BB6_10651 Depth=3
	s_mov_b32 s14, -1
	s_mov_b32 s35, exec_lo
                                        ; implicit-def: $sgpr15
	v_cmpx_eq_u16_e32 0x80, v27
; %bb.11252:                            ;   in Loop: Header=BB6_10651 Depth=3
	s_mov_b32 s15, 0x7f800001
	s_xor_b32 s14, exec_lo, -1
; %bb.11253:                            ;   in Loop: Header=BB6_10651 Depth=3
	s_or_b32 exec_lo, exec_lo, s35
	s_delay_alu instid0(SALU_CYCLE_1)
	s_and_b32 s14, s14, exec_lo
	s_or_saveexec_b32 s34, s34
	v_mov_b32_e32 v37, s15
	s_xor_b32 exec_lo, exec_lo, s34
	s_cbranch_execz .LBB6_11002
.LBB6_11254:                            ;   in Loop: Header=BB6_10651 Depth=3
	v_cmp_ne_u16_e32 vcc_lo, 0, v27
	v_mov_b32_e32 v37, 0
	s_and_not1_b32 s14, s14, exec_lo
	s_and_b32 s15, vcc_lo, exec_lo
	s_delay_alu instid0(SALU_CYCLE_1)
	s_or_b32 s14, s14, s15
	s_or_b32 exec_lo, exec_lo, s34
	s_and_saveexec_b32 s15, s14
	s_cbranch_execnz .LBB6_11003
	s_branch .LBB6_11004
.LBB6_11255:                            ;   in Loop: Header=BB6_10651 Depth=3
	s_mov_b32 s14, -1
	s_mov_b32 s35, exec_lo
                                        ; implicit-def: $sgpr15
	v_cmpx_eq_u16_e32 0x80, v37
; %bb.11256:                            ;   in Loop: Header=BB6_10651 Depth=3
	s_mov_b32 s15, 0x7f800001
	s_xor_b32 s14, exec_lo, -1
; %bb.11257:                            ;   in Loop: Header=BB6_10651 Depth=3
	s_or_b32 exec_lo, exec_lo, s35
	s_delay_alu instid0(SALU_CYCLE_1)
	s_and_b32 s14, s14, exec_lo
                                        ; implicit-def: $vgpr37
	s_or_saveexec_b32 s34, s34
	v_mov_b32_e32 v27, s15
	s_xor_b32 exec_lo, exec_lo, s34
	s_cbranch_execz .LBB6_11014
.LBB6_11258:                            ;   in Loop: Header=BB6_10651 Depth=3
	v_cmp_ne_u16_e32 vcc_lo, 0, v37
	v_mov_b32_e32 v27, 0
	s_and_not1_b32 s14, s14, exec_lo
	s_and_b32 s15, vcc_lo, exec_lo
	s_delay_alu instid0(SALU_CYCLE_1)
	s_or_b32 s14, s14, s15
	s_or_b32 exec_lo, exec_lo, s34
	s_and_saveexec_b32 s15, s14
	s_cbranch_execnz .LBB6_11015
	s_branch .LBB6_11016
.LBB6_11259:                            ;   in Loop: Header=BB6_10651 Depth=3
	s_mov_b32 s14, -1
	s_mov_b32 s35, exec_lo
                                        ; implicit-def: $sgpr15
	v_cmpx_eq_u16_e32 0x80, v39
; %bb.11260:                            ;   in Loop: Header=BB6_10651 Depth=3
	s_mov_b32 s15, 0x7f800001
	s_xor_b32 s14, exec_lo, -1
; %bb.11261:                            ;   in Loop: Header=BB6_10651 Depth=3
	s_or_b32 exec_lo, exec_lo, s35
	s_delay_alu instid0(SALU_CYCLE_1)
	s_and_b32 s14, s14, exec_lo
                                        ; implicit-def: $vgpr39
	s_or_saveexec_b32 s34, s34
	v_mov_b32_e32 v38, s15
	s_xor_b32 exec_lo, exec_lo, s34
	s_cbranch_execz .LBB6_11018
.LBB6_11262:                            ;   in Loop: Header=BB6_10651 Depth=3
	v_cmp_ne_u16_e32 vcc_lo, 0, v39
	v_mov_b32_e32 v38, 0
	s_and_not1_b32 s14, s14, exec_lo
	s_and_b32 s15, vcc_lo, exec_lo
	s_delay_alu instid0(SALU_CYCLE_1)
	s_or_b32 s14, s14, s15
	s_or_b32 exec_lo, exec_lo, s34
	s_and_saveexec_b32 s15, s14
	s_cbranch_execnz .LBB6_11019
	s_branch .LBB6_11020
.LBB6_11263:                            ;   in Loop: Header=BB6_10651 Depth=3
	s_mov_b32 s14, -1
	s_mov_b32 s35, exec_lo
                                        ; implicit-def: $sgpr15
	v_cmpx_eq_u16_e32 0x80, v38
; %bb.11264:                            ;   in Loop: Header=BB6_10651 Depth=3
	s_mov_b32 s15, 0x7f800001
	s_xor_b32 s14, exec_lo, -1
; %bb.11265:                            ;   in Loop: Header=BB6_10651 Depth=3
	s_or_b32 exec_lo, exec_lo, s35
	s_delay_alu instid0(SALU_CYCLE_1)
	s_and_b32 s14, s14, exec_lo
	s_or_saveexec_b32 s34, s34
	v_mov_b32_e32 v37, s15
	s_xor_b32 exec_lo, exec_lo, s34
	s_cbranch_execz .LBB6_11030
.LBB6_11266:                            ;   in Loop: Header=BB6_10651 Depth=3
	v_cmp_ne_u16_e32 vcc_lo, 0, v38
	v_mov_b32_e32 v37, 0
	s_and_not1_b32 s14, s14, exec_lo
	s_and_b32 s15, vcc_lo, exec_lo
	s_delay_alu instid0(SALU_CYCLE_1)
	s_or_b32 s14, s14, s15
	s_or_b32 exec_lo, exec_lo, s34
	s_and_saveexec_b32 s15, s14
	s_cbranch_execnz .LBB6_11031
	s_branch .LBB6_11032
.LBB6_11267:                            ;   in Loop: Header=BB6_10651 Depth=3
	s_mov_b32 s14, -1
	s_mov_b32 s35, exec_lo
                                        ; implicit-def: $sgpr15
	v_cmpx_eq_u16_e32 0x80, v38
; %bb.11268:                            ;   in Loop: Header=BB6_10651 Depth=3
	s_mov_b32 s15, 0x7f800001
	s_xor_b32 s14, exec_lo, -1
; %bb.11269:                            ;   in Loop: Header=BB6_10651 Depth=3
	s_or_b32 exec_lo, exec_lo, s35
	s_delay_alu instid0(SALU_CYCLE_1)
	s_and_b32 s14, s14, exec_lo
	s_or_saveexec_b32 s34, s34
	v_mov_b32_e32 v39, s15
	s_xor_b32 exec_lo, exec_lo, s34
	s_cbranch_execz .LBB6_11034
.LBB6_11270:                            ;   in Loop: Header=BB6_10651 Depth=3
	v_cmp_ne_u16_e32 vcc_lo, 0, v38
	v_mov_b32_e32 v39, 0
	s_and_not1_b32 s14, s14, exec_lo
	s_and_b32 s15, vcc_lo, exec_lo
	s_delay_alu instid0(SALU_CYCLE_1)
	s_or_b32 s14, s14, s15
	s_or_b32 exec_lo, exec_lo, s34
	s_and_saveexec_b32 s15, s14
	s_cbranch_execnz .LBB6_11035
	s_branch .LBB6_11036
.LBB6_11271:                            ;   in Loop: Header=BB6_10651 Depth=3
	s_mov_b32 s14, -1
	s_mov_b32 s35, exec_lo
                                        ; implicit-def: $sgpr15
	v_cmpx_eq_u16_e32 0x80, v39
; %bb.11272:                            ;   in Loop: Header=BB6_10651 Depth=3
	s_mov_b32 s15, 0x7f800001
	s_xor_b32 s14, exec_lo, -1
; %bb.11273:                            ;   in Loop: Header=BB6_10651 Depth=3
	s_or_b32 exec_lo, exec_lo, s35
	s_delay_alu instid0(SALU_CYCLE_1)
	s_and_b32 s14, s14, exec_lo
                                        ; implicit-def: $vgpr39
	s_or_saveexec_b32 s34, s34
	v_mov_b32_e32 v37, s15
	s_xor_b32 exec_lo, exec_lo, s34
	s_cbranch_execz .LBB6_11046
.LBB6_11274:                            ;   in Loop: Header=BB6_10651 Depth=3
	v_cmp_ne_u16_e32 vcc_lo, 0, v39
	v_mov_b32_e32 v37, 0
	s_and_not1_b32 s14, s14, exec_lo
	s_and_b32 s15, vcc_lo, exec_lo
	s_delay_alu instid0(SALU_CYCLE_1)
	s_or_b32 s14, s14, s15
	s_or_b32 exec_lo, exec_lo, s34
	s_and_saveexec_b32 s15, s14
	s_cbranch_execnz .LBB6_11047
	s_branch .LBB6_11048
.LBB6_11275:                            ;   in Loop: Header=BB6_10651 Depth=3
	s_mov_b32 s14, -1
	s_mov_b32 s35, exec_lo
                                        ; implicit-def: $sgpr15
	v_cmpx_eq_u16_e32 0x80, v48
; %bb.11276:                            ;   in Loop: Header=BB6_10651 Depth=3
	s_mov_b32 s15, 0x7f800001
	s_xor_b32 s14, exec_lo, -1
; %bb.11277:                            ;   in Loop: Header=BB6_10651 Depth=3
	s_or_b32 exec_lo, exec_lo, s35
	s_delay_alu instid0(SALU_CYCLE_1)
	s_and_b32 s14, s14, exec_lo
                                        ; implicit-def: $vgpr48
	s_or_saveexec_b32 s34, s34
	v_mov_b32_e32 v39, s15
	s_xor_b32 exec_lo, exec_lo, s34
	s_cbranch_execz .LBB6_11050
.LBB6_11278:                            ;   in Loop: Header=BB6_10651 Depth=3
	v_cmp_ne_u16_e32 vcc_lo, 0, v48
	v_mov_b32_e32 v39, 0
	s_and_not1_b32 s14, s14, exec_lo
	s_and_b32 s15, vcc_lo, exec_lo
	s_delay_alu instid0(SALU_CYCLE_1)
	s_or_b32 s14, s14, s15
	s_or_b32 exec_lo, exec_lo, s34
	s_and_saveexec_b32 s15, s14
	s_cbranch_execnz .LBB6_11051
	s_branch .LBB6_11052
.LBB6_11279:                            ;   in Loop: Header=BB6_10651 Depth=3
	s_mov_b32 s14, -1
	s_mov_b32 s35, exec_lo
                                        ; implicit-def: $sgpr15
	v_cmpx_eq_u16_e32 0x80, v48
; %bb.11280:                            ;   in Loop: Header=BB6_10651 Depth=3
	s_mov_b32 s15, 0x7f800001
	s_xor_b32 s14, exec_lo, -1
; %bb.11281:                            ;   in Loop: Header=BB6_10651 Depth=3
	s_or_b32 exec_lo, exec_lo, s35
	s_delay_alu instid0(SALU_CYCLE_1)
	s_and_b32 s14, s14, exec_lo
	s_or_saveexec_b32 s34, s34
	v_mov_b32_e32 v39, s15
	s_xor_b32 exec_lo, exec_lo, s34
	s_cbranch_execz .LBB6_11062
.LBB6_11282:                            ;   in Loop: Header=BB6_10651 Depth=3
	v_cmp_ne_u16_e32 vcc_lo, 0, v48
	v_mov_b32_e32 v39, 0
	s_and_not1_b32 s14, s14, exec_lo
	s_and_b32 s15, vcc_lo, exec_lo
	s_delay_alu instid0(SALU_CYCLE_1)
	s_or_b32 s14, s14, s15
	s_or_b32 exec_lo, exec_lo, s34
	s_and_saveexec_b32 s15, s14
	s_cbranch_execnz .LBB6_11063
	s_branch .LBB6_11064
.LBB6_11283:                            ;   in Loop: Header=BB6_10651 Depth=3
	s_mov_b32 s14, -1
	s_mov_b32 s35, exec_lo
                                        ; implicit-def: $sgpr15
	v_cmpx_eq_u16_e32 0x80, v48
; %bb.11284:                            ;   in Loop: Header=BB6_10651 Depth=3
	s_mov_b32 s15, 0x7f800001
	s_xor_b32 s14, exec_lo, -1
; %bb.11285:                            ;   in Loop: Header=BB6_10651 Depth=3
	s_or_b32 exec_lo, exec_lo, s35
	s_delay_alu instid0(SALU_CYCLE_1)
	s_and_b32 s14, s14, exec_lo
	s_or_saveexec_b32 s34, s34
	v_mov_b32_e32 v49, s15
	s_xor_b32 exec_lo, exec_lo, s34
	s_cbranch_execz .LBB6_11066
.LBB6_11286:                            ;   in Loop: Header=BB6_10651 Depth=3
	v_cmp_ne_u16_e32 vcc_lo, 0, v48
	v_mov_b32_e32 v49, 0
	s_and_not1_b32 s14, s14, exec_lo
	s_and_b32 s15, vcc_lo, exec_lo
	s_delay_alu instid0(SALU_CYCLE_1)
	s_or_b32 s14, s14, s15
	s_or_b32 exec_lo, exec_lo, s34
	s_and_saveexec_b32 s15, s14
	s_cbranch_execnz .LBB6_11067
	s_branch .LBB6_11068
.LBB6_11287:                            ;   in Loop: Header=BB6_10651 Depth=3
	s_mov_b32 s14, -1
	s_mov_b32 s35, exec_lo
                                        ; implicit-def: $sgpr15
	v_cmpx_eq_u16_e32 0x80, v52
; %bb.11288:                            ;   in Loop: Header=BB6_10651 Depth=3
	s_mov_b32 s15, 0x7f800001
	s_xor_b32 s14, exec_lo, -1
; %bb.11289:                            ;   in Loop: Header=BB6_10651 Depth=3
	s_or_b32 exec_lo, exec_lo, s35
	s_delay_alu instid0(SALU_CYCLE_1)
	s_and_b32 s14, s14, exec_lo
                                        ; implicit-def: $vgpr52
	s_or_saveexec_b32 s34, s34
	v_mov_b32_e32 v49, s15
	s_xor_b32 exec_lo, exec_lo, s34
	s_cbranch_execz .LBB6_11078
.LBB6_11290:                            ;   in Loop: Header=BB6_10651 Depth=3
	v_cmp_ne_u16_e32 vcc_lo, 0, v52
	v_mov_b32_e32 v49, 0
	s_and_not1_b32 s14, s14, exec_lo
	s_and_b32 s15, vcc_lo, exec_lo
	s_delay_alu instid0(SALU_CYCLE_1)
	s_or_b32 s14, s14, s15
	s_or_b32 exec_lo, exec_lo, s34
	v_lshl_or_b32 v48, v48, 16, v38
	s_and_saveexec_b32 s15, s14
	s_cbranch_execnz .LBB6_11079
	s_branch .LBB6_11080
.LBB6_11291:                            ;   in Loop: Header=BB6_10651 Depth=3
	s_mov_b32 s14, -1
	s_mov_b32 s35, exec_lo
                                        ; implicit-def: $sgpr15
	v_cmpx_eq_u16_e32 0x80, v53
; %bb.11292:                            ;   in Loop: Header=BB6_10651 Depth=3
	s_mov_b32 s15, 0x7f800001
	s_xor_b32 s14, exec_lo, -1
; %bb.11293:                            ;   in Loop: Header=BB6_10651 Depth=3
	s_or_b32 exec_lo, exec_lo, s35
	s_delay_alu instid0(SALU_CYCLE_1)
	s_and_b32 s14, s14, exec_lo
                                        ; implicit-def: $vgpr53
	s_or_saveexec_b32 s34, s34
	v_mov_b32_e32 v52, s15
	s_xor_b32 exec_lo, exec_lo, s34
	s_cbranch_execz .LBB6_11082
.LBB6_11294:                            ;   in Loop: Header=BB6_10651 Depth=3
	v_cmp_ne_u16_e32 vcc_lo, 0, v53
	v_mov_b32_e32 v52, 0
	s_and_not1_b32 s14, s14, exec_lo
	s_and_b32 s15, vcc_lo, exec_lo
	s_delay_alu instid0(SALU_CYCLE_1)
	s_or_b32 s14, s14, s15
	s_or_b32 exec_lo, exec_lo, s34
	s_and_saveexec_b32 s15, s14
	s_cbranch_execnz .LBB6_11083
	s_branch .LBB6_11084
.LBB6_11295:                            ;   in Loop: Header=BB6_10651 Depth=3
	s_mov_b32 s14, -1
	s_mov_b32 s35, exec_lo
                                        ; implicit-def: $sgpr15
	v_cmpx_eq_u16_e32 0x80, v52
; %bb.11296:                            ;   in Loop: Header=BB6_10651 Depth=3
	s_mov_b32 s15, 0x7f800001
	s_xor_b32 s14, exec_lo, -1
; %bb.11297:                            ;   in Loop: Header=BB6_10651 Depth=3
	s_or_b32 exec_lo, exec_lo, s35
	s_delay_alu instid0(SALU_CYCLE_1)
	s_and_b32 s14, s14, exec_lo
	s_or_saveexec_b32 s34, s34
	v_mov_b32_e32 v49, s15
	s_xor_b32 exec_lo, exec_lo, s34
	s_cbranch_execz .LBB6_11094
.LBB6_11298:                            ;   in Loop: Header=BB6_10651 Depth=3
	v_cmp_ne_u16_e32 vcc_lo, 0, v52
	v_mov_b32_e32 v49, 0
	s_and_not1_b32 s14, s14, exec_lo
	s_and_b32 s15, vcc_lo, exec_lo
	s_delay_alu instid0(SALU_CYCLE_1)
	s_or_b32 s14, s14, s15
	s_or_b32 exec_lo, exec_lo, s34
	s_and_saveexec_b32 s15, s14
	s_cbranch_execnz .LBB6_11095
	s_branch .LBB6_11096
.LBB6_11299:                            ;   in Loop: Header=BB6_10651 Depth=3
	s_mov_b32 s14, -1
	s_mov_b32 s35, exec_lo
                                        ; implicit-def: $sgpr15
	v_cmpx_eq_u16_e32 0x80, v48
; %bb.11300:                            ;   in Loop: Header=BB6_10651 Depth=3
	s_mov_b32 s15, 0x7f800001
	s_xor_b32 s14, exec_lo, -1
; %bb.11301:                            ;   in Loop: Header=BB6_10651 Depth=3
	s_or_b32 exec_lo, exec_lo, s35
	s_delay_alu instid0(SALU_CYCLE_1)
	s_and_b32 s14, s14, exec_lo
	s_or_saveexec_b32 s34, s34
	v_mov_b32_e32 v52, s15
	s_xor_b32 exec_lo, exec_lo, s34
	s_cbranch_execz .LBB6_11098
.LBB6_11302:                            ;   in Loop: Header=BB6_10651 Depth=3
	v_cmp_ne_u16_e32 vcc_lo, 0, v48
	v_mov_b32_e32 v52, 0
	s_and_not1_b32 s14, s14, exec_lo
	s_and_b32 s15, vcc_lo, exec_lo
	s_delay_alu instid0(SALU_CYCLE_1)
	s_or_b32 s14, s14, s15
	s_or_b32 exec_lo, exec_lo, s34
	s_and_saveexec_b32 s15, s14
	s_cbranch_execnz .LBB6_11099
	s_branch .LBB6_11100
.LBB6_11303:                            ;   in Loop: Header=BB6_7988 Depth=2
	s_or_b32 exec_lo, exec_lo, s30
.LBB6_11304:                            ;   in Loop: Header=BB6_7988 Depth=2
	s_delay_alu instid0(SALU_CYCLE_1) | instskip(SKIP_3) | instid1(VALU_DEP_1)
	s_or_b32 exec_lo, exec_lo, s17
	v_dual_mov_b32 v18, 0 :: v_dual_and_b32 v9, 15, v150
	s_mov_b32 s14, 0
	s_mov_b32 s15, exec_lo
                                        ; implicit-def: $vgpr20
                                        ; implicit-def: $vgpr8
	v_cndmask_b32_e64 v19, v23, v9, s13
	s_delay_alu instid0(VALU_DEP_1)
	v_cmpx_ne_u32_e32 0, v19
	s_cbranch_execz .LBB6_11306
; %bb.11305:                            ;   in Loop: Header=BB6_7988 Depth=2
	v_cmp_lt_i32_e32 vcc_lo, 0, v69
	v_sub_nc_u32_e32 v9, v23, v9
	s_mov_b32 s14, exec_lo
	v_cndmask_b32_e32 v8, 0, v97, vcc_lo
	s_delay_alu instid0(VALU_DEP_2) | instskip(NEXT) | instid1(VALU_DEP_2)
	v_cndmask_b32_e64 v9, 0, v9, s13
	v_sub_nc_u32_e32 v8, v8, v69
	s_delay_alu instid0(VALU_DEP_2) | instskip(NEXT) | instid1(VALU_DEP_2)
	v_add3_u32 v18, v2, v21, v9
	v_lshl_add_u32 v20, v8, 5, v22
	s_delay_alu instid0(VALU_DEP_1) | instskip(NEXT) | instid1(VALU_DEP_1)
	v_ashrrev_i32_e32 v8, 31, v20
	v_lshrrev_b32_e32 v8, 27, v8
	s_delay_alu instid0(VALU_DEP_1) | instskip(NEXT) | instid1(VALU_DEP_1)
	v_add_nc_u32_e32 v8, v20, v8
	v_ashrrev_i32_e32 v8, 5, v8
.LBB6_11306:                            ;   in Loop: Header=BB6_7988 Depth=2
	s_or_b32 exec_lo, exec_lo, s15
	s_delay_alu instid0(SALU_CYCLE_1)
	s_and_b32 s13, s14, exec_lo
.LBB6_11307:                            ;   in Loop: Header=BB6_7988 Depth=2
	s_or_b32 exec_lo, exec_lo, s16
.LBB6_11308:                            ;   in Loop: Header=BB6_7988 Depth=2
	s_and_saveexec_b32 s15, s13
	s_cbranch_execz .LBB6_12662
; %bb.11309:                            ;   in Loop: Header=BB6_7988 Depth=2
	v_ashrrev_i32_e32 v2, 31, v19
	s_mov_b32 s14, exec_lo
	s_delay_alu instid0(VALU_DEP_1) | instskip(NEXT) | instid1(VALU_DEP_1)
	v_lshrrev_b32_e32 v2, 22, v2
	v_add_nc_u32_e32 v2, v19, v2
	s_delay_alu instid0(VALU_DEP_1) | instskip(NEXT) | instid1(VALU_DEP_1)
	v_ashrrev_i32_e32 v21, 10, v2
	v_sub_nc_u32_e32 v2, v21, v8
	s_delay_alu instid0(VALU_DEP_1)
	v_cmpx_lt_i32_e32 0, v2
	s_cbranch_execz .LBB6_12604
; %bb.11310:                            ;   in Loop: Header=BB6_7988 Depth=2
	s_cbranch_execz .LBB6_11311
; %bb.18773:
	s_getpc_b64 s[48:49]
.Lpost_getpc413:
	s_add_u32 s48, s48, (.LBB6_18303-.Lpost_getpc413)&4294967295
	s_addc_u32 s49, s49, (.LBB6_18303-.Lpost_getpc413)>>32
	s_setpc_b64 s[48:49]
.LBB6_11311:                            ;   in Loop: Header=BB6_7988 Depth=2
	v_ashrrev_i32_e32 v9, 31, v20
	v_lshlrev_b32_e32 v8, 10, v8
	s_mov_b32 s16, 0
	s_delay_alu instid0(VALU_DEP_2) | instskip(NEXT) | instid1(VALU_DEP_1)
	v_lshrrev_b32_e32 v9, 27, v9
	v_add_nc_u32_e32 v13, v20, v9
	ds_load_b128 v[9:12], v0
	v_and_b32_e32 v13, 0xffffffe0, v13
	s_delay_alu instid0(VALU_DEP_1) | instskip(NEXT) | instid1(VALU_DEP_1)
	v_sub_nc_u32_e32 v13, v20, v13
	v_add3_u32 v13, v18, v13, v8
	s_delay_alu instid0(VALU_DEP_1) | instskip(SKIP_2) | instid1(VALU_DEP_2)
	v_ashrrev_i32_e32 v14, 31, v13
	s_waitcnt lgkmcnt(0)
	v_add_co_u32 v8, vcc_lo, v9, v13
	v_add_co_ci_u32_e32 v9, vcc_lo, v10, v14, vcc_lo
	v_add_co_u32 v10, vcc_lo, v11, v13
	v_add_co_ci_u32_e32 v11, vcc_lo, v12, v14, vcc_lo
	s_delay_alu instid0(VALU_DEP_3) | instskip(NEXT) | instid1(VALU_DEP_2)
	v_dual_mov_b32 v13, v9 :: v_dual_mov_b32 v12, v8
	v_dual_mov_b32 v15, v11 :: v_dual_mov_b32 v14, v10
.LBB6_11312:                            ;   Parent Loop BB6_51 Depth=1
                                        ;     Parent Loop BB6_7988 Depth=2
                                        ; =>    This Inner Loop Header: Depth=3
	s_cbranch_execz .LBB6_11313
; %bb.18775:
	s_getpc_b64 s[48:49]
.Lpost_getpc414:
	s_add_u32 s48, s48, (.LBB6_18305-.Lpost_getpc414)&4294967295
	s_addc_u32 s49, s49, (.LBB6_18305-.Lpost_getpc414)>>32
	s_setpc_b64 s[48:49]
.LBB6_11313:                            ;   in Loop: Header=BB6_11312 Depth=3
	ds_load_b64 v[16:17], v0
	s_waitcnt lgkmcnt(0)
	v_and_b32_e32 v17, 0xff, v16
	v_readfirstlane_b32 s13, v16
	s_delay_alu instid0(VALU_DEP_2)
	v_cmp_gt_i16_e32 vcc_lo, 0x80, v17
	s_cbranch_vccnz .LBB6_11317
; %bb.11314:                            ;   in Loop: Header=BB6_11312 Depth=3
	v_cmp_eq_u16_e32 vcc_lo, 0x80, v17
	s_mov_b32 s17, -1
                                        ; implicit-def: $sgpr30
	s_cbranch_vccz .LBB6_11316
; %bb.11315:                            ;   in Loop: Header=BB6_11312 Depth=3
	s_mov_b32 s17, 0
	s_mov_b32 s30, 0x7f800001
.LBB6_11316:                            ;   in Loop: Header=BB6_11312 Depth=3
	s_mov_b32 vcc_lo, 0
	s_branch .LBB6_11318
.LBB6_11317:                            ;   in Loop: Header=BB6_11312 Depth=3
	s_mov_b32 vcc_lo, -1
	s_mov_b32 s17, 0
                                        ; implicit-def: $sgpr30
.LBB6_11318:                            ;   in Loop: Header=BB6_11312 Depth=3
	s_and_b32 vcc_lo, exec_lo, vcc_lo
	s_cbranch_vccz .LBB6_11320
; %bb.11319:                            ;   in Loop: Header=BB6_11312 Depth=3
	v_cmp_ne_u16_e64 s17, 0, v17
	s_mov_b32 s30, 0
.LBB6_11320:                            ;   in Loop: Header=BB6_11312 Depth=3
	s_delay_alu instid0(SALU_CYCLE_1) | instskip(NEXT) | instid1(VALU_DEP_2)
	v_mov_b32_e32 v17, s30
	s_and_not1_b32 vcc_lo, exec_lo, s17
	s_cbranch_vccnz .LBB6_11322
; %bb.11321:                            ;   in Loop: Header=BB6_11312 Depth=3
	s_and_b32 s17, s13, 3
	s_bfe_u32 s30, s13, 0x50002
	s_clz_i32_u32 vcc_lo, s17
	v_lshlrev_b32_e32 v16, 24, v16
	s_min_u32 vcc_lo, vcc_lo, 32
	s_delay_alu instid0(SALU_CYCLE_1)
	s_sub_i32 s31, vcc_lo, 29
	s_sub_i32 vcc_lo, 30, vcc_lo
	s_lshl_b32 s13, s13, s31
	v_and_b32_e32 v16, 0x80000000, v16
	s_and_b32 s13, s13, 3
	s_cmp_eq_u32 s30, 0
	s_cselect_b32 vcc_lo, vcc_lo, s30
	s_cselect_b32 s13, s13, s17
	s_lshl_b32 s17, vcc_lo, 23
	s_lshl_b32 s13, s13, 21
	s_add_i32 s17, s17, 0x37800000
	s_delay_alu instid0(SALU_CYCLE_1) | instskip(NEXT) | instid1(VALU_DEP_1)
	v_or_b32_e32 v16, s17, v16
	v_or_b32_e32 v17, s13, v16
.LBB6_11322:                            ;   in Loop: Header=BB6_11312 Depth=3
	flat_load_u8 v16, v[8:9] slc dlc
	s_mov_b32 s13, 0
	s_mov_b32 s30, exec_lo
                                        ; implicit-def: $sgpr17
	s_waitcnt vmcnt(0) lgkmcnt(0)
	v_cmpx_lt_i16_e32 0x7f, v16
	s_xor_b32 s30, exec_lo, s30
	s_cbranch_execnz .LBB6_12219
; %bb.11323:                            ;   in Loop: Header=BB6_11312 Depth=3
	s_or_saveexec_b32 s30, s30
	v_mov_b32_e32 v22, s17
	s_xor_b32 exec_lo, exec_lo, s30
	s_cbranch_execnz .LBB6_12222
.LBB6_11324:                            ;   in Loop: Header=BB6_11312 Depth=3
	s_or_b32 exec_lo, exec_lo, s30
	s_and_saveexec_b32 s17, s13
	s_cbranch_execz .LBB6_11326
.LBB6_11325:                            ;   in Loop: Header=BB6_11312 Depth=3
	v_and_b32_e32 v22, 0xffff, v16
	v_lshlrev_b32_e32 v16, 24, v16
	s_delay_alu instid0(VALU_DEP_2) | instskip(NEXT) | instid1(VALU_DEP_2)
	v_and_b32_e32 v23, 3, v22
	v_and_b32_e32 v16, 0x80000000, v16
	s_delay_alu instid0(VALU_DEP_2) | instskip(NEXT) | instid1(VALU_DEP_1)
	v_clz_i32_u32_e32 v26, v23
	v_min_u32_e32 v26, 32, v26
	s_delay_alu instid0(VALU_DEP_1) | instskip(SKIP_1) | instid1(VALU_DEP_2)
	v_subrev_nc_u32_e32 v27, 29, v26
	v_sub_nc_u32_e32 v26, 30, v26
	v_lshlrev_b32_e32 v27, v27, v22
	v_bfe_u32 v22, v22, 2, 5
	s_delay_alu instid0(VALU_DEP_1) | instskip(NEXT) | instid1(VALU_DEP_3)
	v_cmp_eq_u32_e32 vcc_lo, 0, v22
	v_dual_cndmask_b32 v22, v22, v26 :: v_dual_and_b32 v27, 3, v27
	s_delay_alu instid0(VALU_DEP_1) | instskip(NEXT) | instid1(VALU_DEP_2)
	v_cndmask_b32_e32 v23, v23, v27, vcc_lo
	v_lshl_add_u32 v22, v22, 23, 0x37800000
	s_delay_alu instid0(VALU_DEP_2) | instskip(NEXT) | instid1(VALU_DEP_1)
	v_lshlrev_b32_e32 v23, 21, v23
	v_or3_b32 v22, v16, v22, v23
.LBB6_11326:                            ;   in Loop: Header=BB6_11312 Depth=3
	s_or_b32 exec_lo, exec_lo, s17
	s_delay_alu instid0(VALU_DEP_1) | instskip(NEXT) | instid1(VALU_DEP_1)
	v_mul_f32_e32 v16, v17, v22
	v_and_b32_e32 v22, 0x7f800000, v16
	s_delay_alu instid0(VALU_DEP_1)
	v_cmp_ne_u32_e32 vcc_lo, 0x7f800000, v22
	v_mov_b32_e32 v22, 0x80
	s_and_saveexec_b32 s17, vcc_lo
	s_cbranch_execz .LBB6_11334
; %bb.11327:                            ;   in Loop: Header=BB6_11312 Depth=3
	v_mov_b32_e32 v22, 0
	s_mov_b32 s30, exec_lo
	v_cmpx_ne_u32_e32 0, v16
	s_cbranch_execz .LBB6_11333
; %bb.11328:                            ;   in Loop: Header=BB6_11312 Depth=3
	v_bfe_u32 v22, v16, 23, 8
	s_delay_alu instid0(VALU_DEP_1) | instskip(SKIP_1) | instid1(VALU_DEP_2)
	v_sub_nc_u32_e32 v26, 0x70, v22
	v_cmp_gt_u32_e32 vcc_lo, 0x71, v22
	v_dual_cndmask_b32 v26, 0, v26 :: v_dual_and_b32 v23, 0x7fffff, v16
	s_delay_alu instid0(VALU_DEP_1) | instskip(SKIP_2) | instid1(VALU_DEP_4)
	v_or_b32_e32 v27, 0x800000, v23
	v_cmp_eq_u32_e32 vcc_lo, 0, v22
	v_add_nc_u32_e32 v22, 0xffffff91, v22
	v_cndmask_b32_e64 v26, v26, 0x6f, vcc_lo
	s_delay_alu instid0(VALU_DEP_4) | instskip(NEXT) | instid1(VALU_DEP_3)
	v_cndmask_b32_e32 v23, v27, v23, vcc_lo
	v_cndmask_b32_e64 v22, v22, 0xffffff92, vcc_lo
	s_delay_alu instid0(VALU_DEP_3) | instskip(NEXT) | instid1(VALU_DEP_3)
	v_lshl_add_u32 v27, 0x200000, v26, -1
	v_lshrrev_b32_e32 v36, v26, v23
	v_lshlrev_b32_e64 v38, v26, 0x100000
	s_delay_alu instid0(VALU_DEP_4) | instskip(NEXT) | instid1(VALU_DEP_4)
	v_add_nc_u32_e32 v26, v26, v22
	v_and_b32_e32 v23, v27, v23
	s_delay_alu instid0(VALU_DEP_4) | instskip(NEXT) | instid1(VALU_DEP_2)
	v_bfe_u32 v37, v36, 21, 1
	v_cmp_eq_u32_e64 s13, v23, v38
	s_delay_alu instid0(VALU_DEP_2) | instskip(NEXT) | instid1(VALU_DEP_1)
	v_add_nc_u32_e32 v27, -1, v37
	v_cndmask_b32_e64 v23, 0, v27, s13
	v_lshrrev_b32_e32 v27, 23, v36
	s_mov_b32 s13, exec_lo
	s_delay_alu instid0(VALU_DEP_2) | instskip(NEXT) | instid1(VALU_DEP_2)
	v_add_nc_u32_e32 v23, v23, v36
	v_xor_b32_e32 v27, 1, v27
	s_delay_alu instid0(VALU_DEP_2) | instskip(NEXT) | instid1(VALU_DEP_1)
	v_and_b32_e32 v22, 0x1fffff, v23
	v_add_nc_u32_e32 v23, v22, v36
                                        ; implicit-def: $vgpr22
	s_delay_alu instid0(VALU_DEP_3)
	v_cmpx_ne_u32_e64 v26, v27
	s_xor_b32 s13, exec_lo, s13
; %bb.11329:                            ;   in Loop: Header=BB6_11312 Depth=3
	s_delay_alu instid0(VALU_DEP_2) | instskip(SKIP_2) | instid1(VALU_DEP_2)
	v_cmp_lt_u32_e32 vcc_lo, 0xffffff, v23
	v_sub_nc_u32_e32 v22, v26, v27
	v_cndmask_b32_e64 v26, 0, 1, vcc_lo
	v_add_co_ci_u32_e32 v22, vcc_lo, 0, v22, vcc_lo
	s_delay_alu instid0(VALU_DEP_2)
	v_lshrrev_b32_e32 v23, v26, v23
; %bb.11330:                            ;   in Loop: Header=BB6_11312 Depth=3
	s_and_not1_saveexec_b32 s13, s13
; %bb.11331:                            ;   in Loop: Header=BB6_11312 Depth=3
	s_delay_alu instid0(VALU_DEP_1)
	v_bfe_u32 v22, v23, 23, 1
; %bb.11332:                            ;   in Loop: Header=BB6_11312 Depth=3
	s_or_b32 exec_lo, exec_lo, s13
	v_lshrrev_b32_e32 v23, 21, v23
	s_delay_alu instid0(VALU_DEP_2) | instskip(SKIP_2) | instid1(VALU_DEP_2)
	v_cmp_gt_i32_e32 vcc_lo, 32, v22
	v_lshrrev_b32_e32 v16, 24, v16
	v_min_i32_e32 v26, 31, v22
	v_dual_cndmask_b32 v23, 3, v23 :: v_dual_and_b32 v16, 0x80, v16
	s_delay_alu instid0(VALU_DEP_2) | instskip(NEXT) | instid1(VALU_DEP_2)
	v_lshlrev_b32_e32 v26, 2, v26
	v_or_b32_e32 v22, v22, v23
	s_delay_alu instid0(VALU_DEP_1) | instskip(SKIP_1) | instid1(VALU_DEP_1)
	v_cmp_ne_u32_e32 vcc_lo, 0, v22
	v_and_b32_e32 v27, 3, v23
	v_or3_b32 v16, v26, v16, v27
	s_delay_alu instid0(VALU_DEP_1)
	v_cndmask_b32_e32 v22, 0, v16, vcc_lo
.LBB6_11333:                            ;   in Loop: Header=BB6_11312 Depth=3
	s_or_b32 exec_lo, exec_lo, s30
.LBB6_11334:                            ;   in Loop: Header=BB6_11312 Depth=3
	s_delay_alu instid0(SALU_CYCLE_1)
	s_or_b32 exec_lo, exec_lo, s17
	flat_load_u8 v16, v[8:9] offset:32 slc dlc
	s_mov_b32 s13, 0
	s_mov_b32 s30, exec_lo
                                        ; implicit-def: $sgpr17
	s_waitcnt vmcnt(0) lgkmcnt(0)
	v_cmpx_lt_i16_e32 0x7f, v16
	s_xor_b32 s30, exec_lo, s30
	s_cbranch_execnz .LBB6_12223
; %bb.11335:                            ;   in Loop: Header=BB6_11312 Depth=3
	s_or_saveexec_b32 s30, s30
	v_mov_b32_e32 v23, s17
	s_xor_b32 exec_lo, exec_lo, s30
	s_cbranch_execnz .LBB6_12226
.LBB6_11336:                            ;   in Loop: Header=BB6_11312 Depth=3
	s_or_b32 exec_lo, exec_lo, s30
	s_and_saveexec_b32 s17, s13
	s_cbranch_execz .LBB6_11338
.LBB6_11337:                            ;   in Loop: Header=BB6_11312 Depth=3
	v_and_b32_e32 v23, 0xffff, v16
	v_lshlrev_b32_e32 v16, 24, v16
	s_delay_alu instid0(VALU_DEP_2) | instskip(NEXT) | instid1(VALU_DEP_2)
	v_and_b32_e32 v26, 3, v23
	v_and_b32_e32 v16, 0x80000000, v16
	s_delay_alu instid0(VALU_DEP_2) | instskip(NEXT) | instid1(VALU_DEP_1)
	v_clz_i32_u32_e32 v27, v26
	v_min_u32_e32 v27, 32, v27
	s_delay_alu instid0(VALU_DEP_1) | instskip(SKIP_1) | instid1(VALU_DEP_2)
	v_subrev_nc_u32_e32 v36, 29, v27
	v_sub_nc_u32_e32 v27, 30, v27
	v_lshlrev_b32_e32 v36, v36, v23
	v_bfe_u32 v23, v23, 2, 5
	s_delay_alu instid0(VALU_DEP_1) | instskip(NEXT) | instid1(VALU_DEP_3)
	v_cmp_eq_u32_e32 vcc_lo, 0, v23
	v_dual_cndmask_b32 v23, v23, v27 :: v_dual_and_b32 v36, 3, v36
	s_delay_alu instid0(VALU_DEP_1) | instskip(NEXT) | instid1(VALU_DEP_2)
	v_cndmask_b32_e32 v26, v26, v36, vcc_lo
	v_lshl_add_u32 v23, v23, 23, 0x37800000
	s_delay_alu instid0(VALU_DEP_2) | instskip(NEXT) | instid1(VALU_DEP_1)
	v_lshlrev_b32_e32 v26, 21, v26
	v_or3_b32 v23, v16, v23, v26
.LBB6_11338:                            ;   in Loop: Header=BB6_11312 Depth=3
	s_or_b32 exec_lo, exec_lo, s17
	s_delay_alu instid0(VALU_DEP_1) | instskip(SKIP_1) | instid1(VALU_DEP_1)
	v_dual_mul_f32 v16, v17, v23 :: v_dual_mov_b32 v81, 0x80
	s_mov_b32 s17, exec_lo
	v_and_b32_e32 v23, 0x7f800000, v16
	s_delay_alu instid0(VALU_DEP_1)
	v_cmpx_ne_u32_e32 0x7f800000, v23
	s_cbranch_execz .LBB6_11346
; %bb.11339:                            ;   in Loop: Header=BB6_11312 Depth=3
	v_mov_b32_e32 v81, 0
	s_mov_b32 s30, exec_lo
	v_cmpx_ne_u32_e32 0, v16
	s_cbranch_execz .LBB6_11345
; %bb.11340:                            ;   in Loop: Header=BB6_11312 Depth=3
	v_bfe_u32 v23, v16, 23, 8
	s_delay_alu instid0(VALU_DEP_1) | instskip(SKIP_1) | instid1(VALU_DEP_2)
	v_sub_nc_u32_e32 v27, 0x70, v23
	v_cmp_gt_u32_e32 vcc_lo, 0x71, v23
	v_dual_cndmask_b32 v27, 0, v27 :: v_dual_and_b32 v26, 0x7fffff, v16
	s_delay_alu instid0(VALU_DEP_1) | instskip(SKIP_2) | instid1(VALU_DEP_4)
	v_or_b32_e32 v36, 0x800000, v26
	v_cmp_eq_u32_e32 vcc_lo, 0, v23
	v_add_nc_u32_e32 v23, 0xffffff91, v23
	v_cndmask_b32_e64 v27, v27, 0x6f, vcc_lo
	s_delay_alu instid0(VALU_DEP_4) | instskip(NEXT) | instid1(VALU_DEP_3)
	v_cndmask_b32_e32 v26, v36, v26, vcc_lo
	v_cndmask_b32_e64 v23, v23, 0xffffff92, vcc_lo
	s_delay_alu instid0(VALU_DEP_3) | instskip(NEXT) | instid1(VALU_DEP_3)
	v_lshl_add_u32 v36, 0x200000, v27, -1
	v_lshrrev_b32_e32 v37, v27, v26
	v_lshlrev_b32_e64 v39, v27, 0x100000
	s_delay_alu instid0(VALU_DEP_4) | instskip(NEXT) | instid1(VALU_DEP_4)
	v_add_nc_u32_e32 v27, v27, v23
	v_and_b32_e32 v26, v36, v26
	s_delay_alu instid0(VALU_DEP_4) | instskip(NEXT) | instid1(VALU_DEP_2)
	v_bfe_u32 v38, v37, 21, 1
	v_cmp_eq_u32_e64 s13, v26, v39
	s_delay_alu instid0(VALU_DEP_2) | instskip(NEXT) | instid1(VALU_DEP_1)
	v_add_nc_u32_e32 v36, -1, v38
	v_cndmask_b32_e64 v26, 0, v36, s13
	v_lshrrev_b32_e32 v36, 23, v37
	s_mov_b32 s13, exec_lo
	s_delay_alu instid0(VALU_DEP_2) | instskip(NEXT) | instid1(VALU_DEP_2)
	v_add_nc_u32_e32 v26, v26, v37
	v_xor_b32_e32 v36, 1, v36
	s_delay_alu instid0(VALU_DEP_2) | instskip(NEXT) | instid1(VALU_DEP_1)
	v_and_b32_e32 v23, 0x1fffff, v26
	v_add_nc_u32_e32 v26, v23, v37
                                        ; implicit-def: $vgpr23
	s_delay_alu instid0(VALU_DEP_3)
	v_cmpx_ne_u32_e64 v27, v36
	s_xor_b32 s13, exec_lo, s13
; %bb.11341:                            ;   in Loop: Header=BB6_11312 Depth=3
	s_delay_alu instid0(VALU_DEP_2) | instskip(SKIP_2) | instid1(VALU_DEP_2)
	v_cmp_lt_u32_e32 vcc_lo, 0xffffff, v26
	v_sub_nc_u32_e32 v23, v27, v36
	v_cndmask_b32_e64 v27, 0, 1, vcc_lo
	v_add_co_ci_u32_e32 v23, vcc_lo, 0, v23, vcc_lo
	s_delay_alu instid0(VALU_DEP_2)
	v_lshrrev_b32_e32 v26, v27, v26
; %bb.11342:                            ;   in Loop: Header=BB6_11312 Depth=3
	s_and_not1_saveexec_b32 s13, s13
; %bb.11343:                            ;   in Loop: Header=BB6_11312 Depth=3
	s_delay_alu instid0(VALU_DEP_1)
	v_bfe_u32 v23, v26, 23, 1
; %bb.11344:                            ;   in Loop: Header=BB6_11312 Depth=3
	s_or_b32 exec_lo, exec_lo, s13
	v_lshrrev_b32_e32 v26, 21, v26
	s_delay_alu instid0(VALU_DEP_2) | instskip(SKIP_2) | instid1(VALU_DEP_2)
	v_cmp_gt_i32_e32 vcc_lo, 32, v23
	v_min_i32_e32 v27, 31, v23
	v_lshrrev_b32_e32 v16, 24, v16
	v_dual_cndmask_b32 v26, 3, v26 :: v_dual_lshlrev_b32 v27, 2, v27
	s_delay_alu instid0(VALU_DEP_2) | instskip(NEXT) | instid1(VALU_DEP_2)
	v_and_b32_e32 v16, 0x80, v16
	v_or_b32_e32 v23, v23, v26
	s_delay_alu instid0(VALU_DEP_1) | instskip(SKIP_1) | instid1(VALU_DEP_1)
	v_cmp_ne_u32_e32 vcc_lo, 0, v23
	v_and_b32_e32 v36, 3, v26
	v_or3_b32 v16, v27, v16, v36
	s_delay_alu instid0(VALU_DEP_1)
	v_cndmask_b32_e32 v81, 0, v16, vcc_lo
.LBB6_11345:                            ;   in Loop: Header=BB6_11312 Depth=3
	s_or_b32 exec_lo, exec_lo, s30
.LBB6_11346:                            ;   in Loop: Header=BB6_11312 Depth=3
	s_delay_alu instid0(SALU_CYCLE_1)
	s_or_b32 exec_lo, exec_lo, s17
	flat_load_u8 v16, v[8:9] offset:64 slc dlc
	s_mov_b32 s13, 0
	s_mov_b32 s30, exec_lo
                                        ; implicit-def: $sgpr17
	s_waitcnt vmcnt(0) lgkmcnt(0)
	v_cmpx_lt_i16_e32 0x7f, v16
	s_xor_b32 s30, exec_lo, s30
	s_cbranch_execnz .LBB6_12227
; %bb.11347:                            ;   in Loop: Header=BB6_11312 Depth=3
	s_or_saveexec_b32 s30, s30
	v_mov_b32_e32 v23, s17
	s_xor_b32 exec_lo, exec_lo, s30
	s_cbranch_execnz .LBB6_12230
.LBB6_11348:                            ;   in Loop: Header=BB6_11312 Depth=3
	s_or_b32 exec_lo, exec_lo, s30
	s_and_saveexec_b32 s17, s13
	s_cbranch_execz .LBB6_11350
.LBB6_11349:                            ;   in Loop: Header=BB6_11312 Depth=3
	v_and_b32_e32 v23, 0xffff, v16
	v_lshlrev_b32_e32 v16, 24, v16
	s_delay_alu instid0(VALU_DEP_2) | instskip(NEXT) | instid1(VALU_DEP_2)
	v_and_b32_e32 v26, 3, v23
	v_and_b32_e32 v16, 0x80000000, v16
	s_delay_alu instid0(VALU_DEP_2) | instskip(NEXT) | instid1(VALU_DEP_1)
	v_clz_i32_u32_e32 v27, v26
	v_min_u32_e32 v27, 32, v27
	s_delay_alu instid0(VALU_DEP_1) | instskip(SKIP_1) | instid1(VALU_DEP_2)
	v_subrev_nc_u32_e32 v36, 29, v27
	v_sub_nc_u32_e32 v27, 30, v27
	v_lshlrev_b32_e32 v36, v36, v23
	v_bfe_u32 v23, v23, 2, 5
	s_delay_alu instid0(VALU_DEP_1) | instskip(NEXT) | instid1(VALU_DEP_3)
	v_cmp_eq_u32_e32 vcc_lo, 0, v23
	v_dual_cndmask_b32 v23, v23, v27 :: v_dual_and_b32 v36, 3, v36
	s_delay_alu instid0(VALU_DEP_1) | instskip(NEXT) | instid1(VALU_DEP_2)
	v_cndmask_b32_e32 v26, v26, v36, vcc_lo
	v_lshl_add_u32 v23, v23, 23, 0x37800000
	s_delay_alu instid0(VALU_DEP_2) | instskip(NEXT) | instid1(VALU_DEP_1)
	v_lshlrev_b32_e32 v26, 21, v26
	v_or3_b32 v23, v16, v23, v26
.LBB6_11350:                            ;   in Loop: Header=BB6_11312 Depth=3
	s_or_b32 exec_lo, exec_lo, s17
	s_delay_alu instid0(VALU_DEP_1) | instskip(SKIP_2) | instid1(VALU_DEP_2)
	v_mul_f32_e32 v16, v17, v23
	v_mov_b32_e32 v160, 0x80
	s_mov_b32 s17, exec_lo
	v_and_b32_e32 v23, 0x7f800000, v16
	s_delay_alu instid0(VALU_DEP_1)
	v_cmpx_ne_u32_e32 0x7f800000, v23
	s_cbranch_execz .LBB6_11358
; %bb.11351:                            ;   in Loop: Header=BB6_11312 Depth=3
	v_mov_b32_e32 v160, 0
	s_mov_b32 s30, exec_lo
	v_cmpx_ne_u32_e32 0, v16
	s_cbranch_execz .LBB6_11357
; %bb.11352:                            ;   in Loop: Header=BB6_11312 Depth=3
	v_bfe_u32 v23, v16, 23, 8
	s_delay_alu instid0(VALU_DEP_1) | instskip(SKIP_1) | instid1(VALU_DEP_2)
	v_sub_nc_u32_e32 v27, 0x70, v23
	v_cmp_gt_u32_e32 vcc_lo, 0x71, v23
	v_dual_cndmask_b32 v27, 0, v27 :: v_dual_and_b32 v26, 0x7fffff, v16
	s_delay_alu instid0(VALU_DEP_1) | instskip(SKIP_2) | instid1(VALU_DEP_4)
	v_or_b32_e32 v36, 0x800000, v26
	v_cmp_eq_u32_e32 vcc_lo, 0, v23
	v_add_nc_u32_e32 v23, 0xffffff91, v23
	v_cndmask_b32_e64 v27, v27, 0x6f, vcc_lo
	s_delay_alu instid0(VALU_DEP_4) | instskip(NEXT) | instid1(VALU_DEP_3)
	v_cndmask_b32_e32 v26, v36, v26, vcc_lo
	v_cndmask_b32_e64 v23, v23, 0xffffff92, vcc_lo
	s_delay_alu instid0(VALU_DEP_3) | instskip(NEXT) | instid1(VALU_DEP_3)
	v_lshl_add_u32 v36, 0x200000, v27, -1
	v_lshrrev_b32_e32 v37, v27, v26
	v_lshlrev_b32_e64 v39, v27, 0x100000
	s_delay_alu instid0(VALU_DEP_4) | instskip(NEXT) | instid1(VALU_DEP_4)
	v_add_nc_u32_e32 v27, v27, v23
	v_and_b32_e32 v26, v36, v26
	s_delay_alu instid0(VALU_DEP_4) | instskip(NEXT) | instid1(VALU_DEP_2)
	v_bfe_u32 v38, v37, 21, 1
	v_cmp_eq_u32_e64 s13, v26, v39
	s_delay_alu instid0(VALU_DEP_2) | instskip(NEXT) | instid1(VALU_DEP_1)
	v_add_nc_u32_e32 v36, -1, v38
	v_cndmask_b32_e64 v26, 0, v36, s13
	v_lshrrev_b32_e32 v36, 23, v37
	s_mov_b32 s13, exec_lo
	s_delay_alu instid0(VALU_DEP_2) | instskip(NEXT) | instid1(VALU_DEP_2)
	v_add_nc_u32_e32 v26, v26, v37
	v_xor_b32_e32 v36, 1, v36
	s_delay_alu instid0(VALU_DEP_2) | instskip(NEXT) | instid1(VALU_DEP_1)
	v_and_b32_e32 v23, 0x1fffff, v26
	v_add_nc_u32_e32 v26, v23, v37
                                        ; implicit-def: $vgpr23
	s_delay_alu instid0(VALU_DEP_3)
	v_cmpx_ne_u32_e64 v27, v36
	s_xor_b32 s13, exec_lo, s13
; %bb.11353:                            ;   in Loop: Header=BB6_11312 Depth=3
	s_delay_alu instid0(VALU_DEP_2) | instskip(SKIP_2) | instid1(VALU_DEP_2)
	v_cmp_lt_u32_e32 vcc_lo, 0xffffff, v26
	v_sub_nc_u32_e32 v23, v27, v36
	v_cndmask_b32_e64 v27, 0, 1, vcc_lo
	v_add_co_ci_u32_e32 v23, vcc_lo, 0, v23, vcc_lo
	s_delay_alu instid0(VALU_DEP_2)
	v_lshrrev_b32_e32 v26, v27, v26
; %bb.11354:                            ;   in Loop: Header=BB6_11312 Depth=3
	s_and_not1_saveexec_b32 s13, s13
; %bb.11355:                            ;   in Loop: Header=BB6_11312 Depth=3
	s_delay_alu instid0(VALU_DEP_1)
	v_bfe_u32 v23, v26, 23, 1
; %bb.11356:                            ;   in Loop: Header=BB6_11312 Depth=3
	s_or_b32 exec_lo, exec_lo, s13
	v_lshrrev_b32_e32 v26, 21, v26
	s_delay_alu instid0(VALU_DEP_2) | instskip(SKIP_2) | instid1(VALU_DEP_4)
	v_cmp_gt_i32_e32 vcc_lo, 32, v23
	v_lshrrev_b32_e32 v16, 24, v16
	v_min_i32_e32 v27, 31, v23
	v_cndmask_b32_e32 v26, 3, v26, vcc_lo
	s_delay_alu instid0(VALU_DEP_3) | instskip(NEXT) | instid1(VALU_DEP_3)
	v_and_b32_e32 v16, 0x80, v16
	v_lshlrev_b32_e32 v27, 2, v27
	s_delay_alu instid0(VALU_DEP_3) | instskip(SKIP_1) | instid1(VALU_DEP_2)
	v_and_b32_e32 v36, 3, v26
	v_or_b32_e32 v23, v23, v26
	v_or3_b32 v16, v27, v16, v36
	s_delay_alu instid0(VALU_DEP_2) | instskip(NEXT) | instid1(VALU_DEP_2)
	v_cmp_ne_u32_e32 vcc_lo, 0, v23
	v_cndmask_b32_e32 v160, 0, v16, vcc_lo
.LBB6_11357:                            ;   in Loop: Header=BB6_11312 Depth=3
	s_or_b32 exec_lo, exec_lo, s30
.LBB6_11358:                            ;   in Loop: Header=BB6_11312 Depth=3
	s_delay_alu instid0(SALU_CYCLE_1)
	s_or_b32 exec_lo, exec_lo, s17
	flat_load_u8 v16, v[8:9] offset:96 slc dlc
	s_mov_b32 s13, 0
	s_mov_b32 s30, exec_lo
                                        ; implicit-def: $sgpr17
	s_waitcnt vmcnt(0) lgkmcnt(0)
	v_cmpx_lt_i16_e32 0x7f, v16
	s_xor_b32 s30, exec_lo, s30
	s_cbranch_execnz .LBB6_12231
; %bb.11359:                            ;   in Loop: Header=BB6_11312 Depth=3
	s_or_saveexec_b32 s30, s30
	v_mov_b32_e32 v23, s17
	s_xor_b32 exec_lo, exec_lo, s30
	s_cbranch_execnz .LBB6_12234
.LBB6_11360:                            ;   in Loop: Header=BB6_11312 Depth=3
	s_or_b32 exec_lo, exec_lo, s30
	s_and_saveexec_b32 s17, s13
	s_cbranch_execz .LBB6_11362
.LBB6_11361:                            ;   in Loop: Header=BB6_11312 Depth=3
	v_and_b32_e32 v23, 0xffff, v16
	v_lshlrev_b32_e32 v16, 24, v16
	s_delay_alu instid0(VALU_DEP_2) | instskip(NEXT) | instid1(VALU_DEP_2)
	v_and_b32_e32 v26, 3, v23
	v_and_b32_e32 v16, 0x80000000, v16
	s_delay_alu instid0(VALU_DEP_2) | instskip(NEXT) | instid1(VALU_DEP_1)
	v_clz_i32_u32_e32 v27, v26
	v_min_u32_e32 v27, 32, v27
	s_delay_alu instid0(VALU_DEP_1) | instskip(SKIP_1) | instid1(VALU_DEP_2)
	v_subrev_nc_u32_e32 v36, 29, v27
	v_sub_nc_u32_e32 v27, 30, v27
	v_lshlrev_b32_e32 v36, v36, v23
	v_bfe_u32 v23, v23, 2, 5
	s_delay_alu instid0(VALU_DEP_1) | instskip(NEXT) | instid1(VALU_DEP_3)
	v_cmp_eq_u32_e32 vcc_lo, 0, v23
	v_dual_cndmask_b32 v23, v23, v27 :: v_dual_and_b32 v36, 3, v36
	s_delay_alu instid0(VALU_DEP_1) | instskip(NEXT) | instid1(VALU_DEP_2)
	v_cndmask_b32_e32 v26, v26, v36, vcc_lo
	v_lshl_add_u32 v23, v23, 23, 0x37800000
	s_delay_alu instid0(VALU_DEP_2) | instskip(NEXT) | instid1(VALU_DEP_1)
	v_lshlrev_b32_e32 v26, 21, v26
	v_or3_b32 v23, v16, v23, v26
.LBB6_11362:                            ;   in Loop: Header=BB6_11312 Depth=3
	s_or_b32 exec_lo, exec_lo, s17
	s_delay_alu instid0(VALU_DEP_1) | instskip(SKIP_1) | instid1(VALU_DEP_1)
	v_dual_mul_f32 v16, v17, v23 :: v_dual_mov_b32 v165, 0x80
	s_mov_b32 s17, exec_lo
	v_and_b32_e32 v23, 0x7f800000, v16
	s_delay_alu instid0(VALU_DEP_1)
	v_cmpx_ne_u32_e32 0x7f800000, v23
	s_cbranch_execz .LBB6_11370
; %bb.11363:                            ;   in Loop: Header=BB6_11312 Depth=3
	v_mov_b32_e32 v165, 0
	s_mov_b32 s30, exec_lo
	v_cmpx_ne_u32_e32 0, v16
	s_cbranch_execz .LBB6_11369
; %bb.11364:                            ;   in Loop: Header=BB6_11312 Depth=3
	v_bfe_u32 v23, v16, 23, 8
	s_delay_alu instid0(VALU_DEP_1) | instskip(SKIP_1) | instid1(VALU_DEP_2)
	v_sub_nc_u32_e32 v27, 0x70, v23
	v_cmp_gt_u32_e32 vcc_lo, 0x71, v23
	v_dual_cndmask_b32 v27, 0, v27 :: v_dual_and_b32 v26, 0x7fffff, v16
	s_delay_alu instid0(VALU_DEP_1) | instskip(SKIP_2) | instid1(VALU_DEP_4)
	v_or_b32_e32 v36, 0x800000, v26
	v_cmp_eq_u32_e32 vcc_lo, 0, v23
	v_add_nc_u32_e32 v23, 0xffffff91, v23
	v_cndmask_b32_e64 v27, v27, 0x6f, vcc_lo
	s_delay_alu instid0(VALU_DEP_4) | instskip(NEXT) | instid1(VALU_DEP_3)
	v_cndmask_b32_e32 v26, v36, v26, vcc_lo
	v_cndmask_b32_e64 v23, v23, 0xffffff92, vcc_lo
	s_delay_alu instid0(VALU_DEP_3) | instskip(NEXT) | instid1(VALU_DEP_3)
	v_lshl_add_u32 v36, 0x200000, v27, -1
	v_lshrrev_b32_e32 v37, v27, v26
	v_lshlrev_b32_e64 v39, v27, 0x100000
	s_delay_alu instid0(VALU_DEP_4) | instskip(NEXT) | instid1(VALU_DEP_4)
	v_add_nc_u32_e32 v27, v27, v23
	v_and_b32_e32 v26, v36, v26
	s_delay_alu instid0(VALU_DEP_4) | instskip(NEXT) | instid1(VALU_DEP_2)
	v_bfe_u32 v38, v37, 21, 1
	v_cmp_eq_u32_e64 s13, v26, v39
	s_delay_alu instid0(VALU_DEP_2) | instskip(NEXT) | instid1(VALU_DEP_1)
	v_add_nc_u32_e32 v36, -1, v38
	v_cndmask_b32_e64 v26, 0, v36, s13
	v_lshrrev_b32_e32 v36, 23, v37
	s_mov_b32 s13, exec_lo
	s_delay_alu instid0(VALU_DEP_2) | instskip(NEXT) | instid1(VALU_DEP_2)
	v_add_nc_u32_e32 v26, v26, v37
	v_xor_b32_e32 v36, 1, v36
	s_delay_alu instid0(VALU_DEP_2) | instskip(NEXT) | instid1(VALU_DEP_1)
	v_and_b32_e32 v23, 0x1fffff, v26
	v_add_nc_u32_e32 v26, v23, v37
                                        ; implicit-def: $vgpr23
	s_delay_alu instid0(VALU_DEP_3)
	v_cmpx_ne_u32_e64 v27, v36
	s_xor_b32 s13, exec_lo, s13
; %bb.11365:                            ;   in Loop: Header=BB6_11312 Depth=3
	s_delay_alu instid0(VALU_DEP_2) | instskip(SKIP_2) | instid1(VALU_DEP_2)
	v_cmp_lt_u32_e32 vcc_lo, 0xffffff, v26
	v_sub_nc_u32_e32 v23, v27, v36
	v_cndmask_b32_e64 v27, 0, 1, vcc_lo
	v_add_co_ci_u32_e32 v23, vcc_lo, 0, v23, vcc_lo
	s_delay_alu instid0(VALU_DEP_2)
	v_lshrrev_b32_e32 v26, v27, v26
; %bb.11366:                            ;   in Loop: Header=BB6_11312 Depth=3
	s_and_not1_saveexec_b32 s13, s13
; %bb.11367:                            ;   in Loop: Header=BB6_11312 Depth=3
	s_delay_alu instid0(VALU_DEP_1)
	v_bfe_u32 v23, v26, 23, 1
; %bb.11368:                            ;   in Loop: Header=BB6_11312 Depth=3
	s_or_b32 exec_lo, exec_lo, s13
	v_lshrrev_b32_e32 v26, 21, v26
	s_delay_alu instid0(VALU_DEP_2) | instskip(SKIP_2) | instid1(VALU_DEP_2)
	v_cmp_gt_i32_e32 vcc_lo, 32, v23
	v_min_i32_e32 v27, 31, v23
	v_lshrrev_b32_e32 v16, 24, v16
	v_dual_cndmask_b32 v26, 3, v26 :: v_dual_lshlrev_b32 v27, 2, v27
	s_delay_alu instid0(VALU_DEP_2) | instskip(NEXT) | instid1(VALU_DEP_2)
	v_and_b32_e32 v16, 0x80, v16
	v_or_b32_e32 v23, v23, v26
	s_delay_alu instid0(VALU_DEP_1) | instskip(SKIP_1) | instid1(VALU_DEP_1)
	v_cmp_ne_u32_e32 vcc_lo, 0, v23
	v_and_b32_e32 v36, 3, v26
	v_or3_b32 v16, v27, v16, v36
	s_delay_alu instid0(VALU_DEP_1)
	v_cndmask_b32_e32 v165, 0, v16, vcc_lo
.LBB6_11369:                            ;   in Loop: Header=BB6_11312 Depth=3
	s_or_b32 exec_lo, exec_lo, s30
.LBB6_11370:                            ;   in Loop: Header=BB6_11312 Depth=3
	s_delay_alu instid0(SALU_CYCLE_1)
	s_or_b32 exec_lo, exec_lo, s17
	flat_load_u8 v16, v[8:9] offset:128 slc dlc
	s_mov_b32 s13, 0
	s_mov_b32 s30, exec_lo
                                        ; implicit-def: $sgpr17
	s_waitcnt vmcnt(0) lgkmcnt(0)
	v_cmpx_lt_i16_e32 0x7f, v16
	s_xor_b32 s30, exec_lo, s30
	s_cbranch_execnz .LBB6_12235
; %bb.11371:                            ;   in Loop: Header=BB6_11312 Depth=3
	s_or_saveexec_b32 s30, s30
	v_mov_b32_e32 v23, s17
	s_xor_b32 exec_lo, exec_lo, s30
	s_cbranch_execnz .LBB6_12238
.LBB6_11372:                            ;   in Loop: Header=BB6_11312 Depth=3
	s_or_b32 exec_lo, exec_lo, s30
	s_and_saveexec_b32 s17, s13
	s_cbranch_execz .LBB6_11374
.LBB6_11373:                            ;   in Loop: Header=BB6_11312 Depth=3
	v_and_b32_e32 v23, 0xffff, v16
	v_lshlrev_b32_e32 v16, 24, v16
	s_delay_alu instid0(VALU_DEP_2) | instskip(NEXT) | instid1(VALU_DEP_2)
	v_and_b32_e32 v26, 3, v23
	v_and_b32_e32 v16, 0x80000000, v16
	s_delay_alu instid0(VALU_DEP_2) | instskip(NEXT) | instid1(VALU_DEP_1)
	v_clz_i32_u32_e32 v27, v26
	v_min_u32_e32 v27, 32, v27
	s_delay_alu instid0(VALU_DEP_1) | instskip(SKIP_1) | instid1(VALU_DEP_2)
	v_subrev_nc_u32_e32 v36, 29, v27
	v_sub_nc_u32_e32 v27, 30, v27
	v_lshlrev_b32_e32 v36, v36, v23
	v_bfe_u32 v23, v23, 2, 5
	s_delay_alu instid0(VALU_DEP_1) | instskip(NEXT) | instid1(VALU_DEP_3)
	v_cmp_eq_u32_e32 vcc_lo, 0, v23
	v_dual_cndmask_b32 v23, v23, v27 :: v_dual_and_b32 v36, 3, v36
	s_delay_alu instid0(VALU_DEP_1) | instskip(NEXT) | instid1(VALU_DEP_2)
	v_cndmask_b32_e32 v26, v26, v36, vcc_lo
	v_lshl_add_u32 v23, v23, 23, 0x37800000
	s_delay_alu instid0(VALU_DEP_2) | instskip(NEXT) | instid1(VALU_DEP_1)
	v_lshlrev_b32_e32 v26, 21, v26
	v_or3_b32 v23, v16, v23, v26
.LBB6_11374:                            ;   in Loop: Header=BB6_11312 Depth=3
	s_or_b32 exec_lo, exec_lo, s17
	s_delay_alu instid0(VALU_DEP_1) | instskip(SKIP_2) | instid1(VALU_DEP_2)
	v_mul_f32_e32 v16, v17, v23
	v_mov_b32_e32 v178, 0x80
	s_mov_b32 s17, exec_lo
	v_and_b32_e32 v23, 0x7f800000, v16
	s_delay_alu instid0(VALU_DEP_1)
	v_cmpx_ne_u32_e32 0x7f800000, v23
	s_cbranch_execz .LBB6_11382
; %bb.11375:                            ;   in Loop: Header=BB6_11312 Depth=3
	v_mov_b32_e32 v178, 0
	s_mov_b32 s30, exec_lo
	v_cmpx_ne_u32_e32 0, v16
	s_cbranch_execz .LBB6_11381
; %bb.11376:                            ;   in Loop: Header=BB6_11312 Depth=3
	v_bfe_u32 v23, v16, 23, 8
	s_delay_alu instid0(VALU_DEP_1) | instskip(SKIP_1) | instid1(VALU_DEP_2)
	v_sub_nc_u32_e32 v27, 0x70, v23
	v_cmp_gt_u32_e32 vcc_lo, 0x71, v23
	v_dual_cndmask_b32 v27, 0, v27 :: v_dual_and_b32 v26, 0x7fffff, v16
	s_delay_alu instid0(VALU_DEP_1) | instskip(SKIP_2) | instid1(VALU_DEP_4)
	v_or_b32_e32 v36, 0x800000, v26
	v_cmp_eq_u32_e32 vcc_lo, 0, v23
	v_add_nc_u32_e32 v23, 0xffffff91, v23
	v_cndmask_b32_e64 v27, v27, 0x6f, vcc_lo
	s_delay_alu instid0(VALU_DEP_4) | instskip(NEXT) | instid1(VALU_DEP_3)
	v_cndmask_b32_e32 v26, v36, v26, vcc_lo
	v_cndmask_b32_e64 v23, v23, 0xffffff92, vcc_lo
	s_delay_alu instid0(VALU_DEP_3) | instskip(NEXT) | instid1(VALU_DEP_3)
	v_lshl_add_u32 v36, 0x200000, v27, -1
	v_lshrrev_b32_e32 v37, v27, v26
	v_lshlrev_b32_e64 v39, v27, 0x100000
	s_delay_alu instid0(VALU_DEP_4) | instskip(NEXT) | instid1(VALU_DEP_4)
	v_add_nc_u32_e32 v27, v27, v23
	v_and_b32_e32 v26, v36, v26
	s_delay_alu instid0(VALU_DEP_4) | instskip(NEXT) | instid1(VALU_DEP_2)
	v_bfe_u32 v38, v37, 21, 1
	v_cmp_eq_u32_e64 s13, v26, v39
	s_delay_alu instid0(VALU_DEP_2) | instskip(NEXT) | instid1(VALU_DEP_1)
	v_add_nc_u32_e32 v36, -1, v38
	v_cndmask_b32_e64 v26, 0, v36, s13
	v_lshrrev_b32_e32 v36, 23, v37
	s_mov_b32 s13, exec_lo
	s_delay_alu instid0(VALU_DEP_2) | instskip(NEXT) | instid1(VALU_DEP_2)
	v_add_nc_u32_e32 v26, v26, v37
	v_xor_b32_e32 v36, 1, v36
	s_delay_alu instid0(VALU_DEP_2) | instskip(NEXT) | instid1(VALU_DEP_1)
	v_and_b32_e32 v23, 0x1fffff, v26
	v_add_nc_u32_e32 v26, v23, v37
                                        ; implicit-def: $vgpr23
	s_delay_alu instid0(VALU_DEP_3)
	v_cmpx_ne_u32_e64 v27, v36
	s_xor_b32 s13, exec_lo, s13
; %bb.11377:                            ;   in Loop: Header=BB6_11312 Depth=3
	s_delay_alu instid0(VALU_DEP_2) | instskip(SKIP_2) | instid1(VALU_DEP_2)
	v_cmp_lt_u32_e32 vcc_lo, 0xffffff, v26
	v_sub_nc_u32_e32 v23, v27, v36
	v_cndmask_b32_e64 v27, 0, 1, vcc_lo
	v_add_co_ci_u32_e32 v23, vcc_lo, 0, v23, vcc_lo
	s_delay_alu instid0(VALU_DEP_2)
	v_lshrrev_b32_e32 v26, v27, v26
; %bb.11378:                            ;   in Loop: Header=BB6_11312 Depth=3
	s_and_not1_saveexec_b32 s13, s13
; %bb.11379:                            ;   in Loop: Header=BB6_11312 Depth=3
	s_delay_alu instid0(VALU_DEP_1)
	v_bfe_u32 v23, v26, 23, 1
; %bb.11380:                            ;   in Loop: Header=BB6_11312 Depth=3
	s_or_b32 exec_lo, exec_lo, s13
	v_lshrrev_b32_e32 v26, 21, v26
	s_delay_alu instid0(VALU_DEP_2) | instskip(SKIP_2) | instid1(VALU_DEP_4)
	v_cmp_gt_i32_e32 vcc_lo, 32, v23
	v_lshrrev_b32_e32 v16, 24, v16
	v_min_i32_e32 v27, 31, v23
	v_cndmask_b32_e32 v26, 3, v26, vcc_lo
	s_delay_alu instid0(VALU_DEP_3) | instskip(NEXT) | instid1(VALU_DEP_3)
	v_and_b32_e32 v16, 0x80, v16
	v_lshlrev_b32_e32 v27, 2, v27
	s_delay_alu instid0(VALU_DEP_3) | instskip(SKIP_1) | instid1(VALU_DEP_2)
	v_and_b32_e32 v36, 3, v26
	v_or_b32_e32 v23, v23, v26
	v_or3_b32 v16, v27, v16, v36
	s_delay_alu instid0(VALU_DEP_2) | instskip(NEXT) | instid1(VALU_DEP_2)
	v_cmp_ne_u32_e32 vcc_lo, 0, v23
	v_cndmask_b32_e32 v178, 0, v16, vcc_lo
.LBB6_11381:                            ;   in Loop: Header=BB6_11312 Depth=3
	s_or_b32 exec_lo, exec_lo, s30
.LBB6_11382:                            ;   in Loop: Header=BB6_11312 Depth=3
	s_delay_alu instid0(SALU_CYCLE_1)
	s_or_b32 exec_lo, exec_lo, s17
	flat_load_u8 v16, v[8:9] offset:160 slc dlc
	s_mov_b32 s13, 0
	s_mov_b32 s30, exec_lo
                                        ; implicit-def: $sgpr17
	s_waitcnt vmcnt(0) lgkmcnt(0)
	v_cmpx_lt_i16_e32 0x7f, v16
	s_xor_b32 s30, exec_lo, s30
	s_cbranch_execnz .LBB6_12239
; %bb.11383:                            ;   in Loop: Header=BB6_11312 Depth=3
	s_or_saveexec_b32 s30, s30
	v_mov_b32_e32 v23, s17
	s_xor_b32 exec_lo, exec_lo, s30
	s_cbranch_execnz .LBB6_12242
.LBB6_11384:                            ;   in Loop: Header=BB6_11312 Depth=3
	s_or_b32 exec_lo, exec_lo, s30
	s_and_saveexec_b32 s17, s13
	s_cbranch_execz .LBB6_11386
.LBB6_11385:                            ;   in Loop: Header=BB6_11312 Depth=3
	v_and_b32_e32 v23, 0xffff, v16
	v_lshlrev_b32_e32 v16, 24, v16
	s_delay_alu instid0(VALU_DEP_2) | instskip(NEXT) | instid1(VALU_DEP_2)
	v_and_b32_e32 v26, 3, v23
	v_and_b32_e32 v16, 0x80000000, v16
	s_delay_alu instid0(VALU_DEP_2) | instskip(NEXT) | instid1(VALU_DEP_1)
	v_clz_i32_u32_e32 v27, v26
	v_min_u32_e32 v27, 32, v27
	s_delay_alu instid0(VALU_DEP_1) | instskip(SKIP_1) | instid1(VALU_DEP_2)
	v_subrev_nc_u32_e32 v36, 29, v27
	v_sub_nc_u32_e32 v27, 30, v27
	v_lshlrev_b32_e32 v36, v36, v23
	v_bfe_u32 v23, v23, 2, 5
	s_delay_alu instid0(VALU_DEP_1) | instskip(NEXT) | instid1(VALU_DEP_3)
	v_cmp_eq_u32_e32 vcc_lo, 0, v23
	v_dual_cndmask_b32 v23, v23, v27 :: v_dual_and_b32 v36, 3, v36
	s_delay_alu instid0(VALU_DEP_1) | instskip(NEXT) | instid1(VALU_DEP_2)
	v_cndmask_b32_e32 v26, v26, v36, vcc_lo
	v_lshl_add_u32 v23, v23, 23, 0x37800000
	s_delay_alu instid0(VALU_DEP_2) | instskip(NEXT) | instid1(VALU_DEP_1)
	v_lshlrev_b32_e32 v26, 21, v26
	v_or3_b32 v23, v16, v23, v26
.LBB6_11386:                            ;   in Loop: Header=BB6_11312 Depth=3
	s_or_b32 exec_lo, exec_lo, s17
	s_delay_alu instid0(VALU_DEP_1) | instskip(SKIP_2) | instid1(VALU_DEP_2)
	v_mul_f32_e32 v16, v17, v23
	v_mov_b32_e32 v102, 0x80
	s_mov_b32 s17, exec_lo
	v_and_b32_e32 v23, 0x7f800000, v16
	s_delay_alu instid0(VALU_DEP_1)
	v_cmpx_ne_u32_e32 0x7f800000, v23
	s_cbranch_execz .LBB6_11394
; %bb.11387:                            ;   in Loop: Header=BB6_11312 Depth=3
	v_mov_b32_e32 v102, 0
	s_mov_b32 s30, exec_lo
	v_cmpx_ne_u32_e32 0, v16
	s_cbranch_execz .LBB6_11393
; %bb.11388:                            ;   in Loop: Header=BB6_11312 Depth=3
	v_bfe_u32 v23, v16, 23, 8
	s_delay_alu instid0(VALU_DEP_1) | instskip(SKIP_1) | instid1(VALU_DEP_2)
	v_sub_nc_u32_e32 v27, 0x70, v23
	v_cmp_gt_u32_e32 vcc_lo, 0x71, v23
	v_dual_cndmask_b32 v27, 0, v27 :: v_dual_and_b32 v26, 0x7fffff, v16
	s_delay_alu instid0(VALU_DEP_1) | instskip(SKIP_2) | instid1(VALU_DEP_4)
	v_or_b32_e32 v36, 0x800000, v26
	v_cmp_eq_u32_e32 vcc_lo, 0, v23
	v_add_nc_u32_e32 v23, 0xffffff91, v23
	v_cndmask_b32_e64 v27, v27, 0x6f, vcc_lo
	s_delay_alu instid0(VALU_DEP_4) | instskip(NEXT) | instid1(VALU_DEP_3)
	v_cndmask_b32_e32 v26, v36, v26, vcc_lo
	v_cndmask_b32_e64 v23, v23, 0xffffff92, vcc_lo
	s_delay_alu instid0(VALU_DEP_3) | instskip(NEXT) | instid1(VALU_DEP_3)
	v_lshl_add_u32 v36, 0x200000, v27, -1
	v_lshrrev_b32_e32 v37, v27, v26
	v_lshlrev_b32_e64 v39, v27, 0x100000
	s_delay_alu instid0(VALU_DEP_4) | instskip(NEXT) | instid1(VALU_DEP_4)
	v_add_nc_u32_e32 v27, v27, v23
	v_and_b32_e32 v26, v36, v26
	s_delay_alu instid0(VALU_DEP_4) | instskip(NEXT) | instid1(VALU_DEP_2)
	v_bfe_u32 v38, v37, 21, 1
	v_cmp_eq_u32_e64 s13, v26, v39
	s_delay_alu instid0(VALU_DEP_2) | instskip(NEXT) | instid1(VALU_DEP_1)
	v_add_nc_u32_e32 v36, -1, v38
	v_cndmask_b32_e64 v26, 0, v36, s13
	v_lshrrev_b32_e32 v36, 23, v37
	s_mov_b32 s13, exec_lo
	s_delay_alu instid0(VALU_DEP_2) | instskip(NEXT) | instid1(VALU_DEP_2)
	v_add_nc_u32_e32 v26, v26, v37
	v_xor_b32_e32 v36, 1, v36
	s_delay_alu instid0(VALU_DEP_2) | instskip(NEXT) | instid1(VALU_DEP_1)
	v_and_b32_e32 v23, 0x1fffff, v26
	v_add_nc_u32_e32 v26, v23, v37
                                        ; implicit-def: $vgpr23
	s_delay_alu instid0(VALU_DEP_3)
	v_cmpx_ne_u32_e64 v27, v36
	s_xor_b32 s13, exec_lo, s13
; %bb.11389:                            ;   in Loop: Header=BB6_11312 Depth=3
	s_delay_alu instid0(VALU_DEP_2) | instskip(SKIP_2) | instid1(VALU_DEP_2)
	v_cmp_lt_u32_e32 vcc_lo, 0xffffff, v26
	v_sub_nc_u32_e32 v23, v27, v36
	v_cndmask_b32_e64 v27, 0, 1, vcc_lo
	v_add_co_ci_u32_e32 v23, vcc_lo, 0, v23, vcc_lo
	s_delay_alu instid0(VALU_DEP_2)
	v_lshrrev_b32_e32 v26, v27, v26
; %bb.11390:                            ;   in Loop: Header=BB6_11312 Depth=3
	s_and_not1_saveexec_b32 s13, s13
; %bb.11391:                            ;   in Loop: Header=BB6_11312 Depth=3
	s_delay_alu instid0(VALU_DEP_1)
	v_bfe_u32 v23, v26, 23, 1
; %bb.11392:                            ;   in Loop: Header=BB6_11312 Depth=3
	s_or_b32 exec_lo, exec_lo, s13
	v_lshrrev_b32_e32 v26, 21, v26
	s_delay_alu instid0(VALU_DEP_2) | instskip(SKIP_2) | instid1(VALU_DEP_4)
	v_cmp_gt_i32_e32 vcc_lo, 32, v23
	v_lshrrev_b32_e32 v16, 24, v16
	v_min_i32_e32 v27, 31, v23
	v_cndmask_b32_e32 v26, 3, v26, vcc_lo
	s_delay_alu instid0(VALU_DEP_3) | instskip(NEXT) | instid1(VALU_DEP_3)
	v_and_b32_e32 v16, 0x80, v16
	v_lshlrev_b32_e32 v27, 2, v27
	s_delay_alu instid0(VALU_DEP_3) | instskip(SKIP_1) | instid1(VALU_DEP_2)
	v_and_b32_e32 v36, 3, v26
	v_or_b32_e32 v23, v23, v26
	v_or3_b32 v16, v27, v16, v36
	s_delay_alu instid0(VALU_DEP_2) | instskip(NEXT) | instid1(VALU_DEP_2)
	v_cmp_ne_u32_e32 vcc_lo, 0, v23
	v_cndmask_b32_e32 v102, 0, v16, vcc_lo
.LBB6_11393:                            ;   in Loop: Header=BB6_11312 Depth=3
	s_or_b32 exec_lo, exec_lo, s30
.LBB6_11394:                            ;   in Loop: Header=BB6_11312 Depth=3
	s_delay_alu instid0(SALU_CYCLE_1)
	s_or_b32 exec_lo, exec_lo, s17
	flat_load_u8 v16, v[8:9] offset:192 slc dlc
	s_mov_b32 s13, 0
	s_mov_b32 s30, exec_lo
                                        ; implicit-def: $sgpr17
	s_waitcnt vmcnt(0) lgkmcnt(0)
	v_cmpx_lt_i16_e32 0x7f, v16
	s_xor_b32 s30, exec_lo, s30
	s_cbranch_execnz .LBB6_12243
; %bb.11395:                            ;   in Loop: Header=BB6_11312 Depth=3
	s_or_saveexec_b32 s30, s30
	v_mov_b32_e32 v23, s17
	s_xor_b32 exec_lo, exec_lo, s30
	s_cbranch_execnz .LBB6_12246
.LBB6_11396:                            ;   in Loop: Header=BB6_11312 Depth=3
	s_or_b32 exec_lo, exec_lo, s30
	s_and_saveexec_b32 s17, s13
	s_cbranch_execz .LBB6_11398
.LBB6_11397:                            ;   in Loop: Header=BB6_11312 Depth=3
	v_and_b32_e32 v23, 0xffff, v16
	v_lshlrev_b32_e32 v16, 24, v16
	s_delay_alu instid0(VALU_DEP_2) | instskip(NEXT) | instid1(VALU_DEP_2)
	v_and_b32_e32 v26, 3, v23
	v_and_b32_e32 v16, 0x80000000, v16
	s_delay_alu instid0(VALU_DEP_2) | instskip(NEXT) | instid1(VALU_DEP_1)
	v_clz_i32_u32_e32 v27, v26
	v_min_u32_e32 v27, 32, v27
	s_delay_alu instid0(VALU_DEP_1) | instskip(SKIP_1) | instid1(VALU_DEP_2)
	v_subrev_nc_u32_e32 v36, 29, v27
	v_sub_nc_u32_e32 v27, 30, v27
	v_lshlrev_b32_e32 v36, v36, v23
	v_bfe_u32 v23, v23, 2, 5
	s_delay_alu instid0(VALU_DEP_1) | instskip(NEXT) | instid1(VALU_DEP_3)
	v_cmp_eq_u32_e32 vcc_lo, 0, v23
	v_dual_cndmask_b32 v23, v23, v27 :: v_dual_and_b32 v36, 3, v36
	s_delay_alu instid0(VALU_DEP_1) | instskip(NEXT) | instid1(VALU_DEP_2)
	v_cndmask_b32_e32 v26, v26, v36, vcc_lo
	v_lshl_add_u32 v23, v23, 23, 0x37800000
	s_delay_alu instid0(VALU_DEP_2) | instskip(NEXT) | instid1(VALU_DEP_1)
	v_lshlrev_b32_e32 v26, 21, v26
	v_or3_b32 v23, v16, v23, v26
.LBB6_11398:                            ;   in Loop: Header=BB6_11312 Depth=3
	s_or_b32 exec_lo, exec_lo, s17
	s_delay_alu instid0(VALU_DEP_1) | instskip(SKIP_2) | instid1(VALU_DEP_2)
	v_mul_f32_e32 v16, v17, v23
	v_mov_b32_e32 v44, 0x80
	s_mov_b32 s17, exec_lo
	v_and_b32_e32 v23, 0x7f800000, v16
	s_delay_alu instid0(VALU_DEP_1)
	v_cmpx_ne_u32_e32 0x7f800000, v23
	s_cbranch_execz .LBB6_11406
; %bb.11399:                            ;   in Loop: Header=BB6_11312 Depth=3
	v_mov_b32_e32 v44, 0
	s_mov_b32 s30, exec_lo
	v_cmpx_ne_u32_e32 0, v16
	s_cbranch_execz .LBB6_11405
; %bb.11400:                            ;   in Loop: Header=BB6_11312 Depth=3
	v_bfe_u32 v23, v16, 23, 8
	s_delay_alu instid0(VALU_DEP_1) | instskip(SKIP_1) | instid1(VALU_DEP_2)
	v_sub_nc_u32_e32 v27, 0x70, v23
	v_cmp_gt_u32_e32 vcc_lo, 0x71, v23
	v_dual_cndmask_b32 v27, 0, v27 :: v_dual_and_b32 v26, 0x7fffff, v16
	s_delay_alu instid0(VALU_DEP_1) | instskip(SKIP_2) | instid1(VALU_DEP_4)
	v_or_b32_e32 v36, 0x800000, v26
	v_cmp_eq_u32_e32 vcc_lo, 0, v23
	v_add_nc_u32_e32 v23, 0xffffff91, v23
	v_cndmask_b32_e64 v27, v27, 0x6f, vcc_lo
	s_delay_alu instid0(VALU_DEP_4) | instskip(NEXT) | instid1(VALU_DEP_3)
	v_cndmask_b32_e32 v26, v36, v26, vcc_lo
	v_cndmask_b32_e64 v23, v23, 0xffffff92, vcc_lo
	s_delay_alu instid0(VALU_DEP_3) | instskip(NEXT) | instid1(VALU_DEP_3)
	v_lshl_add_u32 v36, 0x200000, v27, -1
	v_lshrrev_b32_e32 v37, v27, v26
	v_lshlrev_b32_e64 v39, v27, 0x100000
	s_delay_alu instid0(VALU_DEP_4) | instskip(NEXT) | instid1(VALU_DEP_4)
	v_add_nc_u32_e32 v27, v27, v23
	v_and_b32_e32 v26, v36, v26
	s_delay_alu instid0(VALU_DEP_4) | instskip(NEXT) | instid1(VALU_DEP_2)
	v_bfe_u32 v38, v37, 21, 1
	v_cmp_eq_u32_e64 s13, v26, v39
	s_delay_alu instid0(VALU_DEP_2) | instskip(NEXT) | instid1(VALU_DEP_1)
	v_add_nc_u32_e32 v36, -1, v38
	v_cndmask_b32_e64 v26, 0, v36, s13
	v_lshrrev_b32_e32 v36, 23, v37
	s_mov_b32 s13, exec_lo
	s_delay_alu instid0(VALU_DEP_2) | instskip(NEXT) | instid1(VALU_DEP_2)
	v_add_nc_u32_e32 v26, v26, v37
	v_xor_b32_e32 v36, 1, v36
	s_delay_alu instid0(VALU_DEP_2) | instskip(NEXT) | instid1(VALU_DEP_1)
	v_and_b32_e32 v23, 0x1fffff, v26
	v_add_nc_u32_e32 v26, v23, v37
                                        ; implicit-def: $vgpr23
	s_delay_alu instid0(VALU_DEP_3)
	v_cmpx_ne_u32_e64 v27, v36
	s_xor_b32 s13, exec_lo, s13
; %bb.11401:                            ;   in Loop: Header=BB6_11312 Depth=3
	s_delay_alu instid0(VALU_DEP_2) | instskip(SKIP_2) | instid1(VALU_DEP_2)
	v_cmp_lt_u32_e32 vcc_lo, 0xffffff, v26
	v_sub_nc_u32_e32 v23, v27, v36
	v_cndmask_b32_e64 v27, 0, 1, vcc_lo
	v_add_co_ci_u32_e32 v23, vcc_lo, 0, v23, vcc_lo
	s_delay_alu instid0(VALU_DEP_2)
	v_lshrrev_b32_e32 v26, v27, v26
; %bb.11402:                            ;   in Loop: Header=BB6_11312 Depth=3
	s_and_not1_saveexec_b32 s13, s13
; %bb.11403:                            ;   in Loop: Header=BB6_11312 Depth=3
	s_delay_alu instid0(VALU_DEP_1)
	v_bfe_u32 v23, v26, 23, 1
; %bb.11404:                            ;   in Loop: Header=BB6_11312 Depth=3
	s_or_b32 exec_lo, exec_lo, s13
	v_lshrrev_b32_e32 v26, 21, v26
	s_delay_alu instid0(VALU_DEP_2) | instskip(SKIP_2) | instid1(VALU_DEP_4)
	v_cmp_gt_i32_e32 vcc_lo, 32, v23
	v_lshrrev_b32_e32 v16, 24, v16
	v_min_i32_e32 v27, 31, v23
	v_cndmask_b32_e32 v26, 3, v26, vcc_lo
	s_delay_alu instid0(VALU_DEP_3) | instskip(NEXT) | instid1(VALU_DEP_3)
	v_and_b32_e32 v16, 0x80, v16
	v_lshlrev_b32_e32 v27, 2, v27
	s_delay_alu instid0(VALU_DEP_3) | instskip(SKIP_1) | instid1(VALU_DEP_2)
	v_and_b32_e32 v36, 3, v26
	v_or_b32_e32 v23, v23, v26
	v_or3_b32 v16, v27, v16, v36
	s_delay_alu instid0(VALU_DEP_2) | instskip(NEXT) | instid1(VALU_DEP_2)
	v_cmp_ne_u32_e32 vcc_lo, 0, v23
	v_cndmask_b32_e32 v44, 0, v16, vcc_lo
.LBB6_11405:                            ;   in Loop: Header=BB6_11312 Depth=3
	s_or_b32 exec_lo, exec_lo, s30
.LBB6_11406:                            ;   in Loop: Header=BB6_11312 Depth=3
	s_delay_alu instid0(SALU_CYCLE_1)
	s_or_b32 exec_lo, exec_lo, s17
	flat_load_u8 v16, v[8:9] offset:224 slc dlc
	s_mov_b32 s13, 0
	s_mov_b32 s30, exec_lo
                                        ; implicit-def: $sgpr17
	s_waitcnt vmcnt(0) lgkmcnt(0)
	v_cmpx_lt_i16_e32 0x7f, v16
	s_xor_b32 s30, exec_lo, s30
	s_cbranch_execnz .LBB6_12247
; %bb.11407:                            ;   in Loop: Header=BB6_11312 Depth=3
	s_or_saveexec_b32 s30, s30
	v_mov_b32_e32 v23, s17
	s_xor_b32 exec_lo, exec_lo, s30
	s_cbranch_execnz .LBB6_12250
.LBB6_11408:                            ;   in Loop: Header=BB6_11312 Depth=3
	s_or_b32 exec_lo, exec_lo, s30
	s_and_saveexec_b32 s17, s13
	s_cbranch_execz .LBB6_11410
.LBB6_11409:                            ;   in Loop: Header=BB6_11312 Depth=3
	v_and_b32_e32 v23, 0xffff, v16
	v_lshlrev_b32_e32 v16, 24, v16
	s_delay_alu instid0(VALU_DEP_2) | instskip(NEXT) | instid1(VALU_DEP_2)
	v_and_b32_e32 v26, 3, v23
	v_and_b32_e32 v16, 0x80000000, v16
	s_delay_alu instid0(VALU_DEP_2) | instskip(NEXT) | instid1(VALU_DEP_1)
	v_clz_i32_u32_e32 v27, v26
	v_min_u32_e32 v27, 32, v27
	s_delay_alu instid0(VALU_DEP_1) | instskip(SKIP_1) | instid1(VALU_DEP_2)
	v_subrev_nc_u32_e32 v36, 29, v27
	v_sub_nc_u32_e32 v27, 30, v27
	v_lshlrev_b32_e32 v36, v36, v23
	v_bfe_u32 v23, v23, 2, 5
	s_delay_alu instid0(VALU_DEP_1) | instskip(NEXT) | instid1(VALU_DEP_3)
	v_cmp_eq_u32_e32 vcc_lo, 0, v23
	v_dual_cndmask_b32 v23, v23, v27 :: v_dual_and_b32 v36, 3, v36
	s_delay_alu instid0(VALU_DEP_1) | instskip(NEXT) | instid1(VALU_DEP_2)
	v_cndmask_b32_e32 v26, v26, v36, vcc_lo
	v_lshl_add_u32 v23, v23, 23, 0x37800000
	s_delay_alu instid0(VALU_DEP_2) | instskip(NEXT) | instid1(VALU_DEP_1)
	v_lshlrev_b32_e32 v26, 21, v26
	v_or3_b32 v23, v16, v23, v26
.LBB6_11410:                            ;   in Loop: Header=BB6_11312 Depth=3
	s_or_b32 exec_lo, exec_lo, s17
	s_delay_alu instid0(VALU_DEP_1) | instskip(SKIP_1) | instid1(VALU_DEP_1)
	v_dual_mul_f32 v16, v17, v23 :: v_dual_mov_b32 v57, 0x80
	s_mov_b32 s17, exec_lo
	v_and_b32_e32 v23, 0x7f800000, v16
	s_delay_alu instid0(VALU_DEP_1)
	v_cmpx_ne_u32_e32 0x7f800000, v23
	s_cbranch_execz .LBB6_11418
; %bb.11411:                            ;   in Loop: Header=BB6_11312 Depth=3
	v_mov_b32_e32 v57, 0
	s_mov_b32 s30, exec_lo
	v_cmpx_ne_u32_e32 0, v16
	s_cbranch_execz .LBB6_11417
; %bb.11412:                            ;   in Loop: Header=BB6_11312 Depth=3
	v_bfe_u32 v23, v16, 23, 8
	s_delay_alu instid0(VALU_DEP_1) | instskip(SKIP_1) | instid1(VALU_DEP_2)
	v_sub_nc_u32_e32 v27, 0x70, v23
	v_cmp_gt_u32_e32 vcc_lo, 0x71, v23
	v_dual_cndmask_b32 v27, 0, v27 :: v_dual_and_b32 v26, 0x7fffff, v16
	s_delay_alu instid0(VALU_DEP_1) | instskip(SKIP_2) | instid1(VALU_DEP_4)
	v_or_b32_e32 v36, 0x800000, v26
	v_cmp_eq_u32_e32 vcc_lo, 0, v23
	v_add_nc_u32_e32 v23, 0xffffff91, v23
	v_cndmask_b32_e64 v27, v27, 0x6f, vcc_lo
	s_delay_alu instid0(VALU_DEP_4) | instskip(NEXT) | instid1(VALU_DEP_3)
	v_cndmask_b32_e32 v26, v36, v26, vcc_lo
	v_cndmask_b32_e64 v23, v23, 0xffffff92, vcc_lo
	s_delay_alu instid0(VALU_DEP_3) | instskip(NEXT) | instid1(VALU_DEP_3)
	v_lshl_add_u32 v36, 0x200000, v27, -1
	v_lshrrev_b32_e32 v37, v27, v26
	v_lshlrev_b32_e64 v39, v27, 0x100000
	s_delay_alu instid0(VALU_DEP_4) | instskip(NEXT) | instid1(VALU_DEP_4)
	v_add_nc_u32_e32 v27, v27, v23
	v_and_b32_e32 v26, v36, v26
	s_delay_alu instid0(VALU_DEP_4) | instskip(NEXT) | instid1(VALU_DEP_2)
	v_bfe_u32 v38, v37, 21, 1
	v_cmp_eq_u32_e64 s13, v26, v39
	s_delay_alu instid0(VALU_DEP_2) | instskip(NEXT) | instid1(VALU_DEP_1)
	v_add_nc_u32_e32 v36, -1, v38
	v_cndmask_b32_e64 v26, 0, v36, s13
	v_lshrrev_b32_e32 v36, 23, v37
	s_mov_b32 s13, exec_lo
	s_delay_alu instid0(VALU_DEP_2) | instskip(NEXT) | instid1(VALU_DEP_2)
	v_add_nc_u32_e32 v26, v26, v37
	v_xor_b32_e32 v36, 1, v36
	s_delay_alu instid0(VALU_DEP_2) | instskip(NEXT) | instid1(VALU_DEP_1)
	v_and_b32_e32 v23, 0x1fffff, v26
	v_add_nc_u32_e32 v26, v23, v37
                                        ; implicit-def: $vgpr23
	s_delay_alu instid0(VALU_DEP_3)
	v_cmpx_ne_u32_e64 v27, v36
	s_xor_b32 s13, exec_lo, s13
; %bb.11413:                            ;   in Loop: Header=BB6_11312 Depth=3
	s_delay_alu instid0(VALU_DEP_2) | instskip(SKIP_2) | instid1(VALU_DEP_2)
	v_cmp_lt_u32_e32 vcc_lo, 0xffffff, v26
	v_sub_nc_u32_e32 v23, v27, v36
	v_cndmask_b32_e64 v27, 0, 1, vcc_lo
	v_add_co_ci_u32_e32 v23, vcc_lo, 0, v23, vcc_lo
	s_delay_alu instid0(VALU_DEP_2)
	v_lshrrev_b32_e32 v26, v27, v26
; %bb.11414:                            ;   in Loop: Header=BB6_11312 Depth=3
	s_and_not1_saveexec_b32 s13, s13
; %bb.11415:                            ;   in Loop: Header=BB6_11312 Depth=3
	s_delay_alu instid0(VALU_DEP_1)
	v_bfe_u32 v23, v26, 23, 1
; %bb.11416:                            ;   in Loop: Header=BB6_11312 Depth=3
	s_or_b32 exec_lo, exec_lo, s13
	v_lshrrev_b32_e32 v26, 21, v26
	s_delay_alu instid0(VALU_DEP_2) | instskip(SKIP_2) | instid1(VALU_DEP_2)
	v_cmp_gt_i32_e32 vcc_lo, 32, v23
	v_min_i32_e32 v27, 31, v23
	v_lshrrev_b32_e32 v16, 24, v16
	v_dual_cndmask_b32 v26, 3, v26 :: v_dual_lshlrev_b32 v27, 2, v27
	s_delay_alu instid0(VALU_DEP_2) | instskip(NEXT) | instid1(VALU_DEP_2)
	v_and_b32_e32 v16, 0x80, v16
	v_or_b32_e32 v23, v23, v26
	s_delay_alu instid0(VALU_DEP_1) | instskip(SKIP_1) | instid1(VALU_DEP_1)
	v_cmp_ne_u32_e32 vcc_lo, 0, v23
	v_and_b32_e32 v36, 3, v26
	v_or3_b32 v16, v27, v16, v36
	s_delay_alu instid0(VALU_DEP_1)
	v_cndmask_b32_e32 v57, 0, v16, vcc_lo
.LBB6_11417:                            ;   in Loop: Header=BB6_11312 Depth=3
	s_or_b32 exec_lo, exec_lo, s30
.LBB6_11418:                            ;   in Loop: Header=BB6_11312 Depth=3
	s_delay_alu instid0(SALU_CYCLE_1)
	s_or_b32 exec_lo, exec_lo, s17
	flat_load_u8 v16, v[8:9] offset:256 slc dlc
	s_mov_b32 s13, 0
	s_mov_b32 s30, exec_lo
                                        ; implicit-def: $sgpr17
	s_waitcnt vmcnt(0) lgkmcnt(0)
	v_cmpx_lt_i16_e32 0x7f, v16
	s_xor_b32 s30, exec_lo, s30
	s_cbranch_execnz .LBB6_12251
; %bb.11419:                            ;   in Loop: Header=BB6_11312 Depth=3
	s_or_saveexec_b32 s30, s30
	v_mov_b32_e32 v23, s17
	s_xor_b32 exec_lo, exec_lo, s30
	s_cbranch_execnz .LBB6_12254
.LBB6_11420:                            ;   in Loop: Header=BB6_11312 Depth=3
	s_or_b32 exec_lo, exec_lo, s30
	s_and_saveexec_b32 s17, s13
	s_cbranch_execz .LBB6_11422
.LBB6_11421:                            ;   in Loop: Header=BB6_11312 Depth=3
	v_and_b32_e32 v23, 0xffff, v16
	v_lshlrev_b32_e32 v16, 24, v16
	s_delay_alu instid0(VALU_DEP_2) | instskip(NEXT) | instid1(VALU_DEP_2)
	v_and_b32_e32 v26, 3, v23
	v_and_b32_e32 v16, 0x80000000, v16
	s_delay_alu instid0(VALU_DEP_2) | instskip(NEXT) | instid1(VALU_DEP_1)
	v_clz_i32_u32_e32 v27, v26
	v_min_u32_e32 v27, 32, v27
	s_delay_alu instid0(VALU_DEP_1) | instskip(SKIP_1) | instid1(VALU_DEP_2)
	v_subrev_nc_u32_e32 v36, 29, v27
	v_sub_nc_u32_e32 v27, 30, v27
	v_lshlrev_b32_e32 v36, v36, v23
	v_bfe_u32 v23, v23, 2, 5
	s_delay_alu instid0(VALU_DEP_1) | instskip(NEXT) | instid1(VALU_DEP_3)
	v_cmp_eq_u32_e32 vcc_lo, 0, v23
	v_dual_cndmask_b32 v23, v23, v27 :: v_dual_and_b32 v36, 3, v36
	s_delay_alu instid0(VALU_DEP_1) | instskip(NEXT) | instid1(VALU_DEP_2)
	v_cndmask_b32_e32 v26, v26, v36, vcc_lo
	v_lshl_add_u32 v23, v23, 23, 0x37800000
	s_delay_alu instid0(VALU_DEP_2) | instskip(NEXT) | instid1(VALU_DEP_1)
	v_lshlrev_b32_e32 v26, 21, v26
	v_or3_b32 v23, v16, v23, v26
.LBB6_11422:                            ;   in Loop: Header=BB6_11312 Depth=3
	s_or_b32 exec_lo, exec_lo, s17
	s_delay_alu instid0(VALU_DEP_1) | instskip(SKIP_2) | instid1(VALU_DEP_2)
	v_mul_f32_e32 v16, v17, v23
	v_mov_b32_e32 v58, 0x80
	s_mov_b32 s17, exec_lo
	v_and_b32_e32 v23, 0x7f800000, v16
	s_delay_alu instid0(VALU_DEP_1)
	v_cmpx_ne_u32_e32 0x7f800000, v23
	s_cbranch_execz .LBB6_11430
; %bb.11423:                            ;   in Loop: Header=BB6_11312 Depth=3
	v_mov_b32_e32 v58, 0
	s_mov_b32 s30, exec_lo
	v_cmpx_ne_u32_e32 0, v16
	s_cbranch_execz .LBB6_11429
; %bb.11424:                            ;   in Loop: Header=BB6_11312 Depth=3
	v_bfe_u32 v23, v16, 23, 8
	s_delay_alu instid0(VALU_DEP_1) | instskip(SKIP_1) | instid1(VALU_DEP_2)
	v_sub_nc_u32_e32 v27, 0x70, v23
	v_cmp_gt_u32_e32 vcc_lo, 0x71, v23
	v_dual_cndmask_b32 v27, 0, v27 :: v_dual_and_b32 v26, 0x7fffff, v16
	s_delay_alu instid0(VALU_DEP_1) | instskip(SKIP_2) | instid1(VALU_DEP_4)
	v_or_b32_e32 v36, 0x800000, v26
	v_cmp_eq_u32_e32 vcc_lo, 0, v23
	v_add_nc_u32_e32 v23, 0xffffff91, v23
	v_cndmask_b32_e64 v27, v27, 0x6f, vcc_lo
	s_delay_alu instid0(VALU_DEP_4) | instskip(NEXT) | instid1(VALU_DEP_3)
	v_cndmask_b32_e32 v26, v36, v26, vcc_lo
	v_cndmask_b32_e64 v23, v23, 0xffffff92, vcc_lo
	s_delay_alu instid0(VALU_DEP_3) | instskip(NEXT) | instid1(VALU_DEP_3)
	v_lshl_add_u32 v36, 0x200000, v27, -1
	v_lshrrev_b32_e32 v37, v27, v26
	v_lshlrev_b32_e64 v39, v27, 0x100000
	s_delay_alu instid0(VALU_DEP_4) | instskip(NEXT) | instid1(VALU_DEP_4)
	v_add_nc_u32_e32 v27, v27, v23
	v_and_b32_e32 v26, v36, v26
	s_delay_alu instid0(VALU_DEP_4) | instskip(NEXT) | instid1(VALU_DEP_2)
	v_bfe_u32 v38, v37, 21, 1
	v_cmp_eq_u32_e64 s13, v26, v39
	s_delay_alu instid0(VALU_DEP_2) | instskip(NEXT) | instid1(VALU_DEP_1)
	v_add_nc_u32_e32 v36, -1, v38
	v_cndmask_b32_e64 v26, 0, v36, s13
	v_lshrrev_b32_e32 v36, 23, v37
	s_mov_b32 s13, exec_lo
	s_delay_alu instid0(VALU_DEP_2) | instskip(NEXT) | instid1(VALU_DEP_2)
	v_add_nc_u32_e32 v26, v26, v37
	v_xor_b32_e32 v36, 1, v36
	s_delay_alu instid0(VALU_DEP_2) | instskip(NEXT) | instid1(VALU_DEP_1)
	v_and_b32_e32 v23, 0x1fffff, v26
	v_add_nc_u32_e32 v26, v23, v37
                                        ; implicit-def: $vgpr23
	s_delay_alu instid0(VALU_DEP_3)
	v_cmpx_ne_u32_e64 v27, v36
	s_xor_b32 s13, exec_lo, s13
; %bb.11425:                            ;   in Loop: Header=BB6_11312 Depth=3
	s_delay_alu instid0(VALU_DEP_2) | instskip(SKIP_2) | instid1(VALU_DEP_2)
	v_cmp_lt_u32_e32 vcc_lo, 0xffffff, v26
	v_sub_nc_u32_e32 v23, v27, v36
	v_cndmask_b32_e64 v27, 0, 1, vcc_lo
	v_add_co_ci_u32_e32 v23, vcc_lo, 0, v23, vcc_lo
	s_delay_alu instid0(VALU_DEP_2)
	v_lshrrev_b32_e32 v26, v27, v26
; %bb.11426:                            ;   in Loop: Header=BB6_11312 Depth=3
	s_and_not1_saveexec_b32 s13, s13
; %bb.11427:                            ;   in Loop: Header=BB6_11312 Depth=3
	s_delay_alu instid0(VALU_DEP_1)
	v_bfe_u32 v23, v26, 23, 1
; %bb.11428:                            ;   in Loop: Header=BB6_11312 Depth=3
	s_or_b32 exec_lo, exec_lo, s13
	v_lshrrev_b32_e32 v26, 21, v26
	s_delay_alu instid0(VALU_DEP_2) | instskip(SKIP_2) | instid1(VALU_DEP_4)
	v_cmp_gt_i32_e32 vcc_lo, 32, v23
	v_lshrrev_b32_e32 v16, 24, v16
	v_min_i32_e32 v27, 31, v23
	v_cndmask_b32_e32 v26, 3, v26, vcc_lo
	s_delay_alu instid0(VALU_DEP_3) | instskip(NEXT) | instid1(VALU_DEP_3)
	v_and_b32_e32 v16, 0x80, v16
	v_lshlrev_b32_e32 v27, 2, v27
	s_delay_alu instid0(VALU_DEP_3) | instskip(SKIP_1) | instid1(VALU_DEP_2)
	v_and_b32_e32 v36, 3, v26
	v_or_b32_e32 v23, v23, v26
	v_or3_b32 v16, v27, v16, v36
	s_delay_alu instid0(VALU_DEP_2) | instskip(NEXT) | instid1(VALU_DEP_2)
	v_cmp_ne_u32_e32 vcc_lo, 0, v23
	v_cndmask_b32_e32 v58, 0, v16, vcc_lo
.LBB6_11429:                            ;   in Loop: Header=BB6_11312 Depth=3
	s_or_b32 exec_lo, exec_lo, s30
.LBB6_11430:                            ;   in Loop: Header=BB6_11312 Depth=3
	s_delay_alu instid0(SALU_CYCLE_1)
	s_or_b32 exec_lo, exec_lo, s17
	flat_load_u8 v16, v[8:9] offset:288 slc dlc
	s_mov_b32 s13, 0
	s_mov_b32 s30, exec_lo
                                        ; implicit-def: $sgpr17
	s_waitcnt vmcnt(0) lgkmcnt(0)
	v_cmpx_lt_i16_e32 0x7f, v16
	s_xor_b32 s30, exec_lo, s30
	s_cbranch_execnz .LBB6_12255
; %bb.11431:                            ;   in Loop: Header=BB6_11312 Depth=3
	s_or_saveexec_b32 s30, s30
	v_mov_b32_e32 v23, s17
	s_xor_b32 exec_lo, exec_lo, s30
	s_cbranch_execnz .LBB6_12258
.LBB6_11432:                            ;   in Loop: Header=BB6_11312 Depth=3
	s_or_b32 exec_lo, exec_lo, s30
	s_and_saveexec_b32 s17, s13
	s_cbranch_execz .LBB6_11434
.LBB6_11433:                            ;   in Loop: Header=BB6_11312 Depth=3
	v_and_b32_e32 v23, 0xffff, v16
	v_lshlrev_b32_e32 v16, 24, v16
	s_delay_alu instid0(VALU_DEP_2) | instskip(NEXT) | instid1(VALU_DEP_2)
	v_and_b32_e32 v26, 3, v23
	v_and_b32_e32 v16, 0x80000000, v16
	s_delay_alu instid0(VALU_DEP_2) | instskip(NEXT) | instid1(VALU_DEP_1)
	v_clz_i32_u32_e32 v27, v26
	v_min_u32_e32 v27, 32, v27
	s_delay_alu instid0(VALU_DEP_1) | instskip(SKIP_1) | instid1(VALU_DEP_2)
	v_subrev_nc_u32_e32 v36, 29, v27
	v_sub_nc_u32_e32 v27, 30, v27
	v_lshlrev_b32_e32 v36, v36, v23
	v_bfe_u32 v23, v23, 2, 5
	s_delay_alu instid0(VALU_DEP_1) | instskip(NEXT) | instid1(VALU_DEP_3)
	v_cmp_eq_u32_e32 vcc_lo, 0, v23
	v_dual_cndmask_b32 v23, v23, v27 :: v_dual_and_b32 v36, 3, v36
	s_delay_alu instid0(VALU_DEP_1) | instskip(NEXT) | instid1(VALU_DEP_2)
	v_cndmask_b32_e32 v26, v26, v36, vcc_lo
	v_lshl_add_u32 v23, v23, 23, 0x37800000
	s_delay_alu instid0(VALU_DEP_2) | instskip(NEXT) | instid1(VALU_DEP_1)
	v_lshlrev_b32_e32 v26, 21, v26
	v_or3_b32 v23, v16, v23, v26
.LBB6_11434:                            ;   in Loop: Header=BB6_11312 Depth=3
	s_or_b32 exec_lo, exec_lo, s17
	s_delay_alu instid0(VALU_DEP_1) | instskip(SKIP_2) | instid1(VALU_DEP_2)
	v_mul_f32_e32 v16, v17, v23
	v_mov_b32_e32 v56, 0x80
	s_mov_b32 s17, exec_lo
	v_and_b32_e32 v23, 0x7f800000, v16
	s_delay_alu instid0(VALU_DEP_1)
	v_cmpx_ne_u32_e32 0x7f800000, v23
	s_cbranch_execz .LBB6_11442
; %bb.11435:                            ;   in Loop: Header=BB6_11312 Depth=3
	v_mov_b32_e32 v56, 0
	s_mov_b32 s30, exec_lo
	v_cmpx_ne_u32_e32 0, v16
	s_cbranch_execz .LBB6_11441
; %bb.11436:                            ;   in Loop: Header=BB6_11312 Depth=3
	v_bfe_u32 v23, v16, 23, 8
	s_delay_alu instid0(VALU_DEP_1) | instskip(SKIP_1) | instid1(VALU_DEP_2)
	v_sub_nc_u32_e32 v27, 0x70, v23
	v_cmp_gt_u32_e32 vcc_lo, 0x71, v23
	v_dual_cndmask_b32 v27, 0, v27 :: v_dual_and_b32 v26, 0x7fffff, v16
	s_delay_alu instid0(VALU_DEP_1) | instskip(SKIP_2) | instid1(VALU_DEP_4)
	v_or_b32_e32 v36, 0x800000, v26
	v_cmp_eq_u32_e32 vcc_lo, 0, v23
	v_add_nc_u32_e32 v23, 0xffffff91, v23
	v_cndmask_b32_e64 v27, v27, 0x6f, vcc_lo
	s_delay_alu instid0(VALU_DEP_4) | instskip(NEXT) | instid1(VALU_DEP_3)
	v_cndmask_b32_e32 v26, v36, v26, vcc_lo
	v_cndmask_b32_e64 v23, v23, 0xffffff92, vcc_lo
	s_delay_alu instid0(VALU_DEP_3) | instskip(NEXT) | instid1(VALU_DEP_3)
	v_lshl_add_u32 v36, 0x200000, v27, -1
	v_lshrrev_b32_e32 v37, v27, v26
	v_lshlrev_b32_e64 v39, v27, 0x100000
	s_delay_alu instid0(VALU_DEP_4) | instskip(NEXT) | instid1(VALU_DEP_4)
	v_add_nc_u32_e32 v27, v27, v23
	v_and_b32_e32 v26, v36, v26
	s_delay_alu instid0(VALU_DEP_4) | instskip(NEXT) | instid1(VALU_DEP_2)
	v_bfe_u32 v38, v37, 21, 1
	v_cmp_eq_u32_e64 s13, v26, v39
	s_delay_alu instid0(VALU_DEP_2) | instskip(NEXT) | instid1(VALU_DEP_1)
	v_add_nc_u32_e32 v36, -1, v38
	v_cndmask_b32_e64 v26, 0, v36, s13
	v_lshrrev_b32_e32 v36, 23, v37
	s_mov_b32 s13, exec_lo
	s_delay_alu instid0(VALU_DEP_2) | instskip(NEXT) | instid1(VALU_DEP_2)
	v_add_nc_u32_e32 v26, v26, v37
	v_xor_b32_e32 v36, 1, v36
	s_delay_alu instid0(VALU_DEP_2) | instskip(NEXT) | instid1(VALU_DEP_1)
	v_and_b32_e32 v23, 0x1fffff, v26
	v_add_nc_u32_e32 v26, v23, v37
                                        ; implicit-def: $vgpr23
	s_delay_alu instid0(VALU_DEP_3)
	v_cmpx_ne_u32_e64 v27, v36
	s_xor_b32 s13, exec_lo, s13
; %bb.11437:                            ;   in Loop: Header=BB6_11312 Depth=3
	s_delay_alu instid0(VALU_DEP_2) | instskip(SKIP_2) | instid1(VALU_DEP_2)
	v_cmp_lt_u32_e32 vcc_lo, 0xffffff, v26
	v_sub_nc_u32_e32 v23, v27, v36
	v_cndmask_b32_e64 v27, 0, 1, vcc_lo
	v_add_co_ci_u32_e32 v23, vcc_lo, 0, v23, vcc_lo
	s_delay_alu instid0(VALU_DEP_2)
	v_lshrrev_b32_e32 v26, v27, v26
; %bb.11438:                            ;   in Loop: Header=BB6_11312 Depth=3
	s_and_not1_saveexec_b32 s13, s13
; %bb.11439:                            ;   in Loop: Header=BB6_11312 Depth=3
	s_delay_alu instid0(VALU_DEP_1)
	v_bfe_u32 v23, v26, 23, 1
; %bb.11440:                            ;   in Loop: Header=BB6_11312 Depth=3
	s_or_b32 exec_lo, exec_lo, s13
	v_lshrrev_b32_e32 v26, 21, v26
	s_delay_alu instid0(VALU_DEP_2) | instskip(SKIP_2) | instid1(VALU_DEP_4)
	v_cmp_gt_i32_e32 vcc_lo, 32, v23
	v_lshrrev_b32_e32 v16, 24, v16
	v_min_i32_e32 v27, 31, v23
	v_cndmask_b32_e32 v26, 3, v26, vcc_lo
	s_delay_alu instid0(VALU_DEP_3) | instskip(NEXT) | instid1(VALU_DEP_3)
	v_and_b32_e32 v16, 0x80, v16
	v_lshlrev_b32_e32 v27, 2, v27
	s_delay_alu instid0(VALU_DEP_3) | instskip(SKIP_1) | instid1(VALU_DEP_2)
	v_and_b32_e32 v36, 3, v26
	v_or_b32_e32 v23, v23, v26
	v_or3_b32 v16, v27, v16, v36
	s_delay_alu instid0(VALU_DEP_2) | instskip(NEXT) | instid1(VALU_DEP_2)
	v_cmp_ne_u32_e32 vcc_lo, 0, v23
	v_cndmask_b32_e32 v56, 0, v16, vcc_lo
.LBB6_11441:                            ;   in Loop: Header=BB6_11312 Depth=3
	s_or_b32 exec_lo, exec_lo, s30
.LBB6_11442:                            ;   in Loop: Header=BB6_11312 Depth=3
	s_delay_alu instid0(SALU_CYCLE_1)
	s_or_b32 exec_lo, exec_lo, s17
	flat_load_u8 v16, v[8:9] offset:320 slc dlc
	s_mov_b32 s13, 0
	s_mov_b32 s30, exec_lo
                                        ; implicit-def: $sgpr17
	s_waitcnt vmcnt(0) lgkmcnt(0)
	v_cmpx_lt_i16_e32 0x7f, v16
	s_xor_b32 s30, exec_lo, s30
	s_cbranch_execnz .LBB6_12259
; %bb.11443:                            ;   in Loop: Header=BB6_11312 Depth=3
	s_or_saveexec_b32 s30, s30
	v_mov_b32_e32 v23, s17
	s_xor_b32 exec_lo, exec_lo, s30
	s_cbranch_execnz .LBB6_12262
.LBB6_11444:                            ;   in Loop: Header=BB6_11312 Depth=3
	s_or_b32 exec_lo, exec_lo, s30
	s_and_saveexec_b32 s17, s13
	s_cbranch_execz .LBB6_11446
.LBB6_11445:                            ;   in Loop: Header=BB6_11312 Depth=3
	v_and_b32_e32 v23, 0xffff, v16
	v_lshlrev_b32_e32 v16, 24, v16
	s_delay_alu instid0(VALU_DEP_2) | instskip(NEXT) | instid1(VALU_DEP_2)
	v_and_b32_e32 v26, 3, v23
	v_and_b32_e32 v16, 0x80000000, v16
	s_delay_alu instid0(VALU_DEP_2) | instskip(NEXT) | instid1(VALU_DEP_1)
	v_clz_i32_u32_e32 v27, v26
	v_min_u32_e32 v27, 32, v27
	s_delay_alu instid0(VALU_DEP_1) | instskip(SKIP_1) | instid1(VALU_DEP_2)
	v_subrev_nc_u32_e32 v36, 29, v27
	v_sub_nc_u32_e32 v27, 30, v27
	v_lshlrev_b32_e32 v36, v36, v23
	v_bfe_u32 v23, v23, 2, 5
	s_delay_alu instid0(VALU_DEP_1) | instskip(NEXT) | instid1(VALU_DEP_3)
	v_cmp_eq_u32_e32 vcc_lo, 0, v23
	v_dual_cndmask_b32 v23, v23, v27 :: v_dual_and_b32 v36, 3, v36
	s_delay_alu instid0(VALU_DEP_1) | instskip(NEXT) | instid1(VALU_DEP_2)
	v_cndmask_b32_e32 v26, v26, v36, vcc_lo
	v_lshl_add_u32 v23, v23, 23, 0x37800000
	s_delay_alu instid0(VALU_DEP_2) | instskip(NEXT) | instid1(VALU_DEP_1)
	v_lshlrev_b32_e32 v26, 21, v26
	v_or3_b32 v23, v16, v23, v26
.LBB6_11446:                            ;   in Loop: Header=BB6_11312 Depth=3
	s_or_b32 exec_lo, exec_lo, s17
	s_delay_alu instid0(VALU_DEP_1) | instskip(SKIP_1) | instid1(VALU_DEP_1)
	v_dual_mul_f32 v16, v17, v23 :: v_dual_mov_b32 v113, 0x80
	s_mov_b32 s17, exec_lo
	v_and_b32_e32 v23, 0x7f800000, v16
	s_delay_alu instid0(VALU_DEP_1)
	v_cmpx_ne_u32_e32 0x7f800000, v23
	s_cbranch_execz .LBB6_11454
; %bb.11447:                            ;   in Loop: Header=BB6_11312 Depth=3
	v_mov_b32_e32 v113, 0
	s_mov_b32 s30, exec_lo
	v_cmpx_ne_u32_e32 0, v16
	s_cbranch_execz .LBB6_11453
; %bb.11448:                            ;   in Loop: Header=BB6_11312 Depth=3
	v_bfe_u32 v23, v16, 23, 8
	s_delay_alu instid0(VALU_DEP_1) | instskip(SKIP_1) | instid1(VALU_DEP_2)
	v_sub_nc_u32_e32 v27, 0x70, v23
	v_cmp_gt_u32_e32 vcc_lo, 0x71, v23
	v_dual_cndmask_b32 v27, 0, v27 :: v_dual_and_b32 v26, 0x7fffff, v16
	s_delay_alu instid0(VALU_DEP_1) | instskip(SKIP_2) | instid1(VALU_DEP_4)
	v_or_b32_e32 v36, 0x800000, v26
	v_cmp_eq_u32_e32 vcc_lo, 0, v23
	v_add_nc_u32_e32 v23, 0xffffff91, v23
	v_cndmask_b32_e64 v27, v27, 0x6f, vcc_lo
	s_delay_alu instid0(VALU_DEP_4) | instskip(NEXT) | instid1(VALU_DEP_3)
	v_cndmask_b32_e32 v26, v36, v26, vcc_lo
	v_cndmask_b32_e64 v23, v23, 0xffffff92, vcc_lo
	s_delay_alu instid0(VALU_DEP_3) | instskip(NEXT) | instid1(VALU_DEP_3)
	v_lshl_add_u32 v36, 0x200000, v27, -1
	v_lshrrev_b32_e32 v37, v27, v26
	v_lshlrev_b32_e64 v39, v27, 0x100000
	s_delay_alu instid0(VALU_DEP_4) | instskip(NEXT) | instid1(VALU_DEP_4)
	v_add_nc_u32_e32 v27, v27, v23
	v_and_b32_e32 v26, v36, v26
	s_delay_alu instid0(VALU_DEP_4) | instskip(NEXT) | instid1(VALU_DEP_2)
	v_bfe_u32 v38, v37, 21, 1
	v_cmp_eq_u32_e64 s13, v26, v39
	s_delay_alu instid0(VALU_DEP_2) | instskip(NEXT) | instid1(VALU_DEP_1)
	v_add_nc_u32_e32 v36, -1, v38
	v_cndmask_b32_e64 v26, 0, v36, s13
	v_lshrrev_b32_e32 v36, 23, v37
	s_mov_b32 s13, exec_lo
	s_delay_alu instid0(VALU_DEP_2) | instskip(NEXT) | instid1(VALU_DEP_2)
	v_add_nc_u32_e32 v26, v26, v37
	v_xor_b32_e32 v36, 1, v36
	s_delay_alu instid0(VALU_DEP_2) | instskip(NEXT) | instid1(VALU_DEP_1)
	v_and_b32_e32 v23, 0x1fffff, v26
	v_add_nc_u32_e32 v26, v23, v37
                                        ; implicit-def: $vgpr23
	s_delay_alu instid0(VALU_DEP_3)
	v_cmpx_ne_u32_e64 v27, v36
	s_xor_b32 s13, exec_lo, s13
; %bb.11449:                            ;   in Loop: Header=BB6_11312 Depth=3
	s_delay_alu instid0(VALU_DEP_2) | instskip(SKIP_2) | instid1(VALU_DEP_2)
	v_cmp_lt_u32_e32 vcc_lo, 0xffffff, v26
	v_sub_nc_u32_e32 v23, v27, v36
	v_cndmask_b32_e64 v27, 0, 1, vcc_lo
	v_add_co_ci_u32_e32 v23, vcc_lo, 0, v23, vcc_lo
	s_delay_alu instid0(VALU_DEP_2)
	v_lshrrev_b32_e32 v26, v27, v26
; %bb.11450:                            ;   in Loop: Header=BB6_11312 Depth=3
	s_and_not1_saveexec_b32 s13, s13
; %bb.11451:                            ;   in Loop: Header=BB6_11312 Depth=3
	s_delay_alu instid0(VALU_DEP_1)
	v_bfe_u32 v23, v26, 23, 1
; %bb.11452:                            ;   in Loop: Header=BB6_11312 Depth=3
	s_or_b32 exec_lo, exec_lo, s13
	v_lshrrev_b32_e32 v26, 21, v26
	s_delay_alu instid0(VALU_DEP_2) | instskip(SKIP_2) | instid1(VALU_DEP_2)
	v_cmp_gt_i32_e32 vcc_lo, 32, v23
	v_min_i32_e32 v27, 31, v23
	v_lshrrev_b32_e32 v16, 24, v16
	v_dual_cndmask_b32 v26, 3, v26 :: v_dual_lshlrev_b32 v27, 2, v27
	s_delay_alu instid0(VALU_DEP_2) | instskip(NEXT) | instid1(VALU_DEP_2)
	v_and_b32_e32 v16, 0x80, v16
	v_or_b32_e32 v23, v23, v26
	s_delay_alu instid0(VALU_DEP_1) | instskip(SKIP_1) | instid1(VALU_DEP_1)
	v_cmp_ne_u32_e32 vcc_lo, 0, v23
	v_and_b32_e32 v36, 3, v26
	v_or3_b32 v16, v27, v16, v36
	s_delay_alu instid0(VALU_DEP_1)
	v_cndmask_b32_e32 v113, 0, v16, vcc_lo
.LBB6_11453:                            ;   in Loop: Header=BB6_11312 Depth=3
	s_or_b32 exec_lo, exec_lo, s30
.LBB6_11454:                            ;   in Loop: Header=BB6_11312 Depth=3
	s_delay_alu instid0(SALU_CYCLE_1)
	s_or_b32 exec_lo, exec_lo, s17
	flat_load_u8 v16, v[8:9] offset:352 slc dlc
	s_mov_b32 s13, 0
	s_mov_b32 s30, exec_lo
                                        ; implicit-def: $sgpr17
	s_waitcnt vmcnt(0) lgkmcnt(0)
	v_cmpx_lt_i16_e32 0x7f, v16
	s_xor_b32 s30, exec_lo, s30
	s_cbranch_execnz .LBB6_12263
; %bb.11455:                            ;   in Loop: Header=BB6_11312 Depth=3
	s_or_saveexec_b32 s30, s30
	v_mov_b32_e32 v23, s17
	s_xor_b32 exec_lo, exec_lo, s30
	s_cbranch_execnz .LBB6_12266
.LBB6_11456:                            ;   in Loop: Header=BB6_11312 Depth=3
	s_or_b32 exec_lo, exec_lo, s30
	s_and_saveexec_b32 s17, s13
	s_cbranch_execz .LBB6_11458
.LBB6_11457:                            ;   in Loop: Header=BB6_11312 Depth=3
	v_and_b32_e32 v23, 0xffff, v16
	v_lshlrev_b32_e32 v16, 24, v16
	s_delay_alu instid0(VALU_DEP_2) | instskip(NEXT) | instid1(VALU_DEP_2)
	v_and_b32_e32 v26, 3, v23
	v_and_b32_e32 v16, 0x80000000, v16
	s_delay_alu instid0(VALU_DEP_2) | instskip(NEXT) | instid1(VALU_DEP_1)
	v_clz_i32_u32_e32 v27, v26
	v_min_u32_e32 v27, 32, v27
	s_delay_alu instid0(VALU_DEP_1) | instskip(SKIP_1) | instid1(VALU_DEP_2)
	v_subrev_nc_u32_e32 v36, 29, v27
	v_sub_nc_u32_e32 v27, 30, v27
	v_lshlrev_b32_e32 v36, v36, v23
	v_bfe_u32 v23, v23, 2, 5
	s_delay_alu instid0(VALU_DEP_1) | instskip(NEXT) | instid1(VALU_DEP_3)
	v_cmp_eq_u32_e32 vcc_lo, 0, v23
	v_dual_cndmask_b32 v23, v23, v27 :: v_dual_and_b32 v36, 3, v36
	s_delay_alu instid0(VALU_DEP_1) | instskip(NEXT) | instid1(VALU_DEP_2)
	v_cndmask_b32_e32 v26, v26, v36, vcc_lo
	v_lshl_add_u32 v23, v23, 23, 0x37800000
	s_delay_alu instid0(VALU_DEP_2) | instskip(NEXT) | instid1(VALU_DEP_1)
	v_lshlrev_b32_e32 v26, 21, v26
	v_or3_b32 v23, v16, v23, v26
.LBB6_11458:                            ;   in Loop: Header=BB6_11312 Depth=3
	s_or_b32 exec_lo, exec_lo, s17
	s_delay_alu instid0(VALU_DEP_1) | instskip(SKIP_1) | instid1(VALU_DEP_1)
	v_dual_mul_f32 v16, v17, v23 :: v_dual_mov_b32 v45, 0x80
	s_mov_b32 s17, exec_lo
	v_and_b32_e32 v23, 0x7f800000, v16
	s_delay_alu instid0(VALU_DEP_1)
	v_cmpx_ne_u32_e32 0x7f800000, v23
	s_cbranch_execz .LBB6_11466
; %bb.11459:                            ;   in Loop: Header=BB6_11312 Depth=3
	v_mov_b32_e32 v45, 0
	s_mov_b32 s30, exec_lo
	v_cmpx_ne_u32_e32 0, v16
	s_cbranch_execz .LBB6_11465
; %bb.11460:                            ;   in Loop: Header=BB6_11312 Depth=3
	v_bfe_u32 v23, v16, 23, 8
	s_delay_alu instid0(VALU_DEP_1) | instskip(SKIP_1) | instid1(VALU_DEP_2)
	v_sub_nc_u32_e32 v27, 0x70, v23
	v_cmp_gt_u32_e32 vcc_lo, 0x71, v23
	v_dual_cndmask_b32 v27, 0, v27 :: v_dual_and_b32 v26, 0x7fffff, v16
	s_delay_alu instid0(VALU_DEP_1) | instskip(SKIP_2) | instid1(VALU_DEP_4)
	v_or_b32_e32 v36, 0x800000, v26
	v_cmp_eq_u32_e32 vcc_lo, 0, v23
	v_add_nc_u32_e32 v23, 0xffffff91, v23
	v_cndmask_b32_e64 v27, v27, 0x6f, vcc_lo
	s_delay_alu instid0(VALU_DEP_4) | instskip(NEXT) | instid1(VALU_DEP_3)
	v_cndmask_b32_e32 v26, v36, v26, vcc_lo
	v_cndmask_b32_e64 v23, v23, 0xffffff92, vcc_lo
	s_delay_alu instid0(VALU_DEP_3) | instskip(NEXT) | instid1(VALU_DEP_3)
	v_lshl_add_u32 v36, 0x200000, v27, -1
	v_lshrrev_b32_e32 v37, v27, v26
	v_lshlrev_b32_e64 v39, v27, 0x100000
	s_delay_alu instid0(VALU_DEP_4) | instskip(NEXT) | instid1(VALU_DEP_4)
	v_add_nc_u32_e32 v27, v27, v23
	v_and_b32_e32 v26, v36, v26
	s_delay_alu instid0(VALU_DEP_4) | instskip(NEXT) | instid1(VALU_DEP_2)
	v_bfe_u32 v38, v37, 21, 1
	v_cmp_eq_u32_e64 s13, v26, v39
	s_delay_alu instid0(VALU_DEP_2) | instskip(NEXT) | instid1(VALU_DEP_1)
	v_add_nc_u32_e32 v36, -1, v38
	v_cndmask_b32_e64 v26, 0, v36, s13
	v_lshrrev_b32_e32 v36, 23, v37
	s_mov_b32 s13, exec_lo
	s_delay_alu instid0(VALU_DEP_2) | instskip(NEXT) | instid1(VALU_DEP_2)
	v_add_nc_u32_e32 v26, v26, v37
	v_xor_b32_e32 v36, 1, v36
	s_delay_alu instid0(VALU_DEP_2) | instskip(NEXT) | instid1(VALU_DEP_1)
	v_and_b32_e32 v23, 0x1fffff, v26
	v_add_nc_u32_e32 v26, v23, v37
                                        ; implicit-def: $vgpr23
	s_delay_alu instid0(VALU_DEP_3)
	v_cmpx_ne_u32_e64 v27, v36
	s_xor_b32 s13, exec_lo, s13
; %bb.11461:                            ;   in Loop: Header=BB6_11312 Depth=3
	s_delay_alu instid0(VALU_DEP_2) | instskip(SKIP_2) | instid1(VALU_DEP_2)
	v_cmp_lt_u32_e32 vcc_lo, 0xffffff, v26
	v_sub_nc_u32_e32 v23, v27, v36
	v_cndmask_b32_e64 v27, 0, 1, vcc_lo
	v_add_co_ci_u32_e32 v23, vcc_lo, 0, v23, vcc_lo
	s_delay_alu instid0(VALU_DEP_2)
	v_lshrrev_b32_e32 v26, v27, v26
; %bb.11462:                            ;   in Loop: Header=BB6_11312 Depth=3
	s_and_not1_saveexec_b32 s13, s13
; %bb.11463:                            ;   in Loop: Header=BB6_11312 Depth=3
	s_delay_alu instid0(VALU_DEP_1)
	v_bfe_u32 v23, v26, 23, 1
; %bb.11464:                            ;   in Loop: Header=BB6_11312 Depth=3
	s_or_b32 exec_lo, exec_lo, s13
	v_lshrrev_b32_e32 v26, 21, v26
	s_delay_alu instid0(VALU_DEP_2) | instskip(SKIP_2) | instid1(VALU_DEP_2)
	v_cmp_gt_i32_e32 vcc_lo, 32, v23
	v_min_i32_e32 v27, 31, v23
	v_lshrrev_b32_e32 v16, 24, v16
	v_dual_cndmask_b32 v26, 3, v26 :: v_dual_lshlrev_b32 v27, 2, v27
	s_delay_alu instid0(VALU_DEP_2) | instskip(NEXT) | instid1(VALU_DEP_2)
	v_and_b32_e32 v16, 0x80, v16
	v_or_b32_e32 v23, v23, v26
	s_delay_alu instid0(VALU_DEP_1) | instskip(SKIP_1) | instid1(VALU_DEP_1)
	v_cmp_ne_u32_e32 vcc_lo, 0, v23
	v_and_b32_e32 v36, 3, v26
	v_or3_b32 v16, v27, v16, v36
	s_delay_alu instid0(VALU_DEP_1)
	v_cndmask_b32_e32 v45, 0, v16, vcc_lo
.LBB6_11465:                            ;   in Loop: Header=BB6_11312 Depth=3
	s_or_b32 exec_lo, exec_lo, s30
.LBB6_11466:                            ;   in Loop: Header=BB6_11312 Depth=3
	s_delay_alu instid0(SALU_CYCLE_1)
	s_or_b32 exec_lo, exec_lo, s17
	flat_load_u8 v16, v[8:9] offset:384 slc dlc
	s_mov_b32 s13, 0
	s_mov_b32 s30, exec_lo
                                        ; implicit-def: $sgpr17
	s_waitcnt vmcnt(0) lgkmcnt(0)
	v_cmpx_lt_i16_e32 0x7f, v16
	s_xor_b32 s30, exec_lo, s30
	s_cbranch_execnz .LBB6_12267
; %bb.11467:                            ;   in Loop: Header=BB6_11312 Depth=3
	s_or_saveexec_b32 s30, s30
	v_mov_b32_e32 v23, s17
	s_xor_b32 exec_lo, exec_lo, s30
	s_cbranch_execnz .LBB6_12270
.LBB6_11468:                            ;   in Loop: Header=BB6_11312 Depth=3
	s_or_b32 exec_lo, exec_lo, s30
	s_and_saveexec_b32 s17, s13
	s_cbranch_execz .LBB6_11470
.LBB6_11469:                            ;   in Loop: Header=BB6_11312 Depth=3
	v_and_b32_e32 v23, 0xffff, v16
	v_lshlrev_b32_e32 v16, 24, v16
	s_delay_alu instid0(VALU_DEP_2) | instskip(NEXT) | instid1(VALU_DEP_2)
	v_and_b32_e32 v26, 3, v23
	v_and_b32_e32 v16, 0x80000000, v16
	s_delay_alu instid0(VALU_DEP_2) | instskip(NEXT) | instid1(VALU_DEP_1)
	v_clz_i32_u32_e32 v27, v26
	v_min_u32_e32 v27, 32, v27
	s_delay_alu instid0(VALU_DEP_1) | instskip(SKIP_1) | instid1(VALU_DEP_2)
	v_subrev_nc_u32_e32 v36, 29, v27
	v_sub_nc_u32_e32 v27, 30, v27
	v_lshlrev_b32_e32 v36, v36, v23
	v_bfe_u32 v23, v23, 2, 5
	s_delay_alu instid0(VALU_DEP_1) | instskip(NEXT) | instid1(VALU_DEP_3)
	v_cmp_eq_u32_e32 vcc_lo, 0, v23
	v_dual_cndmask_b32 v23, v23, v27 :: v_dual_and_b32 v36, 3, v36
	s_delay_alu instid0(VALU_DEP_1) | instskip(NEXT) | instid1(VALU_DEP_2)
	v_cndmask_b32_e32 v26, v26, v36, vcc_lo
	v_lshl_add_u32 v23, v23, 23, 0x37800000
	s_delay_alu instid0(VALU_DEP_2) | instskip(NEXT) | instid1(VALU_DEP_1)
	v_lshlrev_b32_e32 v26, 21, v26
	v_or3_b32 v23, v16, v23, v26
.LBB6_11470:                            ;   in Loop: Header=BB6_11312 Depth=3
	s_or_b32 exec_lo, exec_lo, s17
	s_delay_alu instid0(VALU_DEP_1) | instskip(SKIP_2) | instid1(VALU_DEP_2)
	v_mul_f32_e32 v16, v17, v23
	v_mov_b32_e32 v112, 0x80
	s_mov_b32 s17, exec_lo
	v_and_b32_e32 v23, 0x7f800000, v16
	s_delay_alu instid0(VALU_DEP_1)
	v_cmpx_ne_u32_e32 0x7f800000, v23
	s_cbranch_execz .LBB6_11478
; %bb.11471:                            ;   in Loop: Header=BB6_11312 Depth=3
	v_mov_b32_e32 v112, 0
	s_mov_b32 s30, exec_lo
	v_cmpx_ne_u32_e32 0, v16
	s_cbranch_execz .LBB6_11477
; %bb.11472:                            ;   in Loop: Header=BB6_11312 Depth=3
	v_bfe_u32 v23, v16, 23, 8
	s_delay_alu instid0(VALU_DEP_1) | instskip(SKIP_1) | instid1(VALU_DEP_2)
	v_sub_nc_u32_e32 v27, 0x70, v23
	v_cmp_gt_u32_e32 vcc_lo, 0x71, v23
	v_dual_cndmask_b32 v27, 0, v27 :: v_dual_and_b32 v26, 0x7fffff, v16
	s_delay_alu instid0(VALU_DEP_1) | instskip(SKIP_2) | instid1(VALU_DEP_4)
	v_or_b32_e32 v36, 0x800000, v26
	v_cmp_eq_u32_e32 vcc_lo, 0, v23
	v_add_nc_u32_e32 v23, 0xffffff91, v23
	v_cndmask_b32_e64 v27, v27, 0x6f, vcc_lo
	s_delay_alu instid0(VALU_DEP_4) | instskip(NEXT) | instid1(VALU_DEP_3)
	v_cndmask_b32_e32 v26, v36, v26, vcc_lo
	v_cndmask_b32_e64 v23, v23, 0xffffff92, vcc_lo
	s_delay_alu instid0(VALU_DEP_3) | instskip(NEXT) | instid1(VALU_DEP_3)
	v_lshl_add_u32 v36, 0x200000, v27, -1
	v_lshrrev_b32_e32 v37, v27, v26
	v_lshlrev_b32_e64 v39, v27, 0x100000
	s_delay_alu instid0(VALU_DEP_4) | instskip(NEXT) | instid1(VALU_DEP_4)
	v_add_nc_u32_e32 v27, v27, v23
	v_and_b32_e32 v26, v36, v26
	s_delay_alu instid0(VALU_DEP_4) | instskip(NEXT) | instid1(VALU_DEP_2)
	v_bfe_u32 v38, v37, 21, 1
	v_cmp_eq_u32_e64 s13, v26, v39
	s_delay_alu instid0(VALU_DEP_2) | instskip(NEXT) | instid1(VALU_DEP_1)
	v_add_nc_u32_e32 v36, -1, v38
	v_cndmask_b32_e64 v26, 0, v36, s13
	v_lshrrev_b32_e32 v36, 23, v37
	s_mov_b32 s13, exec_lo
	s_delay_alu instid0(VALU_DEP_2) | instskip(NEXT) | instid1(VALU_DEP_2)
	v_add_nc_u32_e32 v26, v26, v37
	v_xor_b32_e32 v36, 1, v36
	s_delay_alu instid0(VALU_DEP_2) | instskip(NEXT) | instid1(VALU_DEP_1)
	v_and_b32_e32 v23, 0x1fffff, v26
	v_add_nc_u32_e32 v26, v23, v37
                                        ; implicit-def: $vgpr23
	s_delay_alu instid0(VALU_DEP_3)
	v_cmpx_ne_u32_e64 v27, v36
	s_xor_b32 s13, exec_lo, s13
; %bb.11473:                            ;   in Loop: Header=BB6_11312 Depth=3
	s_delay_alu instid0(VALU_DEP_2) | instskip(SKIP_2) | instid1(VALU_DEP_2)
	v_cmp_lt_u32_e32 vcc_lo, 0xffffff, v26
	v_sub_nc_u32_e32 v23, v27, v36
	v_cndmask_b32_e64 v27, 0, 1, vcc_lo
	v_add_co_ci_u32_e32 v23, vcc_lo, 0, v23, vcc_lo
	s_delay_alu instid0(VALU_DEP_2)
	v_lshrrev_b32_e32 v26, v27, v26
; %bb.11474:                            ;   in Loop: Header=BB6_11312 Depth=3
	s_and_not1_saveexec_b32 s13, s13
; %bb.11475:                            ;   in Loop: Header=BB6_11312 Depth=3
	s_delay_alu instid0(VALU_DEP_1)
	v_bfe_u32 v23, v26, 23, 1
; %bb.11476:                            ;   in Loop: Header=BB6_11312 Depth=3
	s_or_b32 exec_lo, exec_lo, s13
	v_lshrrev_b32_e32 v26, 21, v26
	s_delay_alu instid0(VALU_DEP_2) | instskip(SKIP_2) | instid1(VALU_DEP_4)
	v_cmp_gt_i32_e32 vcc_lo, 32, v23
	v_lshrrev_b32_e32 v16, 24, v16
	v_min_i32_e32 v27, 31, v23
	v_cndmask_b32_e32 v26, 3, v26, vcc_lo
	s_delay_alu instid0(VALU_DEP_3) | instskip(NEXT) | instid1(VALU_DEP_3)
	v_and_b32_e32 v16, 0x80, v16
	v_lshlrev_b32_e32 v27, 2, v27
	s_delay_alu instid0(VALU_DEP_3) | instskip(SKIP_1) | instid1(VALU_DEP_2)
	v_and_b32_e32 v36, 3, v26
	v_or_b32_e32 v23, v23, v26
	v_or3_b32 v16, v27, v16, v36
	s_delay_alu instid0(VALU_DEP_2) | instskip(NEXT) | instid1(VALU_DEP_2)
	v_cmp_ne_u32_e32 vcc_lo, 0, v23
	v_cndmask_b32_e32 v112, 0, v16, vcc_lo
.LBB6_11477:                            ;   in Loop: Header=BB6_11312 Depth=3
	s_or_b32 exec_lo, exec_lo, s30
.LBB6_11478:                            ;   in Loop: Header=BB6_11312 Depth=3
	s_delay_alu instid0(SALU_CYCLE_1)
	s_or_b32 exec_lo, exec_lo, s17
	flat_load_u8 v16, v[8:9] offset:416 slc dlc
	s_mov_b32 s13, 0
	s_mov_b32 s30, exec_lo
                                        ; implicit-def: $sgpr17
	s_waitcnt vmcnt(0) lgkmcnt(0)
	v_cmpx_lt_i16_e32 0x7f, v16
	s_xor_b32 s30, exec_lo, s30
	s_cbranch_execnz .LBB6_12271
; %bb.11479:                            ;   in Loop: Header=BB6_11312 Depth=3
	s_or_saveexec_b32 s30, s30
	v_mov_b32_e32 v23, s17
	s_xor_b32 exec_lo, exec_lo, s30
	s_cbranch_execnz .LBB6_12274
.LBB6_11480:                            ;   in Loop: Header=BB6_11312 Depth=3
	s_or_b32 exec_lo, exec_lo, s30
	s_and_saveexec_b32 s17, s13
	s_cbranch_execz .LBB6_11482
.LBB6_11481:                            ;   in Loop: Header=BB6_11312 Depth=3
	v_and_b32_e32 v23, 0xffff, v16
	v_lshlrev_b32_e32 v16, 24, v16
	s_delay_alu instid0(VALU_DEP_2) | instskip(NEXT) | instid1(VALU_DEP_2)
	v_and_b32_e32 v26, 3, v23
	v_and_b32_e32 v16, 0x80000000, v16
	s_delay_alu instid0(VALU_DEP_2) | instskip(NEXT) | instid1(VALU_DEP_1)
	v_clz_i32_u32_e32 v27, v26
	v_min_u32_e32 v27, 32, v27
	s_delay_alu instid0(VALU_DEP_1) | instskip(SKIP_1) | instid1(VALU_DEP_2)
	v_subrev_nc_u32_e32 v36, 29, v27
	v_sub_nc_u32_e32 v27, 30, v27
	v_lshlrev_b32_e32 v36, v36, v23
	v_bfe_u32 v23, v23, 2, 5
	s_delay_alu instid0(VALU_DEP_1) | instskip(NEXT) | instid1(VALU_DEP_3)
	v_cmp_eq_u32_e32 vcc_lo, 0, v23
	v_dual_cndmask_b32 v23, v23, v27 :: v_dual_and_b32 v36, 3, v36
	s_delay_alu instid0(VALU_DEP_1) | instskip(NEXT) | instid1(VALU_DEP_2)
	v_cndmask_b32_e32 v26, v26, v36, vcc_lo
	v_lshl_add_u32 v23, v23, 23, 0x37800000
	s_delay_alu instid0(VALU_DEP_2) | instskip(NEXT) | instid1(VALU_DEP_1)
	v_lshlrev_b32_e32 v26, 21, v26
	v_or3_b32 v23, v16, v23, v26
.LBB6_11482:                            ;   in Loop: Header=BB6_11312 Depth=3
	s_or_b32 exec_lo, exec_lo, s17
	s_delay_alu instid0(VALU_DEP_1) | instskip(SKIP_1) | instid1(VALU_DEP_1)
	v_dual_mul_f32 v16, v17, v23 :: v_dual_mov_b32 v41, 0x80
	s_mov_b32 s17, exec_lo
	v_and_b32_e32 v23, 0x7f800000, v16
	s_delay_alu instid0(VALU_DEP_1)
	v_cmpx_ne_u32_e32 0x7f800000, v23
	s_cbranch_execz .LBB6_11490
; %bb.11483:                            ;   in Loop: Header=BB6_11312 Depth=3
	v_mov_b32_e32 v41, 0
	s_mov_b32 s30, exec_lo
	v_cmpx_ne_u32_e32 0, v16
	s_cbranch_execz .LBB6_11489
; %bb.11484:                            ;   in Loop: Header=BB6_11312 Depth=3
	v_bfe_u32 v23, v16, 23, 8
	s_delay_alu instid0(VALU_DEP_1) | instskip(SKIP_1) | instid1(VALU_DEP_2)
	v_sub_nc_u32_e32 v27, 0x70, v23
	v_cmp_gt_u32_e32 vcc_lo, 0x71, v23
	v_dual_cndmask_b32 v27, 0, v27 :: v_dual_and_b32 v26, 0x7fffff, v16
	s_delay_alu instid0(VALU_DEP_1) | instskip(SKIP_2) | instid1(VALU_DEP_4)
	v_or_b32_e32 v36, 0x800000, v26
	v_cmp_eq_u32_e32 vcc_lo, 0, v23
	v_add_nc_u32_e32 v23, 0xffffff91, v23
	v_cndmask_b32_e64 v27, v27, 0x6f, vcc_lo
	s_delay_alu instid0(VALU_DEP_4) | instskip(NEXT) | instid1(VALU_DEP_3)
	v_cndmask_b32_e32 v26, v36, v26, vcc_lo
	v_cndmask_b32_e64 v23, v23, 0xffffff92, vcc_lo
	s_delay_alu instid0(VALU_DEP_3) | instskip(NEXT) | instid1(VALU_DEP_3)
	v_lshl_add_u32 v36, 0x200000, v27, -1
	v_lshrrev_b32_e32 v37, v27, v26
	v_lshlrev_b32_e64 v39, v27, 0x100000
	s_delay_alu instid0(VALU_DEP_4) | instskip(NEXT) | instid1(VALU_DEP_4)
	v_add_nc_u32_e32 v27, v27, v23
	v_and_b32_e32 v26, v36, v26
	s_delay_alu instid0(VALU_DEP_4) | instskip(NEXT) | instid1(VALU_DEP_2)
	v_bfe_u32 v38, v37, 21, 1
	v_cmp_eq_u32_e64 s13, v26, v39
	s_delay_alu instid0(VALU_DEP_2) | instskip(NEXT) | instid1(VALU_DEP_1)
	v_add_nc_u32_e32 v36, -1, v38
	v_cndmask_b32_e64 v26, 0, v36, s13
	v_lshrrev_b32_e32 v36, 23, v37
	s_mov_b32 s13, exec_lo
	s_delay_alu instid0(VALU_DEP_2) | instskip(NEXT) | instid1(VALU_DEP_2)
	v_add_nc_u32_e32 v26, v26, v37
	v_xor_b32_e32 v36, 1, v36
	s_delay_alu instid0(VALU_DEP_2) | instskip(NEXT) | instid1(VALU_DEP_1)
	v_and_b32_e32 v23, 0x1fffff, v26
	v_add_nc_u32_e32 v26, v23, v37
                                        ; implicit-def: $vgpr23
	s_delay_alu instid0(VALU_DEP_3)
	v_cmpx_ne_u32_e64 v27, v36
	s_xor_b32 s13, exec_lo, s13
; %bb.11485:                            ;   in Loop: Header=BB6_11312 Depth=3
	s_delay_alu instid0(VALU_DEP_2) | instskip(SKIP_2) | instid1(VALU_DEP_2)
	v_cmp_lt_u32_e32 vcc_lo, 0xffffff, v26
	v_sub_nc_u32_e32 v23, v27, v36
	v_cndmask_b32_e64 v27, 0, 1, vcc_lo
	v_add_co_ci_u32_e32 v23, vcc_lo, 0, v23, vcc_lo
	s_delay_alu instid0(VALU_DEP_2)
	v_lshrrev_b32_e32 v26, v27, v26
; %bb.11486:                            ;   in Loop: Header=BB6_11312 Depth=3
	s_and_not1_saveexec_b32 s13, s13
; %bb.11487:                            ;   in Loop: Header=BB6_11312 Depth=3
	s_delay_alu instid0(VALU_DEP_1)
	v_bfe_u32 v23, v26, 23, 1
; %bb.11488:                            ;   in Loop: Header=BB6_11312 Depth=3
	s_or_b32 exec_lo, exec_lo, s13
	v_lshrrev_b32_e32 v26, 21, v26
	s_delay_alu instid0(VALU_DEP_2) | instskip(SKIP_2) | instid1(VALU_DEP_2)
	v_cmp_gt_i32_e32 vcc_lo, 32, v23
	v_min_i32_e32 v27, 31, v23
	v_lshrrev_b32_e32 v16, 24, v16
	v_dual_cndmask_b32 v26, 3, v26 :: v_dual_lshlrev_b32 v27, 2, v27
	s_delay_alu instid0(VALU_DEP_2) | instskip(NEXT) | instid1(VALU_DEP_2)
	v_and_b32_e32 v16, 0x80, v16
	v_or_b32_e32 v23, v23, v26
	s_delay_alu instid0(VALU_DEP_1) | instskip(SKIP_1) | instid1(VALU_DEP_1)
	v_cmp_ne_u32_e32 vcc_lo, 0, v23
	v_and_b32_e32 v36, 3, v26
	v_or3_b32 v16, v27, v16, v36
	s_delay_alu instid0(VALU_DEP_1)
	v_cndmask_b32_e32 v41, 0, v16, vcc_lo
.LBB6_11489:                            ;   in Loop: Header=BB6_11312 Depth=3
	s_or_b32 exec_lo, exec_lo, s30
.LBB6_11490:                            ;   in Loop: Header=BB6_11312 Depth=3
	s_delay_alu instid0(SALU_CYCLE_1)
	s_or_b32 exec_lo, exec_lo, s17
	flat_load_u8 v16, v[8:9] offset:448 slc dlc
	s_mov_b32 s13, 0
	s_mov_b32 s30, exec_lo
                                        ; implicit-def: $sgpr17
	s_waitcnt vmcnt(0) lgkmcnt(0)
	v_cmpx_lt_i16_e32 0x7f, v16
	s_xor_b32 s30, exec_lo, s30
	s_cbranch_execnz .LBB6_12275
; %bb.11491:                            ;   in Loop: Header=BB6_11312 Depth=3
	s_or_saveexec_b32 s30, s30
	v_mov_b32_e32 v23, s17
	s_xor_b32 exec_lo, exec_lo, s30
	s_cbranch_execnz .LBB6_12278
.LBB6_11492:                            ;   in Loop: Header=BB6_11312 Depth=3
	s_or_b32 exec_lo, exec_lo, s30
	s_and_saveexec_b32 s17, s13
	s_cbranch_execz .LBB6_11494
.LBB6_11493:                            ;   in Loop: Header=BB6_11312 Depth=3
	v_and_b32_e32 v23, 0xffff, v16
	v_lshlrev_b32_e32 v16, 24, v16
	s_delay_alu instid0(VALU_DEP_2) | instskip(NEXT) | instid1(VALU_DEP_2)
	v_and_b32_e32 v26, 3, v23
	v_and_b32_e32 v16, 0x80000000, v16
	s_delay_alu instid0(VALU_DEP_2) | instskip(NEXT) | instid1(VALU_DEP_1)
	v_clz_i32_u32_e32 v27, v26
	v_min_u32_e32 v27, 32, v27
	s_delay_alu instid0(VALU_DEP_1) | instskip(SKIP_1) | instid1(VALU_DEP_2)
	v_subrev_nc_u32_e32 v36, 29, v27
	v_sub_nc_u32_e32 v27, 30, v27
	v_lshlrev_b32_e32 v36, v36, v23
	v_bfe_u32 v23, v23, 2, 5
	s_delay_alu instid0(VALU_DEP_1) | instskip(NEXT) | instid1(VALU_DEP_3)
	v_cmp_eq_u32_e32 vcc_lo, 0, v23
	v_dual_cndmask_b32 v23, v23, v27 :: v_dual_and_b32 v36, 3, v36
	s_delay_alu instid0(VALU_DEP_1) | instskip(NEXT) | instid1(VALU_DEP_2)
	v_cndmask_b32_e32 v26, v26, v36, vcc_lo
	v_lshl_add_u32 v23, v23, 23, 0x37800000
	s_delay_alu instid0(VALU_DEP_2) | instskip(NEXT) | instid1(VALU_DEP_1)
	v_lshlrev_b32_e32 v26, 21, v26
	v_or3_b32 v23, v16, v23, v26
.LBB6_11494:                            ;   in Loop: Header=BB6_11312 Depth=3
	s_or_b32 exec_lo, exec_lo, s17
	s_delay_alu instid0(VALU_DEP_1) | instskip(SKIP_2) | instid1(VALU_DEP_2)
	v_mul_f32_e32 v16, v17, v23
	v_mov_b32_e32 v40, 0x80
	s_mov_b32 s17, exec_lo
	v_and_b32_e32 v23, 0x7f800000, v16
	s_delay_alu instid0(VALU_DEP_1)
	v_cmpx_ne_u32_e32 0x7f800000, v23
	s_cbranch_execz .LBB6_11502
; %bb.11495:                            ;   in Loop: Header=BB6_11312 Depth=3
	v_mov_b32_e32 v40, 0
	s_mov_b32 s30, exec_lo
	v_cmpx_ne_u32_e32 0, v16
	s_cbranch_execz .LBB6_11501
; %bb.11496:                            ;   in Loop: Header=BB6_11312 Depth=3
	v_bfe_u32 v23, v16, 23, 8
	s_delay_alu instid0(VALU_DEP_1) | instskip(SKIP_1) | instid1(VALU_DEP_2)
	v_sub_nc_u32_e32 v27, 0x70, v23
	v_cmp_gt_u32_e32 vcc_lo, 0x71, v23
	v_dual_cndmask_b32 v27, 0, v27 :: v_dual_and_b32 v26, 0x7fffff, v16
	s_delay_alu instid0(VALU_DEP_1) | instskip(SKIP_2) | instid1(VALU_DEP_4)
	v_or_b32_e32 v36, 0x800000, v26
	v_cmp_eq_u32_e32 vcc_lo, 0, v23
	v_add_nc_u32_e32 v23, 0xffffff91, v23
	v_cndmask_b32_e64 v27, v27, 0x6f, vcc_lo
	s_delay_alu instid0(VALU_DEP_4) | instskip(NEXT) | instid1(VALU_DEP_3)
	v_cndmask_b32_e32 v26, v36, v26, vcc_lo
	v_cndmask_b32_e64 v23, v23, 0xffffff92, vcc_lo
	s_delay_alu instid0(VALU_DEP_3) | instskip(NEXT) | instid1(VALU_DEP_3)
	v_lshl_add_u32 v36, 0x200000, v27, -1
	v_lshrrev_b32_e32 v37, v27, v26
	v_lshlrev_b32_e64 v39, v27, 0x100000
	s_delay_alu instid0(VALU_DEP_4) | instskip(NEXT) | instid1(VALU_DEP_4)
	v_add_nc_u32_e32 v27, v27, v23
	v_and_b32_e32 v26, v36, v26
	s_delay_alu instid0(VALU_DEP_4) | instskip(NEXT) | instid1(VALU_DEP_2)
	v_bfe_u32 v38, v37, 21, 1
	v_cmp_eq_u32_e64 s13, v26, v39
	s_delay_alu instid0(VALU_DEP_2) | instskip(NEXT) | instid1(VALU_DEP_1)
	v_add_nc_u32_e32 v36, -1, v38
	v_cndmask_b32_e64 v26, 0, v36, s13
	v_lshrrev_b32_e32 v36, 23, v37
	s_mov_b32 s13, exec_lo
	s_delay_alu instid0(VALU_DEP_2) | instskip(NEXT) | instid1(VALU_DEP_2)
	v_add_nc_u32_e32 v26, v26, v37
	v_xor_b32_e32 v36, 1, v36
	s_delay_alu instid0(VALU_DEP_2) | instskip(NEXT) | instid1(VALU_DEP_1)
	v_and_b32_e32 v23, 0x1fffff, v26
	v_add_nc_u32_e32 v26, v23, v37
                                        ; implicit-def: $vgpr23
	s_delay_alu instid0(VALU_DEP_3)
	v_cmpx_ne_u32_e64 v27, v36
	s_xor_b32 s13, exec_lo, s13
; %bb.11497:                            ;   in Loop: Header=BB6_11312 Depth=3
	s_delay_alu instid0(VALU_DEP_2) | instskip(SKIP_2) | instid1(VALU_DEP_2)
	v_cmp_lt_u32_e32 vcc_lo, 0xffffff, v26
	v_sub_nc_u32_e32 v23, v27, v36
	v_cndmask_b32_e64 v27, 0, 1, vcc_lo
	v_add_co_ci_u32_e32 v23, vcc_lo, 0, v23, vcc_lo
	s_delay_alu instid0(VALU_DEP_2)
	v_lshrrev_b32_e32 v26, v27, v26
; %bb.11498:                            ;   in Loop: Header=BB6_11312 Depth=3
	s_and_not1_saveexec_b32 s13, s13
; %bb.11499:                            ;   in Loop: Header=BB6_11312 Depth=3
	s_delay_alu instid0(VALU_DEP_1)
	v_bfe_u32 v23, v26, 23, 1
; %bb.11500:                            ;   in Loop: Header=BB6_11312 Depth=3
	s_or_b32 exec_lo, exec_lo, s13
	v_lshrrev_b32_e32 v26, 21, v26
	s_delay_alu instid0(VALU_DEP_2) | instskip(SKIP_2) | instid1(VALU_DEP_4)
	v_cmp_gt_i32_e32 vcc_lo, 32, v23
	v_lshrrev_b32_e32 v16, 24, v16
	v_min_i32_e32 v27, 31, v23
	v_cndmask_b32_e32 v26, 3, v26, vcc_lo
	s_delay_alu instid0(VALU_DEP_3) | instskip(NEXT) | instid1(VALU_DEP_3)
	v_and_b32_e32 v16, 0x80, v16
	v_lshlrev_b32_e32 v27, 2, v27
	s_delay_alu instid0(VALU_DEP_3) | instskip(SKIP_1) | instid1(VALU_DEP_2)
	v_and_b32_e32 v36, 3, v26
	v_or_b32_e32 v23, v23, v26
	v_or3_b32 v16, v27, v16, v36
	s_delay_alu instid0(VALU_DEP_2) | instskip(NEXT) | instid1(VALU_DEP_2)
	v_cmp_ne_u32_e32 vcc_lo, 0, v23
	v_cndmask_b32_e32 v40, 0, v16, vcc_lo
.LBB6_11501:                            ;   in Loop: Header=BB6_11312 Depth=3
	s_or_b32 exec_lo, exec_lo, s30
.LBB6_11502:                            ;   in Loop: Header=BB6_11312 Depth=3
	s_delay_alu instid0(SALU_CYCLE_1)
	s_or_b32 exec_lo, exec_lo, s17
	flat_load_u8 v16, v[8:9] offset:480 slc dlc
	s_mov_b32 s13, 0
	s_mov_b32 s30, exec_lo
                                        ; implicit-def: $sgpr17
	s_waitcnt vmcnt(0) lgkmcnt(0)
	v_cmpx_lt_i16_e32 0x7f, v16
	s_xor_b32 s30, exec_lo, s30
	s_cbranch_execnz .LBB6_12279
; %bb.11503:                            ;   in Loop: Header=BB6_11312 Depth=3
	s_or_saveexec_b32 s30, s30
	v_mov_b32_e32 v23, s17
	s_xor_b32 exec_lo, exec_lo, s30
	s_cbranch_execnz .LBB6_12282
.LBB6_11504:                            ;   in Loop: Header=BB6_11312 Depth=3
	s_or_b32 exec_lo, exec_lo, s30
	s_and_saveexec_b32 s17, s13
	s_cbranch_execz .LBB6_11506
.LBB6_11505:                            ;   in Loop: Header=BB6_11312 Depth=3
	v_and_b32_e32 v23, 0xffff, v16
	v_lshlrev_b32_e32 v16, 24, v16
	s_delay_alu instid0(VALU_DEP_2) | instskip(NEXT) | instid1(VALU_DEP_2)
	v_and_b32_e32 v26, 3, v23
	v_and_b32_e32 v16, 0x80000000, v16
	s_delay_alu instid0(VALU_DEP_2) | instskip(NEXT) | instid1(VALU_DEP_1)
	v_clz_i32_u32_e32 v27, v26
	v_min_u32_e32 v27, 32, v27
	s_delay_alu instid0(VALU_DEP_1) | instskip(SKIP_1) | instid1(VALU_DEP_2)
	v_subrev_nc_u32_e32 v36, 29, v27
	v_sub_nc_u32_e32 v27, 30, v27
	v_lshlrev_b32_e32 v36, v36, v23
	v_bfe_u32 v23, v23, 2, 5
	s_delay_alu instid0(VALU_DEP_1) | instskip(NEXT) | instid1(VALU_DEP_3)
	v_cmp_eq_u32_e32 vcc_lo, 0, v23
	v_dual_cndmask_b32 v23, v23, v27 :: v_dual_and_b32 v36, 3, v36
	s_delay_alu instid0(VALU_DEP_1) | instskip(NEXT) | instid1(VALU_DEP_2)
	v_cndmask_b32_e32 v26, v26, v36, vcc_lo
	v_lshl_add_u32 v23, v23, 23, 0x37800000
	s_delay_alu instid0(VALU_DEP_2) | instskip(NEXT) | instid1(VALU_DEP_1)
	v_lshlrev_b32_e32 v26, 21, v26
	v_or3_b32 v23, v16, v23, v26
.LBB6_11506:                            ;   in Loop: Header=BB6_11312 Depth=3
	s_or_b32 exec_lo, exec_lo, s17
	s_delay_alu instid0(VALU_DEP_1) | instskip(SKIP_2) | instid1(VALU_DEP_2)
	v_mul_f32_e32 v16, v17, v23
	v_mov_b32_e32 v182, 0x80
	s_mov_b32 s17, exec_lo
	v_and_b32_e32 v23, 0x7f800000, v16
	s_delay_alu instid0(VALU_DEP_1)
	v_cmpx_ne_u32_e32 0x7f800000, v23
	s_cbranch_execz .LBB6_11514
; %bb.11507:                            ;   in Loop: Header=BB6_11312 Depth=3
	v_mov_b32_e32 v182, 0
	s_mov_b32 s30, exec_lo
	v_cmpx_ne_u32_e32 0, v16
	s_cbranch_execz .LBB6_11513
; %bb.11508:                            ;   in Loop: Header=BB6_11312 Depth=3
	v_bfe_u32 v23, v16, 23, 8
	s_delay_alu instid0(VALU_DEP_1) | instskip(SKIP_1) | instid1(VALU_DEP_2)
	v_sub_nc_u32_e32 v27, 0x70, v23
	v_cmp_gt_u32_e32 vcc_lo, 0x71, v23
	v_dual_cndmask_b32 v27, 0, v27 :: v_dual_and_b32 v26, 0x7fffff, v16
	s_delay_alu instid0(VALU_DEP_1) | instskip(SKIP_2) | instid1(VALU_DEP_4)
	v_or_b32_e32 v36, 0x800000, v26
	v_cmp_eq_u32_e32 vcc_lo, 0, v23
	v_add_nc_u32_e32 v23, 0xffffff91, v23
	v_cndmask_b32_e64 v27, v27, 0x6f, vcc_lo
	s_delay_alu instid0(VALU_DEP_4) | instskip(NEXT) | instid1(VALU_DEP_3)
	v_cndmask_b32_e32 v26, v36, v26, vcc_lo
	v_cndmask_b32_e64 v23, v23, 0xffffff92, vcc_lo
	s_delay_alu instid0(VALU_DEP_3) | instskip(NEXT) | instid1(VALU_DEP_3)
	v_lshl_add_u32 v36, 0x200000, v27, -1
	v_lshrrev_b32_e32 v37, v27, v26
	v_lshlrev_b32_e64 v39, v27, 0x100000
	s_delay_alu instid0(VALU_DEP_4) | instskip(NEXT) | instid1(VALU_DEP_4)
	v_add_nc_u32_e32 v27, v27, v23
	v_and_b32_e32 v26, v36, v26
	s_delay_alu instid0(VALU_DEP_4) | instskip(NEXT) | instid1(VALU_DEP_2)
	v_bfe_u32 v38, v37, 21, 1
	v_cmp_eq_u32_e64 s13, v26, v39
	s_delay_alu instid0(VALU_DEP_2) | instskip(NEXT) | instid1(VALU_DEP_1)
	v_add_nc_u32_e32 v36, -1, v38
	v_cndmask_b32_e64 v26, 0, v36, s13
	v_lshrrev_b32_e32 v36, 23, v37
	s_mov_b32 s13, exec_lo
	s_delay_alu instid0(VALU_DEP_2) | instskip(NEXT) | instid1(VALU_DEP_2)
	v_add_nc_u32_e32 v26, v26, v37
	v_xor_b32_e32 v36, 1, v36
	s_delay_alu instid0(VALU_DEP_2) | instskip(NEXT) | instid1(VALU_DEP_1)
	v_and_b32_e32 v23, 0x1fffff, v26
	v_add_nc_u32_e32 v26, v23, v37
                                        ; implicit-def: $vgpr23
	s_delay_alu instid0(VALU_DEP_3)
	v_cmpx_ne_u32_e64 v27, v36
	s_xor_b32 s13, exec_lo, s13
; %bb.11509:                            ;   in Loop: Header=BB6_11312 Depth=3
	s_delay_alu instid0(VALU_DEP_2) | instskip(SKIP_2) | instid1(VALU_DEP_2)
	v_cmp_lt_u32_e32 vcc_lo, 0xffffff, v26
	v_sub_nc_u32_e32 v23, v27, v36
	v_cndmask_b32_e64 v27, 0, 1, vcc_lo
	v_add_co_ci_u32_e32 v23, vcc_lo, 0, v23, vcc_lo
	s_delay_alu instid0(VALU_DEP_2)
	v_lshrrev_b32_e32 v26, v27, v26
; %bb.11510:                            ;   in Loop: Header=BB6_11312 Depth=3
	s_and_not1_saveexec_b32 s13, s13
; %bb.11511:                            ;   in Loop: Header=BB6_11312 Depth=3
	s_delay_alu instid0(VALU_DEP_1)
	v_bfe_u32 v23, v26, 23, 1
; %bb.11512:                            ;   in Loop: Header=BB6_11312 Depth=3
	s_or_b32 exec_lo, exec_lo, s13
	v_lshrrev_b32_e32 v26, 21, v26
	s_delay_alu instid0(VALU_DEP_2) | instskip(SKIP_2) | instid1(VALU_DEP_4)
	v_cmp_gt_i32_e32 vcc_lo, 32, v23
	v_lshrrev_b32_e32 v16, 24, v16
	v_min_i32_e32 v27, 31, v23
	v_cndmask_b32_e32 v26, 3, v26, vcc_lo
	s_delay_alu instid0(VALU_DEP_3) | instskip(NEXT) | instid1(VALU_DEP_3)
	v_and_b32_e32 v16, 0x80, v16
	v_lshlrev_b32_e32 v27, 2, v27
	s_delay_alu instid0(VALU_DEP_3) | instskip(SKIP_1) | instid1(VALU_DEP_2)
	v_and_b32_e32 v36, 3, v26
	v_or_b32_e32 v23, v23, v26
	v_or3_b32 v16, v27, v16, v36
	s_delay_alu instid0(VALU_DEP_2) | instskip(NEXT) | instid1(VALU_DEP_2)
	v_cmp_ne_u32_e32 vcc_lo, 0, v23
	v_cndmask_b32_e32 v182, 0, v16, vcc_lo
.LBB6_11513:                            ;   in Loop: Header=BB6_11312 Depth=3
	s_or_b32 exec_lo, exec_lo, s30
.LBB6_11514:                            ;   in Loop: Header=BB6_11312 Depth=3
	s_delay_alu instid0(SALU_CYCLE_1)
	s_or_b32 exec_lo, exec_lo, s17
	flat_load_u8 v16, v[8:9] offset:512 slc dlc
	s_mov_b32 s13, 0
	s_mov_b32 s30, exec_lo
                                        ; implicit-def: $sgpr17
	s_waitcnt vmcnt(0) lgkmcnt(0)
	v_cmpx_lt_i16_e32 0x7f, v16
	s_xor_b32 s30, exec_lo, s30
	s_cbranch_execnz .LBB6_12283
; %bb.11515:                            ;   in Loop: Header=BB6_11312 Depth=3
	s_or_saveexec_b32 s30, s30
	v_mov_b32_e32 v23, s17
	s_xor_b32 exec_lo, exec_lo, s30
	s_cbranch_execnz .LBB6_12286
.LBB6_11516:                            ;   in Loop: Header=BB6_11312 Depth=3
	s_or_b32 exec_lo, exec_lo, s30
	s_and_saveexec_b32 s17, s13
	s_cbranch_execz .LBB6_11518
.LBB6_11517:                            ;   in Loop: Header=BB6_11312 Depth=3
	v_and_b32_e32 v23, 0xffff, v16
	v_lshlrev_b32_e32 v16, 24, v16
	s_delay_alu instid0(VALU_DEP_2) | instskip(NEXT) | instid1(VALU_DEP_2)
	v_and_b32_e32 v26, 3, v23
	v_and_b32_e32 v16, 0x80000000, v16
	s_delay_alu instid0(VALU_DEP_2) | instskip(NEXT) | instid1(VALU_DEP_1)
	v_clz_i32_u32_e32 v27, v26
	v_min_u32_e32 v27, 32, v27
	s_delay_alu instid0(VALU_DEP_1) | instskip(SKIP_1) | instid1(VALU_DEP_2)
	v_subrev_nc_u32_e32 v36, 29, v27
	v_sub_nc_u32_e32 v27, 30, v27
	v_lshlrev_b32_e32 v36, v36, v23
	v_bfe_u32 v23, v23, 2, 5
	s_delay_alu instid0(VALU_DEP_1) | instskip(NEXT) | instid1(VALU_DEP_3)
	v_cmp_eq_u32_e32 vcc_lo, 0, v23
	v_dual_cndmask_b32 v23, v23, v27 :: v_dual_and_b32 v36, 3, v36
	s_delay_alu instid0(VALU_DEP_1) | instskip(NEXT) | instid1(VALU_DEP_2)
	v_cndmask_b32_e32 v26, v26, v36, vcc_lo
	v_lshl_add_u32 v23, v23, 23, 0x37800000
	s_delay_alu instid0(VALU_DEP_2) | instskip(NEXT) | instid1(VALU_DEP_1)
	v_lshlrev_b32_e32 v26, 21, v26
	v_or3_b32 v23, v16, v23, v26
.LBB6_11518:                            ;   in Loop: Header=BB6_11312 Depth=3
	s_or_b32 exec_lo, exec_lo, s17
	s_delay_alu instid0(VALU_DEP_1) | instskip(SKIP_1) | instid1(VALU_DEP_1)
	v_dual_mul_f32 v16, v17, v23 :: v_dual_mov_b32 v55, 0x80
	s_mov_b32 s17, exec_lo
	v_and_b32_e32 v23, 0x7f800000, v16
	s_delay_alu instid0(VALU_DEP_1)
	v_cmpx_ne_u32_e32 0x7f800000, v23
	s_cbranch_execz .LBB6_11526
; %bb.11519:                            ;   in Loop: Header=BB6_11312 Depth=3
	v_mov_b32_e32 v55, 0
	s_mov_b32 s30, exec_lo
	v_cmpx_ne_u32_e32 0, v16
	s_cbranch_execz .LBB6_11525
; %bb.11520:                            ;   in Loop: Header=BB6_11312 Depth=3
	v_bfe_u32 v23, v16, 23, 8
	s_delay_alu instid0(VALU_DEP_1) | instskip(SKIP_1) | instid1(VALU_DEP_2)
	v_sub_nc_u32_e32 v27, 0x70, v23
	v_cmp_gt_u32_e32 vcc_lo, 0x71, v23
	v_dual_cndmask_b32 v27, 0, v27 :: v_dual_and_b32 v26, 0x7fffff, v16
	s_delay_alu instid0(VALU_DEP_1) | instskip(SKIP_2) | instid1(VALU_DEP_4)
	v_or_b32_e32 v36, 0x800000, v26
	v_cmp_eq_u32_e32 vcc_lo, 0, v23
	v_add_nc_u32_e32 v23, 0xffffff91, v23
	v_cndmask_b32_e64 v27, v27, 0x6f, vcc_lo
	s_delay_alu instid0(VALU_DEP_4) | instskip(NEXT) | instid1(VALU_DEP_3)
	v_cndmask_b32_e32 v26, v36, v26, vcc_lo
	v_cndmask_b32_e64 v23, v23, 0xffffff92, vcc_lo
	s_delay_alu instid0(VALU_DEP_3) | instskip(NEXT) | instid1(VALU_DEP_3)
	v_lshl_add_u32 v36, 0x200000, v27, -1
	v_lshrrev_b32_e32 v37, v27, v26
	v_lshlrev_b32_e64 v39, v27, 0x100000
	s_delay_alu instid0(VALU_DEP_4) | instskip(NEXT) | instid1(VALU_DEP_4)
	v_add_nc_u32_e32 v27, v27, v23
	v_and_b32_e32 v26, v36, v26
	s_delay_alu instid0(VALU_DEP_4) | instskip(NEXT) | instid1(VALU_DEP_2)
	v_bfe_u32 v38, v37, 21, 1
	v_cmp_eq_u32_e64 s13, v26, v39
	s_delay_alu instid0(VALU_DEP_2) | instskip(NEXT) | instid1(VALU_DEP_1)
	v_add_nc_u32_e32 v36, -1, v38
	v_cndmask_b32_e64 v26, 0, v36, s13
	v_lshrrev_b32_e32 v36, 23, v37
	s_mov_b32 s13, exec_lo
	s_delay_alu instid0(VALU_DEP_2) | instskip(NEXT) | instid1(VALU_DEP_2)
	v_add_nc_u32_e32 v26, v26, v37
	v_xor_b32_e32 v36, 1, v36
	s_delay_alu instid0(VALU_DEP_2) | instskip(NEXT) | instid1(VALU_DEP_1)
	v_and_b32_e32 v23, 0x1fffff, v26
	v_add_nc_u32_e32 v26, v23, v37
                                        ; implicit-def: $vgpr23
	s_delay_alu instid0(VALU_DEP_3)
	v_cmpx_ne_u32_e64 v27, v36
	s_xor_b32 s13, exec_lo, s13
; %bb.11521:                            ;   in Loop: Header=BB6_11312 Depth=3
	s_delay_alu instid0(VALU_DEP_2) | instskip(SKIP_2) | instid1(VALU_DEP_2)
	v_cmp_lt_u32_e32 vcc_lo, 0xffffff, v26
	v_sub_nc_u32_e32 v23, v27, v36
	v_cndmask_b32_e64 v27, 0, 1, vcc_lo
	v_add_co_ci_u32_e32 v23, vcc_lo, 0, v23, vcc_lo
	s_delay_alu instid0(VALU_DEP_2)
	v_lshrrev_b32_e32 v26, v27, v26
; %bb.11522:                            ;   in Loop: Header=BB6_11312 Depth=3
	s_and_not1_saveexec_b32 s13, s13
; %bb.11523:                            ;   in Loop: Header=BB6_11312 Depth=3
	s_delay_alu instid0(VALU_DEP_1)
	v_bfe_u32 v23, v26, 23, 1
; %bb.11524:                            ;   in Loop: Header=BB6_11312 Depth=3
	s_or_b32 exec_lo, exec_lo, s13
	v_lshrrev_b32_e32 v26, 21, v26
	s_delay_alu instid0(VALU_DEP_2) | instskip(SKIP_2) | instid1(VALU_DEP_2)
	v_cmp_gt_i32_e32 vcc_lo, 32, v23
	v_min_i32_e32 v27, 31, v23
	v_lshrrev_b32_e32 v16, 24, v16
	v_dual_cndmask_b32 v26, 3, v26 :: v_dual_lshlrev_b32 v27, 2, v27
	s_delay_alu instid0(VALU_DEP_2) | instskip(NEXT) | instid1(VALU_DEP_2)
	v_and_b32_e32 v16, 0x80, v16
	v_or_b32_e32 v23, v23, v26
	s_delay_alu instid0(VALU_DEP_1) | instskip(SKIP_1) | instid1(VALU_DEP_1)
	v_cmp_ne_u32_e32 vcc_lo, 0, v23
	v_and_b32_e32 v36, 3, v26
	v_or3_b32 v16, v27, v16, v36
	s_delay_alu instid0(VALU_DEP_1)
	v_cndmask_b32_e32 v55, 0, v16, vcc_lo
.LBB6_11525:                            ;   in Loop: Header=BB6_11312 Depth=3
	s_or_b32 exec_lo, exec_lo, s30
.LBB6_11526:                            ;   in Loop: Header=BB6_11312 Depth=3
	s_delay_alu instid0(SALU_CYCLE_1)
	s_or_b32 exec_lo, exec_lo, s17
	flat_load_u8 v16, v[8:9] offset:544 slc dlc
	s_mov_b32 s13, 0
	s_mov_b32 s30, exec_lo
                                        ; implicit-def: $sgpr17
	s_waitcnt vmcnt(0) lgkmcnt(0)
	v_cmpx_lt_i16_e32 0x7f, v16
	s_xor_b32 s30, exec_lo, s30
	s_cbranch_execnz .LBB6_12287
; %bb.11527:                            ;   in Loop: Header=BB6_11312 Depth=3
	s_or_saveexec_b32 s30, s30
	v_mov_b32_e32 v23, s17
	s_xor_b32 exec_lo, exec_lo, s30
	s_cbranch_execnz .LBB6_12290
.LBB6_11528:                            ;   in Loop: Header=BB6_11312 Depth=3
	s_or_b32 exec_lo, exec_lo, s30
	s_and_saveexec_b32 s17, s13
	s_cbranch_execz .LBB6_11530
.LBB6_11529:                            ;   in Loop: Header=BB6_11312 Depth=3
	v_and_b32_e32 v23, 0xffff, v16
	v_lshlrev_b32_e32 v16, 24, v16
	s_delay_alu instid0(VALU_DEP_2) | instskip(NEXT) | instid1(VALU_DEP_2)
	v_and_b32_e32 v26, 3, v23
	v_and_b32_e32 v16, 0x80000000, v16
	s_delay_alu instid0(VALU_DEP_2) | instskip(NEXT) | instid1(VALU_DEP_1)
	v_clz_i32_u32_e32 v27, v26
	v_min_u32_e32 v27, 32, v27
	s_delay_alu instid0(VALU_DEP_1) | instskip(SKIP_1) | instid1(VALU_DEP_2)
	v_subrev_nc_u32_e32 v36, 29, v27
	v_sub_nc_u32_e32 v27, 30, v27
	v_lshlrev_b32_e32 v36, v36, v23
	v_bfe_u32 v23, v23, 2, 5
	s_delay_alu instid0(VALU_DEP_1) | instskip(NEXT) | instid1(VALU_DEP_3)
	v_cmp_eq_u32_e32 vcc_lo, 0, v23
	v_dual_cndmask_b32 v23, v23, v27 :: v_dual_and_b32 v36, 3, v36
	s_delay_alu instid0(VALU_DEP_1) | instskip(NEXT) | instid1(VALU_DEP_2)
	v_cndmask_b32_e32 v26, v26, v36, vcc_lo
	v_lshl_add_u32 v23, v23, 23, 0x37800000
	s_delay_alu instid0(VALU_DEP_2) | instskip(NEXT) | instid1(VALU_DEP_1)
	v_lshlrev_b32_e32 v26, 21, v26
	v_or3_b32 v23, v16, v23, v26
.LBB6_11530:                            ;   in Loop: Header=BB6_11312 Depth=3
	s_or_b32 exec_lo, exec_lo, s17
	s_delay_alu instid0(VALU_DEP_1) | instskip(SKIP_1) | instid1(VALU_DEP_1)
	v_dual_mul_f32 v16, v17, v23 :: v_dual_mov_b32 v179, 0x80
	s_mov_b32 s17, exec_lo
	v_and_b32_e32 v23, 0x7f800000, v16
	s_delay_alu instid0(VALU_DEP_1)
	v_cmpx_ne_u32_e32 0x7f800000, v23
	s_cbranch_execz .LBB6_11538
; %bb.11531:                            ;   in Loop: Header=BB6_11312 Depth=3
	v_mov_b32_e32 v179, 0
	s_mov_b32 s30, exec_lo
	v_cmpx_ne_u32_e32 0, v16
	s_cbranch_execz .LBB6_11537
; %bb.11532:                            ;   in Loop: Header=BB6_11312 Depth=3
	v_bfe_u32 v23, v16, 23, 8
	s_delay_alu instid0(VALU_DEP_1) | instskip(SKIP_1) | instid1(VALU_DEP_2)
	v_sub_nc_u32_e32 v27, 0x70, v23
	v_cmp_gt_u32_e32 vcc_lo, 0x71, v23
	v_dual_cndmask_b32 v27, 0, v27 :: v_dual_and_b32 v26, 0x7fffff, v16
	s_delay_alu instid0(VALU_DEP_1) | instskip(SKIP_2) | instid1(VALU_DEP_4)
	v_or_b32_e32 v36, 0x800000, v26
	v_cmp_eq_u32_e32 vcc_lo, 0, v23
	v_add_nc_u32_e32 v23, 0xffffff91, v23
	v_cndmask_b32_e64 v27, v27, 0x6f, vcc_lo
	s_delay_alu instid0(VALU_DEP_4) | instskip(NEXT) | instid1(VALU_DEP_3)
	v_cndmask_b32_e32 v26, v36, v26, vcc_lo
	v_cndmask_b32_e64 v23, v23, 0xffffff92, vcc_lo
	s_delay_alu instid0(VALU_DEP_3) | instskip(NEXT) | instid1(VALU_DEP_3)
	v_lshl_add_u32 v36, 0x200000, v27, -1
	v_lshrrev_b32_e32 v37, v27, v26
	v_lshlrev_b32_e64 v39, v27, 0x100000
	s_delay_alu instid0(VALU_DEP_4) | instskip(NEXT) | instid1(VALU_DEP_4)
	v_add_nc_u32_e32 v27, v27, v23
	v_and_b32_e32 v26, v36, v26
	s_delay_alu instid0(VALU_DEP_4) | instskip(NEXT) | instid1(VALU_DEP_2)
	v_bfe_u32 v38, v37, 21, 1
	v_cmp_eq_u32_e64 s13, v26, v39
	s_delay_alu instid0(VALU_DEP_2) | instskip(NEXT) | instid1(VALU_DEP_1)
	v_add_nc_u32_e32 v36, -1, v38
	v_cndmask_b32_e64 v26, 0, v36, s13
	v_lshrrev_b32_e32 v36, 23, v37
	s_mov_b32 s13, exec_lo
	s_delay_alu instid0(VALU_DEP_2) | instskip(NEXT) | instid1(VALU_DEP_2)
	v_add_nc_u32_e32 v26, v26, v37
	v_xor_b32_e32 v36, 1, v36
	s_delay_alu instid0(VALU_DEP_2) | instskip(NEXT) | instid1(VALU_DEP_1)
	v_and_b32_e32 v23, 0x1fffff, v26
	v_add_nc_u32_e32 v26, v23, v37
                                        ; implicit-def: $vgpr23
	s_delay_alu instid0(VALU_DEP_3)
	v_cmpx_ne_u32_e64 v27, v36
	s_xor_b32 s13, exec_lo, s13
; %bb.11533:                            ;   in Loop: Header=BB6_11312 Depth=3
	s_delay_alu instid0(VALU_DEP_2) | instskip(SKIP_2) | instid1(VALU_DEP_2)
	v_cmp_lt_u32_e32 vcc_lo, 0xffffff, v26
	v_sub_nc_u32_e32 v23, v27, v36
	v_cndmask_b32_e64 v27, 0, 1, vcc_lo
	v_add_co_ci_u32_e32 v23, vcc_lo, 0, v23, vcc_lo
	s_delay_alu instid0(VALU_DEP_2)
	v_lshrrev_b32_e32 v26, v27, v26
; %bb.11534:                            ;   in Loop: Header=BB6_11312 Depth=3
	s_and_not1_saveexec_b32 s13, s13
; %bb.11535:                            ;   in Loop: Header=BB6_11312 Depth=3
	s_delay_alu instid0(VALU_DEP_1)
	v_bfe_u32 v23, v26, 23, 1
; %bb.11536:                            ;   in Loop: Header=BB6_11312 Depth=3
	s_or_b32 exec_lo, exec_lo, s13
	v_lshrrev_b32_e32 v26, 21, v26
	s_delay_alu instid0(VALU_DEP_2) | instskip(SKIP_2) | instid1(VALU_DEP_2)
	v_cmp_gt_i32_e32 vcc_lo, 32, v23
	v_min_i32_e32 v27, 31, v23
	v_lshrrev_b32_e32 v16, 24, v16
	v_dual_cndmask_b32 v26, 3, v26 :: v_dual_lshlrev_b32 v27, 2, v27
	s_delay_alu instid0(VALU_DEP_2) | instskip(NEXT) | instid1(VALU_DEP_2)
	v_and_b32_e32 v16, 0x80, v16
	v_or_b32_e32 v23, v23, v26
	s_delay_alu instid0(VALU_DEP_1) | instskip(SKIP_1) | instid1(VALU_DEP_1)
	v_cmp_ne_u32_e32 vcc_lo, 0, v23
	v_and_b32_e32 v36, 3, v26
	v_or3_b32 v16, v27, v16, v36
	s_delay_alu instid0(VALU_DEP_1)
	v_cndmask_b32_e32 v179, 0, v16, vcc_lo
.LBB6_11537:                            ;   in Loop: Header=BB6_11312 Depth=3
	s_or_b32 exec_lo, exec_lo, s30
.LBB6_11538:                            ;   in Loop: Header=BB6_11312 Depth=3
	s_delay_alu instid0(SALU_CYCLE_1)
	s_or_b32 exec_lo, exec_lo, s17
	flat_load_u8 v16, v[8:9] offset:576 slc dlc
	s_mov_b32 s13, 0
	s_mov_b32 s30, exec_lo
                                        ; implicit-def: $sgpr17
	s_waitcnt vmcnt(0) lgkmcnt(0)
	v_cmpx_lt_i16_e32 0x7f, v16
	s_xor_b32 s30, exec_lo, s30
	s_cbranch_execnz .LBB6_12291
; %bb.11539:                            ;   in Loop: Header=BB6_11312 Depth=3
	s_or_saveexec_b32 s30, s30
	v_mov_b32_e32 v23, s17
	s_xor_b32 exec_lo, exec_lo, s30
	s_cbranch_execnz .LBB6_12294
.LBB6_11540:                            ;   in Loop: Header=BB6_11312 Depth=3
	s_or_b32 exec_lo, exec_lo, s30
	s_and_saveexec_b32 s17, s13
	s_cbranch_execz .LBB6_11542
.LBB6_11541:                            ;   in Loop: Header=BB6_11312 Depth=3
	v_and_b32_e32 v23, 0xffff, v16
	v_lshlrev_b32_e32 v16, 24, v16
	s_delay_alu instid0(VALU_DEP_2) | instskip(NEXT) | instid1(VALU_DEP_2)
	v_and_b32_e32 v26, 3, v23
	v_and_b32_e32 v16, 0x80000000, v16
	s_delay_alu instid0(VALU_DEP_2) | instskip(NEXT) | instid1(VALU_DEP_1)
	v_clz_i32_u32_e32 v27, v26
	v_min_u32_e32 v27, 32, v27
	s_delay_alu instid0(VALU_DEP_1) | instskip(SKIP_1) | instid1(VALU_DEP_2)
	v_subrev_nc_u32_e32 v36, 29, v27
	v_sub_nc_u32_e32 v27, 30, v27
	v_lshlrev_b32_e32 v36, v36, v23
	v_bfe_u32 v23, v23, 2, 5
	s_delay_alu instid0(VALU_DEP_1) | instskip(NEXT) | instid1(VALU_DEP_3)
	v_cmp_eq_u32_e32 vcc_lo, 0, v23
	v_dual_cndmask_b32 v23, v23, v27 :: v_dual_and_b32 v36, 3, v36
	s_delay_alu instid0(VALU_DEP_1) | instskip(NEXT) | instid1(VALU_DEP_2)
	v_cndmask_b32_e32 v26, v26, v36, vcc_lo
	v_lshl_add_u32 v23, v23, 23, 0x37800000
	s_delay_alu instid0(VALU_DEP_2) | instskip(NEXT) | instid1(VALU_DEP_1)
	v_lshlrev_b32_e32 v26, 21, v26
	v_or3_b32 v23, v16, v23, v26
.LBB6_11542:                            ;   in Loop: Header=BB6_11312 Depth=3
	s_or_b32 exec_lo, exec_lo, s17
	s_delay_alu instid0(VALU_DEP_1) | instskip(SKIP_1) | instid1(VALU_DEP_1)
	v_dual_mul_f32 v16, v17, v23 :: v_dual_mov_b32 v177, 0x80
	s_mov_b32 s17, exec_lo
	v_and_b32_e32 v23, 0x7f800000, v16
	s_delay_alu instid0(VALU_DEP_1)
	v_cmpx_ne_u32_e32 0x7f800000, v23
	s_cbranch_execz .LBB6_11550
; %bb.11543:                            ;   in Loop: Header=BB6_11312 Depth=3
	v_mov_b32_e32 v177, 0
	s_mov_b32 s30, exec_lo
	v_cmpx_ne_u32_e32 0, v16
	s_cbranch_execz .LBB6_11549
; %bb.11544:                            ;   in Loop: Header=BB6_11312 Depth=3
	v_bfe_u32 v23, v16, 23, 8
	s_delay_alu instid0(VALU_DEP_1) | instskip(SKIP_1) | instid1(VALU_DEP_2)
	v_sub_nc_u32_e32 v27, 0x70, v23
	v_cmp_gt_u32_e32 vcc_lo, 0x71, v23
	v_dual_cndmask_b32 v27, 0, v27 :: v_dual_and_b32 v26, 0x7fffff, v16
	s_delay_alu instid0(VALU_DEP_1) | instskip(SKIP_2) | instid1(VALU_DEP_4)
	v_or_b32_e32 v36, 0x800000, v26
	v_cmp_eq_u32_e32 vcc_lo, 0, v23
	v_add_nc_u32_e32 v23, 0xffffff91, v23
	v_cndmask_b32_e64 v27, v27, 0x6f, vcc_lo
	s_delay_alu instid0(VALU_DEP_4) | instskip(NEXT) | instid1(VALU_DEP_3)
	v_cndmask_b32_e32 v26, v36, v26, vcc_lo
	v_cndmask_b32_e64 v23, v23, 0xffffff92, vcc_lo
	s_delay_alu instid0(VALU_DEP_3) | instskip(NEXT) | instid1(VALU_DEP_3)
	v_lshl_add_u32 v36, 0x200000, v27, -1
	v_lshrrev_b32_e32 v37, v27, v26
	v_lshlrev_b32_e64 v39, v27, 0x100000
	s_delay_alu instid0(VALU_DEP_4) | instskip(NEXT) | instid1(VALU_DEP_4)
	v_add_nc_u32_e32 v27, v27, v23
	v_and_b32_e32 v26, v36, v26
	s_delay_alu instid0(VALU_DEP_4) | instskip(NEXT) | instid1(VALU_DEP_2)
	v_bfe_u32 v38, v37, 21, 1
	v_cmp_eq_u32_e64 s13, v26, v39
	s_delay_alu instid0(VALU_DEP_2) | instskip(NEXT) | instid1(VALU_DEP_1)
	v_add_nc_u32_e32 v36, -1, v38
	v_cndmask_b32_e64 v26, 0, v36, s13
	v_lshrrev_b32_e32 v36, 23, v37
	s_mov_b32 s13, exec_lo
	s_delay_alu instid0(VALU_DEP_2) | instskip(NEXT) | instid1(VALU_DEP_2)
	v_add_nc_u32_e32 v26, v26, v37
	v_xor_b32_e32 v36, 1, v36
	s_delay_alu instid0(VALU_DEP_2) | instskip(NEXT) | instid1(VALU_DEP_1)
	v_and_b32_e32 v23, 0x1fffff, v26
	v_add_nc_u32_e32 v26, v23, v37
                                        ; implicit-def: $vgpr23
	s_delay_alu instid0(VALU_DEP_3)
	v_cmpx_ne_u32_e64 v27, v36
	s_xor_b32 s13, exec_lo, s13
; %bb.11545:                            ;   in Loop: Header=BB6_11312 Depth=3
	s_delay_alu instid0(VALU_DEP_2) | instskip(SKIP_2) | instid1(VALU_DEP_2)
	v_cmp_lt_u32_e32 vcc_lo, 0xffffff, v26
	v_sub_nc_u32_e32 v23, v27, v36
	v_cndmask_b32_e64 v27, 0, 1, vcc_lo
	v_add_co_ci_u32_e32 v23, vcc_lo, 0, v23, vcc_lo
	s_delay_alu instid0(VALU_DEP_2)
	v_lshrrev_b32_e32 v26, v27, v26
; %bb.11546:                            ;   in Loop: Header=BB6_11312 Depth=3
	s_and_not1_saveexec_b32 s13, s13
; %bb.11547:                            ;   in Loop: Header=BB6_11312 Depth=3
	s_delay_alu instid0(VALU_DEP_1)
	v_bfe_u32 v23, v26, 23, 1
; %bb.11548:                            ;   in Loop: Header=BB6_11312 Depth=3
	s_or_b32 exec_lo, exec_lo, s13
	v_lshrrev_b32_e32 v26, 21, v26
	s_delay_alu instid0(VALU_DEP_2) | instskip(SKIP_2) | instid1(VALU_DEP_2)
	v_cmp_gt_i32_e32 vcc_lo, 32, v23
	v_min_i32_e32 v27, 31, v23
	v_lshrrev_b32_e32 v16, 24, v16
	v_dual_cndmask_b32 v26, 3, v26 :: v_dual_lshlrev_b32 v27, 2, v27
	s_delay_alu instid0(VALU_DEP_2) | instskip(NEXT) | instid1(VALU_DEP_2)
	v_and_b32_e32 v16, 0x80, v16
	v_or_b32_e32 v23, v23, v26
	s_delay_alu instid0(VALU_DEP_1) | instskip(SKIP_1) | instid1(VALU_DEP_1)
	v_cmp_ne_u32_e32 vcc_lo, 0, v23
	v_and_b32_e32 v36, 3, v26
	v_or3_b32 v16, v27, v16, v36
	s_delay_alu instid0(VALU_DEP_1)
	v_cndmask_b32_e32 v177, 0, v16, vcc_lo
.LBB6_11549:                            ;   in Loop: Header=BB6_11312 Depth=3
	s_or_b32 exec_lo, exec_lo, s30
.LBB6_11550:                            ;   in Loop: Header=BB6_11312 Depth=3
	s_delay_alu instid0(SALU_CYCLE_1)
	s_or_b32 exec_lo, exec_lo, s17
	flat_load_u8 v16, v[8:9] offset:608 slc dlc
	s_mov_b32 s13, 0
	s_mov_b32 s30, exec_lo
                                        ; implicit-def: $sgpr17
	s_waitcnt vmcnt(0) lgkmcnt(0)
	v_cmpx_lt_i16_e32 0x7f, v16
	s_xor_b32 s30, exec_lo, s30
	s_cbranch_execnz .LBB6_12295
; %bb.11551:                            ;   in Loop: Header=BB6_11312 Depth=3
	s_or_saveexec_b32 s30, s30
	v_mov_b32_e32 v23, s17
	s_xor_b32 exec_lo, exec_lo, s30
	s_cbranch_execnz .LBB6_12298
.LBB6_11552:                            ;   in Loop: Header=BB6_11312 Depth=3
	s_or_b32 exec_lo, exec_lo, s30
	s_and_saveexec_b32 s17, s13
	s_cbranch_execz .LBB6_11554
.LBB6_11553:                            ;   in Loop: Header=BB6_11312 Depth=3
	v_and_b32_e32 v23, 0xffff, v16
	v_lshlrev_b32_e32 v16, 24, v16
	s_delay_alu instid0(VALU_DEP_2) | instskip(NEXT) | instid1(VALU_DEP_2)
	v_and_b32_e32 v26, 3, v23
	v_and_b32_e32 v16, 0x80000000, v16
	s_delay_alu instid0(VALU_DEP_2) | instskip(NEXT) | instid1(VALU_DEP_1)
	v_clz_i32_u32_e32 v27, v26
	v_min_u32_e32 v27, 32, v27
	s_delay_alu instid0(VALU_DEP_1) | instskip(SKIP_1) | instid1(VALU_DEP_2)
	v_subrev_nc_u32_e32 v36, 29, v27
	v_sub_nc_u32_e32 v27, 30, v27
	v_lshlrev_b32_e32 v36, v36, v23
	v_bfe_u32 v23, v23, 2, 5
	s_delay_alu instid0(VALU_DEP_1) | instskip(NEXT) | instid1(VALU_DEP_3)
	v_cmp_eq_u32_e32 vcc_lo, 0, v23
	v_dual_cndmask_b32 v23, v23, v27 :: v_dual_and_b32 v36, 3, v36
	s_delay_alu instid0(VALU_DEP_1) | instskip(NEXT) | instid1(VALU_DEP_2)
	v_cndmask_b32_e32 v26, v26, v36, vcc_lo
	v_lshl_add_u32 v23, v23, 23, 0x37800000
	s_delay_alu instid0(VALU_DEP_2) | instskip(NEXT) | instid1(VALU_DEP_1)
	v_lshlrev_b32_e32 v26, 21, v26
	v_or3_b32 v23, v16, v23, v26
.LBB6_11554:                            ;   in Loop: Header=BB6_11312 Depth=3
	s_or_b32 exec_lo, exec_lo, s17
	s_delay_alu instid0(VALU_DEP_1) | instskip(SKIP_1) | instid1(VALU_DEP_1)
	v_dual_mul_f32 v16, v17, v23 :: v_dual_mov_b32 v167, 0x80
	s_mov_b32 s17, exec_lo
	v_and_b32_e32 v23, 0x7f800000, v16
	s_delay_alu instid0(VALU_DEP_1)
	v_cmpx_ne_u32_e32 0x7f800000, v23
	s_cbranch_execz .LBB6_11562
; %bb.11555:                            ;   in Loop: Header=BB6_11312 Depth=3
	v_mov_b32_e32 v167, 0
	s_mov_b32 s30, exec_lo
	v_cmpx_ne_u32_e32 0, v16
	s_cbranch_execz .LBB6_11561
; %bb.11556:                            ;   in Loop: Header=BB6_11312 Depth=3
	v_bfe_u32 v23, v16, 23, 8
	s_delay_alu instid0(VALU_DEP_1) | instskip(SKIP_1) | instid1(VALU_DEP_2)
	v_sub_nc_u32_e32 v27, 0x70, v23
	v_cmp_gt_u32_e32 vcc_lo, 0x71, v23
	v_dual_cndmask_b32 v27, 0, v27 :: v_dual_and_b32 v26, 0x7fffff, v16
	s_delay_alu instid0(VALU_DEP_1) | instskip(SKIP_2) | instid1(VALU_DEP_4)
	v_or_b32_e32 v36, 0x800000, v26
	v_cmp_eq_u32_e32 vcc_lo, 0, v23
	v_add_nc_u32_e32 v23, 0xffffff91, v23
	v_cndmask_b32_e64 v27, v27, 0x6f, vcc_lo
	s_delay_alu instid0(VALU_DEP_4) | instskip(NEXT) | instid1(VALU_DEP_3)
	v_cndmask_b32_e32 v26, v36, v26, vcc_lo
	v_cndmask_b32_e64 v23, v23, 0xffffff92, vcc_lo
	s_delay_alu instid0(VALU_DEP_3) | instskip(NEXT) | instid1(VALU_DEP_3)
	v_lshl_add_u32 v36, 0x200000, v27, -1
	v_lshrrev_b32_e32 v37, v27, v26
	v_lshlrev_b32_e64 v39, v27, 0x100000
	s_delay_alu instid0(VALU_DEP_4) | instskip(NEXT) | instid1(VALU_DEP_4)
	v_add_nc_u32_e32 v27, v27, v23
	v_and_b32_e32 v26, v36, v26
	s_delay_alu instid0(VALU_DEP_4) | instskip(NEXT) | instid1(VALU_DEP_2)
	v_bfe_u32 v38, v37, 21, 1
	v_cmp_eq_u32_e64 s13, v26, v39
	s_delay_alu instid0(VALU_DEP_2) | instskip(NEXT) | instid1(VALU_DEP_1)
	v_add_nc_u32_e32 v36, -1, v38
	v_cndmask_b32_e64 v26, 0, v36, s13
	v_lshrrev_b32_e32 v36, 23, v37
	s_mov_b32 s13, exec_lo
	s_delay_alu instid0(VALU_DEP_2) | instskip(NEXT) | instid1(VALU_DEP_2)
	v_add_nc_u32_e32 v26, v26, v37
	v_xor_b32_e32 v36, 1, v36
	s_delay_alu instid0(VALU_DEP_2) | instskip(NEXT) | instid1(VALU_DEP_1)
	v_and_b32_e32 v23, 0x1fffff, v26
	v_add_nc_u32_e32 v26, v23, v37
                                        ; implicit-def: $vgpr23
	s_delay_alu instid0(VALU_DEP_3)
	v_cmpx_ne_u32_e64 v27, v36
	s_xor_b32 s13, exec_lo, s13
; %bb.11557:                            ;   in Loop: Header=BB6_11312 Depth=3
	s_delay_alu instid0(VALU_DEP_2) | instskip(SKIP_2) | instid1(VALU_DEP_2)
	v_cmp_lt_u32_e32 vcc_lo, 0xffffff, v26
	v_sub_nc_u32_e32 v23, v27, v36
	v_cndmask_b32_e64 v27, 0, 1, vcc_lo
	v_add_co_ci_u32_e32 v23, vcc_lo, 0, v23, vcc_lo
	s_delay_alu instid0(VALU_DEP_2)
	v_lshrrev_b32_e32 v26, v27, v26
; %bb.11558:                            ;   in Loop: Header=BB6_11312 Depth=3
	s_and_not1_saveexec_b32 s13, s13
; %bb.11559:                            ;   in Loop: Header=BB6_11312 Depth=3
	s_delay_alu instid0(VALU_DEP_1)
	v_bfe_u32 v23, v26, 23, 1
; %bb.11560:                            ;   in Loop: Header=BB6_11312 Depth=3
	s_or_b32 exec_lo, exec_lo, s13
	v_lshrrev_b32_e32 v26, 21, v26
	s_delay_alu instid0(VALU_DEP_2) | instskip(SKIP_2) | instid1(VALU_DEP_2)
	v_cmp_gt_i32_e32 vcc_lo, 32, v23
	v_min_i32_e32 v27, 31, v23
	v_lshrrev_b32_e32 v16, 24, v16
	v_dual_cndmask_b32 v26, 3, v26 :: v_dual_lshlrev_b32 v27, 2, v27
	s_delay_alu instid0(VALU_DEP_2) | instskip(NEXT) | instid1(VALU_DEP_2)
	v_and_b32_e32 v16, 0x80, v16
	v_or_b32_e32 v23, v23, v26
	s_delay_alu instid0(VALU_DEP_1) | instskip(SKIP_1) | instid1(VALU_DEP_1)
	v_cmp_ne_u32_e32 vcc_lo, 0, v23
	v_and_b32_e32 v36, 3, v26
	v_or3_b32 v16, v27, v16, v36
	s_delay_alu instid0(VALU_DEP_1)
	v_cndmask_b32_e32 v167, 0, v16, vcc_lo
.LBB6_11561:                            ;   in Loop: Header=BB6_11312 Depth=3
	s_or_b32 exec_lo, exec_lo, s30
.LBB6_11562:                            ;   in Loop: Header=BB6_11312 Depth=3
	s_delay_alu instid0(SALU_CYCLE_1)
	s_or_b32 exec_lo, exec_lo, s17
	flat_load_u8 v16, v[8:9] offset:640 slc dlc
	s_mov_b32 s13, 0
	s_mov_b32 s30, exec_lo
                                        ; implicit-def: $sgpr17
	s_waitcnt vmcnt(0) lgkmcnt(0)
	v_cmpx_lt_i16_e32 0x7f, v16
	s_xor_b32 s30, exec_lo, s30
	s_cbranch_execnz .LBB6_12299
; %bb.11563:                            ;   in Loop: Header=BB6_11312 Depth=3
	s_or_saveexec_b32 s30, s30
	v_mov_b32_e32 v23, s17
	s_xor_b32 exec_lo, exec_lo, s30
	s_cbranch_execnz .LBB6_12302
.LBB6_11564:                            ;   in Loop: Header=BB6_11312 Depth=3
	s_or_b32 exec_lo, exec_lo, s30
	s_and_saveexec_b32 s17, s13
	s_cbranch_execz .LBB6_11566
.LBB6_11565:                            ;   in Loop: Header=BB6_11312 Depth=3
	v_and_b32_e32 v23, 0xffff, v16
	v_lshlrev_b32_e32 v16, 24, v16
	s_delay_alu instid0(VALU_DEP_2) | instskip(NEXT) | instid1(VALU_DEP_2)
	v_and_b32_e32 v26, 3, v23
	v_and_b32_e32 v16, 0x80000000, v16
	s_delay_alu instid0(VALU_DEP_2) | instskip(NEXT) | instid1(VALU_DEP_1)
	v_clz_i32_u32_e32 v27, v26
	v_min_u32_e32 v27, 32, v27
	s_delay_alu instid0(VALU_DEP_1) | instskip(SKIP_1) | instid1(VALU_DEP_2)
	v_subrev_nc_u32_e32 v36, 29, v27
	v_sub_nc_u32_e32 v27, 30, v27
	v_lshlrev_b32_e32 v36, v36, v23
	v_bfe_u32 v23, v23, 2, 5
	s_delay_alu instid0(VALU_DEP_1) | instskip(NEXT) | instid1(VALU_DEP_3)
	v_cmp_eq_u32_e32 vcc_lo, 0, v23
	v_dual_cndmask_b32 v23, v23, v27 :: v_dual_and_b32 v36, 3, v36
	s_delay_alu instid0(VALU_DEP_1) | instskip(NEXT) | instid1(VALU_DEP_2)
	v_cndmask_b32_e32 v26, v26, v36, vcc_lo
	v_lshl_add_u32 v23, v23, 23, 0x37800000
	s_delay_alu instid0(VALU_DEP_2) | instskip(NEXT) | instid1(VALU_DEP_1)
	v_lshlrev_b32_e32 v26, 21, v26
	v_or3_b32 v23, v16, v23, v26
.LBB6_11566:                            ;   in Loop: Header=BB6_11312 Depth=3
	s_or_b32 exec_lo, exec_lo, s17
	s_delay_alu instid0(VALU_DEP_1) | instskip(SKIP_2) | instid1(VALU_DEP_2)
	v_mul_f32_e32 v16, v17, v23
	v_mov_b32_e32 v166, 0x80
	s_mov_b32 s17, exec_lo
	v_and_b32_e32 v23, 0x7f800000, v16
	s_delay_alu instid0(VALU_DEP_1)
	v_cmpx_ne_u32_e32 0x7f800000, v23
	s_cbranch_execz .LBB6_11574
; %bb.11567:                            ;   in Loop: Header=BB6_11312 Depth=3
	v_mov_b32_e32 v166, 0
	s_mov_b32 s30, exec_lo
	v_cmpx_ne_u32_e32 0, v16
	s_cbranch_execz .LBB6_11573
; %bb.11568:                            ;   in Loop: Header=BB6_11312 Depth=3
	v_bfe_u32 v23, v16, 23, 8
	s_delay_alu instid0(VALU_DEP_1) | instskip(SKIP_1) | instid1(VALU_DEP_2)
	v_sub_nc_u32_e32 v27, 0x70, v23
	v_cmp_gt_u32_e32 vcc_lo, 0x71, v23
	v_dual_cndmask_b32 v27, 0, v27 :: v_dual_and_b32 v26, 0x7fffff, v16
	s_delay_alu instid0(VALU_DEP_1) | instskip(SKIP_2) | instid1(VALU_DEP_4)
	v_or_b32_e32 v36, 0x800000, v26
	v_cmp_eq_u32_e32 vcc_lo, 0, v23
	v_add_nc_u32_e32 v23, 0xffffff91, v23
	v_cndmask_b32_e64 v27, v27, 0x6f, vcc_lo
	s_delay_alu instid0(VALU_DEP_4) | instskip(NEXT) | instid1(VALU_DEP_3)
	v_cndmask_b32_e32 v26, v36, v26, vcc_lo
	v_cndmask_b32_e64 v23, v23, 0xffffff92, vcc_lo
	s_delay_alu instid0(VALU_DEP_3) | instskip(NEXT) | instid1(VALU_DEP_3)
	v_lshl_add_u32 v36, 0x200000, v27, -1
	v_lshrrev_b32_e32 v37, v27, v26
	v_lshlrev_b32_e64 v39, v27, 0x100000
	s_delay_alu instid0(VALU_DEP_4) | instskip(NEXT) | instid1(VALU_DEP_4)
	v_add_nc_u32_e32 v27, v27, v23
	v_and_b32_e32 v26, v36, v26
	s_delay_alu instid0(VALU_DEP_4) | instskip(NEXT) | instid1(VALU_DEP_2)
	v_bfe_u32 v38, v37, 21, 1
	v_cmp_eq_u32_e64 s13, v26, v39
	s_delay_alu instid0(VALU_DEP_2) | instskip(NEXT) | instid1(VALU_DEP_1)
	v_add_nc_u32_e32 v36, -1, v38
	v_cndmask_b32_e64 v26, 0, v36, s13
	v_lshrrev_b32_e32 v36, 23, v37
	s_mov_b32 s13, exec_lo
	s_delay_alu instid0(VALU_DEP_2) | instskip(NEXT) | instid1(VALU_DEP_2)
	v_add_nc_u32_e32 v26, v26, v37
	v_xor_b32_e32 v36, 1, v36
	s_delay_alu instid0(VALU_DEP_2) | instskip(NEXT) | instid1(VALU_DEP_1)
	v_and_b32_e32 v23, 0x1fffff, v26
	v_add_nc_u32_e32 v26, v23, v37
                                        ; implicit-def: $vgpr23
	s_delay_alu instid0(VALU_DEP_3)
	v_cmpx_ne_u32_e64 v27, v36
	s_xor_b32 s13, exec_lo, s13
; %bb.11569:                            ;   in Loop: Header=BB6_11312 Depth=3
	s_delay_alu instid0(VALU_DEP_2) | instskip(SKIP_2) | instid1(VALU_DEP_2)
	v_cmp_lt_u32_e32 vcc_lo, 0xffffff, v26
	v_sub_nc_u32_e32 v23, v27, v36
	v_cndmask_b32_e64 v27, 0, 1, vcc_lo
	v_add_co_ci_u32_e32 v23, vcc_lo, 0, v23, vcc_lo
	s_delay_alu instid0(VALU_DEP_2)
	v_lshrrev_b32_e32 v26, v27, v26
; %bb.11570:                            ;   in Loop: Header=BB6_11312 Depth=3
	s_and_not1_saveexec_b32 s13, s13
; %bb.11571:                            ;   in Loop: Header=BB6_11312 Depth=3
	s_delay_alu instid0(VALU_DEP_1)
	v_bfe_u32 v23, v26, 23, 1
; %bb.11572:                            ;   in Loop: Header=BB6_11312 Depth=3
	s_or_b32 exec_lo, exec_lo, s13
	v_lshrrev_b32_e32 v26, 21, v26
	s_delay_alu instid0(VALU_DEP_2) | instskip(SKIP_2) | instid1(VALU_DEP_4)
	v_cmp_gt_i32_e32 vcc_lo, 32, v23
	v_lshrrev_b32_e32 v16, 24, v16
	v_min_i32_e32 v27, 31, v23
	v_cndmask_b32_e32 v26, 3, v26, vcc_lo
	s_delay_alu instid0(VALU_DEP_3) | instskip(NEXT) | instid1(VALU_DEP_3)
	v_and_b32_e32 v16, 0x80, v16
	v_lshlrev_b32_e32 v27, 2, v27
	s_delay_alu instid0(VALU_DEP_3) | instskip(SKIP_1) | instid1(VALU_DEP_2)
	v_and_b32_e32 v36, 3, v26
	v_or_b32_e32 v23, v23, v26
	v_or3_b32 v16, v27, v16, v36
	s_delay_alu instid0(VALU_DEP_2) | instskip(NEXT) | instid1(VALU_DEP_2)
	v_cmp_ne_u32_e32 vcc_lo, 0, v23
	v_cndmask_b32_e32 v166, 0, v16, vcc_lo
.LBB6_11573:                            ;   in Loop: Header=BB6_11312 Depth=3
	s_or_b32 exec_lo, exec_lo, s30
.LBB6_11574:                            ;   in Loop: Header=BB6_11312 Depth=3
	s_delay_alu instid0(SALU_CYCLE_1)
	s_or_b32 exec_lo, exec_lo, s17
	flat_load_u8 v16, v[8:9] offset:672 slc dlc
	s_mov_b32 s13, 0
	s_mov_b32 s30, exec_lo
                                        ; implicit-def: $sgpr17
	s_waitcnt vmcnt(0) lgkmcnt(0)
	v_cmpx_lt_i16_e32 0x7f, v16
	s_xor_b32 s30, exec_lo, s30
	s_cbranch_execnz .LBB6_12303
; %bb.11575:                            ;   in Loop: Header=BB6_11312 Depth=3
	s_or_saveexec_b32 s30, s30
	v_mov_b32_e32 v23, s17
	s_xor_b32 exec_lo, exec_lo, s30
	s_cbranch_execnz .LBB6_12306
.LBB6_11576:                            ;   in Loop: Header=BB6_11312 Depth=3
	s_or_b32 exec_lo, exec_lo, s30
	s_and_saveexec_b32 s17, s13
	s_cbranch_execz .LBB6_11578
.LBB6_11577:                            ;   in Loop: Header=BB6_11312 Depth=3
	v_and_b32_e32 v23, 0xffff, v16
	v_lshlrev_b32_e32 v16, 24, v16
	s_delay_alu instid0(VALU_DEP_2) | instskip(NEXT) | instid1(VALU_DEP_2)
	v_and_b32_e32 v26, 3, v23
	v_and_b32_e32 v16, 0x80000000, v16
	s_delay_alu instid0(VALU_DEP_2) | instskip(NEXT) | instid1(VALU_DEP_1)
	v_clz_i32_u32_e32 v27, v26
	v_min_u32_e32 v27, 32, v27
	s_delay_alu instid0(VALU_DEP_1) | instskip(SKIP_1) | instid1(VALU_DEP_2)
	v_subrev_nc_u32_e32 v36, 29, v27
	v_sub_nc_u32_e32 v27, 30, v27
	v_lshlrev_b32_e32 v36, v36, v23
	v_bfe_u32 v23, v23, 2, 5
	s_delay_alu instid0(VALU_DEP_1) | instskip(NEXT) | instid1(VALU_DEP_3)
	v_cmp_eq_u32_e32 vcc_lo, 0, v23
	v_dual_cndmask_b32 v23, v23, v27 :: v_dual_and_b32 v36, 3, v36
	s_delay_alu instid0(VALU_DEP_1) | instskip(NEXT) | instid1(VALU_DEP_2)
	v_cndmask_b32_e32 v26, v26, v36, vcc_lo
	v_lshl_add_u32 v23, v23, 23, 0x37800000
	s_delay_alu instid0(VALU_DEP_2) | instskip(NEXT) | instid1(VALU_DEP_1)
	v_lshlrev_b32_e32 v26, 21, v26
	v_or3_b32 v23, v16, v23, v26
.LBB6_11578:                            ;   in Loop: Header=BB6_11312 Depth=3
	s_or_b32 exec_lo, exec_lo, s17
	s_delay_alu instid0(VALU_DEP_1) | instskip(SKIP_2) | instid1(VALU_DEP_2)
	v_mul_f32_e32 v16, v17, v23
	v_mov_b32_e32 v164, 0x80
	s_mov_b32 s17, exec_lo
	v_and_b32_e32 v23, 0x7f800000, v16
	s_delay_alu instid0(VALU_DEP_1)
	v_cmpx_ne_u32_e32 0x7f800000, v23
	s_cbranch_execz .LBB6_11586
; %bb.11579:                            ;   in Loop: Header=BB6_11312 Depth=3
	v_mov_b32_e32 v164, 0
	s_mov_b32 s30, exec_lo
	v_cmpx_ne_u32_e32 0, v16
	s_cbranch_execz .LBB6_11585
; %bb.11580:                            ;   in Loop: Header=BB6_11312 Depth=3
	v_bfe_u32 v23, v16, 23, 8
	s_delay_alu instid0(VALU_DEP_1) | instskip(SKIP_1) | instid1(VALU_DEP_2)
	v_sub_nc_u32_e32 v27, 0x70, v23
	v_cmp_gt_u32_e32 vcc_lo, 0x71, v23
	v_dual_cndmask_b32 v27, 0, v27 :: v_dual_and_b32 v26, 0x7fffff, v16
	s_delay_alu instid0(VALU_DEP_1) | instskip(SKIP_2) | instid1(VALU_DEP_4)
	v_or_b32_e32 v36, 0x800000, v26
	v_cmp_eq_u32_e32 vcc_lo, 0, v23
	v_add_nc_u32_e32 v23, 0xffffff91, v23
	v_cndmask_b32_e64 v27, v27, 0x6f, vcc_lo
	s_delay_alu instid0(VALU_DEP_4) | instskip(NEXT) | instid1(VALU_DEP_3)
	v_cndmask_b32_e32 v26, v36, v26, vcc_lo
	v_cndmask_b32_e64 v23, v23, 0xffffff92, vcc_lo
	s_delay_alu instid0(VALU_DEP_3) | instskip(NEXT) | instid1(VALU_DEP_3)
	v_lshl_add_u32 v36, 0x200000, v27, -1
	v_lshrrev_b32_e32 v37, v27, v26
	v_lshlrev_b32_e64 v39, v27, 0x100000
	s_delay_alu instid0(VALU_DEP_4) | instskip(NEXT) | instid1(VALU_DEP_4)
	v_add_nc_u32_e32 v27, v27, v23
	v_and_b32_e32 v26, v36, v26
	s_delay_alu instid0(VALU_DEP_4) | instskip(NEXT) | instid1(VALU_DEP_2)
	v_bfe_u32 v38, v37, 21, 1
	v_cmp_eq_u32_e64 s13, v26, v39
	s_delay_alu instid0(VALU_DEP_2) | instskip(NEXT) | instid1(VALU_DEP_1)
	v_add_nc_u32_e32 v36, -1, v38
	v_cndmask_b32_e64 v26, 0, v36, s13
	v_lshrrev_b32_e32 v36, 23, v37
	s_mov_b32 s13, exec_lo
	s_delay_alu instid0(VALU_DEP_2) | instskip(NEXT) | instid1(VALU_DEP_2)
	v_add_nc_u32_e32 v26, v26, v37
	v_xor_b32_e32 v36, 1, v36
	s_delay_alu instid0(VALU_DEP_2) | instskip(NEXT) | instid1(VALU_DEP_1)
	v_and_b32_e32 v23, 0x1fffff, v26
	v_add_nc_u32_e32 v26, v23, v37
                                        ; implicit-def: $vgpr23
	s_delay_alu instid0(VALU_DEP_3)
	v_cmpx_ne_u32_e64 v27, v36
	s_xor_b32 s13, exec_lo, s13
; %bb.11581:                            ;   in Loop: Header=BB6_11312 Depth=3
	s_delay_alu instid0(VALU_DEP_2) | instskip(SKIP_2) | instid1(VALU_DEP_2)
	v_cmp_lt_u32_e32 vcc_lo, 0xffffff, v26
	v_sub_nc_u32_e32 v23, v27, v36
	v_cndmask_b32_e64 v27, 0, 1, vcc_lo
	v_add_co_ci_u32_e32 v23, vcc_lo, 0, v23, vcc_lo
	s_delay_alu instid0(VALU_DEP_2)
	v_lshrrev_b32_e32 v26, v27, v26
; %bb.11582:                            ;   in Loop: Header=BB6_11312 Depth=3
	s_and_not1_saveexec_b32 s13, s13
; %bb.11583:                            ;   in Loop: Header=BB6_11312 Depth=3
	s_delay_alu instid0(VALU_DEP_1)
	v_bfe_u32 v23, v26, 23, 1
; %bb.11584:                            ;   in Loop: Header=BB6_11312 Depth=3
	s_or_b32 exec_lo, exec_lo, s13
	v_lshrrev_b32_e32 v26, 21, v26
	s_delay_alu instid0(VALU_DEP_2) | instskip(SKIP_2) | instid1(VALU_DEP_4)
	v_cmp_gt_i32_e32 vcc_lo, 32, v23
	v_lshrrev_b32_e32 v16, 24, v16
	v_min_i32_e32 v27, 31, v23
	v_cndmask_b32_e32 v26, 3, v26, vcc_lo
	s_delay_alu instid0(VALU_DEP_3) | instskip(NEXT) | instid1(VALU_DEP_3)
	v_and_b32_e32 v16, 0x80, v16
	v_lshlrev_b32_e32 v27, 2, v27
	s_delay_alu instid0(VALU_DEP_3) | instskip(SKIP_1) | instid1(VALU_DEP_2)
	v_and_b32_e32 v36, 3, v26
	v_or_b32_e32 v23, v23, v26
	v_or3_b32 v16, v27, v16, v36
	s_delay_alu instid0(VALU_DEP_2) | instskip(NEXT) | instid1(VALU_DEP_2)
	v_cmp_ne_u32_e32 vcc_lo, 0, v23
	v_cndmask_b32_e32 v164, 0, v16, vcc_lo
.LBB6_11585:                            ;   in Loop: Header=BB6_11312 Depth=3
	s_or_b32 exec_lo, exec_lo, s30
.LBB6_11586:                            ;   in Loop: Header=BB6_11312 Depth=3
	s_delay_alu instid0(SALU_CYCLE_1)
	s_or_b32 exec_lo, exec_lo, s17
	flat_load_u8 v16, v[8:9] offset:704 slc dlc
	s_mov_b32 s13, 0
	s_mov_b32 s30, exec_lo
                                        ; implicit-def: $sgpr17
	s_waitcnt vmcnt(0) lgkmcnt(0)
	v_cmpx_lt_i16_e32 0x7f, v16
	s_xor_b32 s30, exec_lo, s30
	s_cbranch_execnz .LBB6_12307
; %bb.11587:                            ;   in Loop: Header=BB6_11312 Depth=3
	s_or_saveexec_b32 s30, s30
	v_mov_b32_e32 v23, s17
	s_xor_b32 exec_lo, exec_lo, s30
	s_cbranch_execnz .LBB6_12310
.LBB6_11588:                            ;   in Loop: Header=BB6_11312 Depth=3
	s_or_b32 exec_lo, exec_lo, s30
	s_and_saveexec_b32 s17, s13
	s_cbranch_execz .LBB6_11590
.LBB6_11589:                            ;   in Loop: Header=BB6_11312 Depth=3
	v_and_b32_e32 v23, 0xffff, v16
	v_lshlrev_b32_e32 v16, 24, v16
	s_delay_alu instid0(VALU_DEP_2) | instskip(NEXT) | instid1(VALU_DEP_2)
	v_and_b32_e32 v26, 3, v23
	v_and_b32_e32 v16, 0x80000000, v16
	s_delay_alu instid0(VALU_DEP_2) | instskip(NEXT) | instid1(VALU_DEP_1)
	v_clz_i32_u32_e32 v27, v26
	v_min_u32_e32 v27, 32, v27
	s_delay_alu instid0(VALU_DEP_1) | instskip(SKIP_1) | instid1(VALU_DEP_2)
	v_subrev_nc_u32_e32 v36, 29, v27
	v_sub_nc_u32_e32 v27, 30, v27
	v_lshlrev_b32_e32 v36, v36, v23
	v_bfe_u32 v23, v23, 2, 5
	s_delay_alu instid0(VALU_DEP_1) | instskip(NEXT) | instid1(VALU_DEP_3)
	v_cmp_eq_u32_e32 vcc_lo, 0, v23
	v_dual_cndmask_b32 v23, v23, v27 :: v_dual_and_b32 v36, 3, v36
	s_delay_alu instid0(VALU_DEP_1) | instskip(NEXT) | instid1(VALU_DEP_2)
	v_cndmask_b32_e32 v26, v26, v36, vcc_lo
	v_lshl_add_u32 v23, v23, 23, 0x37800000
	s_delay_alu instid0(VALU_DEP_2) | instskip(NEXT) | instid1(VALU_DEP_1)
	v_lshlrev_b32_e32 v26, 21, v26
	v_or3_b32 v23, v16, v23, v26
.LBB6_11590:                            ;   in Loop: Header=BB6_11312 Depth=3
	s_or_b32 exec_lo, exec_lo, s17
	s_delay_alu instid0(VALU_DEP_1) | instskip(SKIP_1) | instid1(VALU_DEP_1)
	v_dual_mul_f32 v16, v17, v23 :: v_dual_mov_b32 v163, 0x80
	s_mov_b32 s17, exec_lo
	v_and_b32_e32 v23, 0x7f800000, v16
	s_delay_alu instid0(VALU_DEP_1)
	v_cmpx_ne_u32_e32 0x7f800000, v23
	s_cbranch_execz .LBB6_11598
; %bb.11591:                            ;   in Loop: Header=BB6_11312 Depth=3
	v_mov_b32_e32 v163, 0
	s_mov_b32 s30, exec_lo
	v_cmpx_ne_u32_e32 0, v16
	s_cbranch_execz .LBB6_11597
; %bb.11592:                            ;   in Loop: Header=BB6_11312 Depth=3
	v_bfe_u32 v23, v16, 23, 8
	s_delay_alu instid0(VALU_DEP_1) | instskip(SKIP_1) | instid1(VALU_DEP_2)
	v_sub_nc_u32_e32 v27, 0x70, v23
	v_cmp_gt_u32_e32 vcc_lo, 0x71, v23
	v_dual_cndmask_b32 v27, 0, v27 :: v_dual_and_b32 v26, 0x7fffff, v16
	s_delay_alu instid0(VALU_DEP_1) | instskip(SKIP_2) | instid1(VALU_DEP_4)
	v_or_b32_e32 v36, 0x800000, v26
	v_cmp_eq_u32_e32 vcc_lo, 0, v23
	v_add_nc_u32_e32 v23, 0xffffff91, v23
	v_cndmask_b32_e64 v27, v27, 0x6f, vcc_lo
	s_delay_alu instid0(VALU_DEP_4) | instskip(NEXT) | instid1(VALU_DEP_3)
	v_cndmask_b32_e32 v26, v36, v26, vcc_lo
	v_cndmask_b32_e64 v23, v23, 0xffffff92, vcc_lo
	s_delay_alu instid0(VALU_DEP_3) | instskip(NEXT) | instid1(VALU_DEP_3)
	v_lshl_add_u32 v36, 0x200000, v27, -1
	v_lshrrev_b32_e32 v37, v27, v26
	v_lshlrev_b32_e64 v39, v27, 0x100000
	s_delay_alu instid0(VALU_DEP_4) | instskip(NEXT) | instid1(VALU_DEP_4)
	v_add_nc_u32_e32 v27, v27, v23
	v_and_b32_e32 v26, v36, v26
	s_delay_alu instid0(VALU_DEP_4) | instskip(NEXT) | instid1(VALU_DEP_2)
	v_bfe_u32 v38, v37, 21, 1
	v_cmp_eq_u32_e64 s13, v26, v39
	s_delay_alu instid0(VALU_DEP_2) | instskip(NEXT) | instid1(VALU_DEP_1)
	v_add_nc_u32_e32 v36, -1, v38
	v_cndmask_b32_e64 v26, 0, v36, s13
	v_lshrrev_b32_e32 v36, 23, v37
	s_mov_b32 s13, exec_lo
	s_delay_alu instid0(VALU_DEP_2) | instskip(NEXT) | instid1(VALU_DEP_2)
	v_add_nc_u32_e32 v26, v26, v37
	v_xor_b32_e32 v36, 1, v36
	s_delay_alu instid0(VALU_DEP_2) | instskip(NEXT) | instid1(VALU_DEP_1)
	v_and_b32_e32 v23, 0x1fffff, v26
	v_add_nc_u32_e32 v26, v23, v37
                                        ; implicit-def: $vgpr23
	s_delay_alu instid0(VALU_DEP_3)
	v_cmpx_ne_u32_e64 v27, v36
	s_xor_b32 s13, exec_lo, s13
; %bb.11593:                            ;   in Loop: Header=BB6_11312 Depth=3
	s_delay_alu instid0(VALU_DEP_2) | instskip(SKIP_2) | instid1(VALU_DEP_2)
	v_cmp_lt_u32_e32 vcc_lo, 0xffffff, v26
	v_sub_nc_u32_e32 v23, v27, v36
	v_cndmask_b32_e64 v27, 0, 1, vcc_lo
	v_add_co_ci_u32_e32 v23, vcc_lo, 0, v23, vcc_lo
	s_delay_alu instid0(VALU_DEP_2)
	v_lshrrev_b32_e32 v26, v27, v26
; %bb.11594:                            ;   in Loop: Header=BB6_11312 Depth=3
	s_and_not1_saveexec_b32 s13, s13
; %bb.11595:                            ;   in Loop: Header=BB6_11312 Depth=3
	s_delay_alu instid0(VALU_DEP_1)
	v_bfe_u32 v23, v26, 23, 1
; %bb.11596:                            ;   in Loop: Header=BB6_11312 Depth=3
	s_or_b32 exec_lo, exec_lo, s13
	v_lshrrev_b32_e32 v26, 21, v26
	s_delay_alu instid0(VALU_DEP_2) | instskip(SKIP_2) | instid1(VALU_DEP_2)
	v_cmp_gt_i32_e32 vcc_lo, 32, v23
	v_min_i32_e32 v27, 31, v23
	v_lshrrev_b32_e32 v16, 24, v16
	v_dual_cndmask_b32 v26, 3, v26 :: v_dual_lshlrev_b32 v27, 2, v27
	s_delay_alu instid0(VALU_DEP_2) | instskip(NEXT) | instid1(VALU_DEP_2)
	v_and_b32_e32 v16, 0x80, v16
	v_or_b32_e32 v23, v23, v26
	s_delay_alu instid0(VALU_DEP_1) | instskip(SKIP_1) | instid1(VALU_DEP_1)
	v_cmp_ne_u32_e32 vcc_lo, 0, v23
	v_and_b32_e32 v36, 3, v26
	v_or3_b32 v16, v27, v16, v36
	s_delay_alu instid0(VALU_DEP_1)
	v_cndmask_b32_e32 v163, 0, v16, vcc_lo
.LBB6_11597:                            ;   in Loop: Header=BB6_11312 Depth=3
	s_or_b32 exec_lo, exec_lo, s30
.LBB6_11598:                            ;   in Loop: Header=BB6_11312 Depth=3
	s_delay_alu instid0(SALU_CYCLE_1)
	s_or_b32 exec_lo, exec_lo, s17
	flat_load_u8 v16, v[8:9] offset:736 slc dlc
	s_mov_b32 s13, 0
	s_mov_b32 s30, exec_lo
                                        ; implicit-def: $sgpr17
	s_waitcnt vmcnt(0) lgkmcnt(0)
	v_cmpx_lt_i16_e32 0x7f, v16
	s_xor_b32 s30, exec_lo, s30
	s_cbranch_execnz .LBB6_12311
; %bb.11599:                            ;   in Loop: Header=BB6_11312 Depth=3
	s_or_saveexec_b32 s30, s30
	v_mov_b32_e32 v23, s17
	s_xor_b32 exec_lo, exec_lo, s30
	s_cbranch_execnz .LBB6_12314
.LBB6_11600:                            ;   in Loop: Header=BB6_11312 Depth=3
	s_or_b32 exec_lo, exec_lo, s30
	s_and_saveexec_b32 s17, s13
	s_cbranch_execz .LBB6_11602
.LBB6_11601:                            ;   in Loop: Header=BB6_11312 Depth=3
	v_and_b32_e32 v23, 0xffff, v16
	v_lshlrev_b32_e32 v16, 24, v16
	s_delay_alu instid0(VALU_DEP_2) | instskip(NEXT) | instid1(VALU_DEP_2)
	v_and_b32_e32 v26, 3, v23
	v_and_b32_e32 v16, 0x80000000, v16
	s_delay_alu instid0(VALU_DEP_2) | instskip(NEXT) | instid1(VALU_DEP_1)
	v_clz_i32_u32_e32 v27, v26
	v_min_u32_e32 v27, 32, v27
	s_delay_alu instid0(VALU_DEP_1) | instskip(SKIP_1) | instid1(VALU_DEP_2)
	v_subrev_nc_u32_e32 v36, 29, v27
	v_sub_nc_u32_e32 v27, 30, v27
	v_lshlrev_b32_e32 v36, v36, v23
	v_bfe_u32 v23, v23, 2, 5
	s_delay_alu instid0(VALU_DEP_1) | instskip(NEXT) | instid1(VALU_DEP_3)
	v_cmp_eq_u32_e32 vcc_lo, 0, v23
	v_dual_cndmask_b32 v23, v23, v27 :: v_dual_and_b32 v36, 3, v36
	s_delay_alu instid0(VALU_DEP_1) | instskip(NEXT) | instid1(VALU_DEP_2)
	v_cndmask_b32_e32 v26, v26, v36, vcc_lo
	v_lshl_add_u32 v23, v23, 23, 0x37800000
	s_delay_alu instid0(VALU_DEP_2) | instskip(NEXT) | instid1(VALU_DEP_1)
	v_lshlrev_b32_e32 v26, 21, v26
	v_or3_b32 v23, v16, v23, v26
.LBB6_11602:                            ;   in Loop: Header=BB6_11312 Depth=3
	s_or_b32 exec_lo, exec_lo, s17
	s_delay_alu instid0(VALU_DEP_1) | instskip(SKIP_1) | instid1(VALU_DEP_1)
	v_dual_mul_f32 v16, v17, v23 :: v_dual_mov_b32 v161, 0x80
	s_mov_b32 s17, exec_lo
	v_and_b32_e32 v23, 0x7f800000, v16
	s_delay_alu instid0(VALU_DEP_1)
	v_cmpx_ne_u32_e32 0x7f800000, v23
	s_cbranch_execz .LBB6_11610
; %bb.11603:                            ;   in Loop: Header=BB6_11312 Depth=3
	v_mov_b32_e32 v161, 0
	s_mov_b32 s30, exec_lo
	v_cmpx_ne_u32_e32 0, v16
	s_cbranch_execz .LBB6_11609
; %bb.11604:                            ;   in Loop: Header=BB6_11312 Depth=3
	v_bfe_u32 v23, v16, 23, 8
	s_delay_alu instid0(VALU_DEP_1) | instskip(SKIP_1) | instid1(VALU_DEP_2)
	v_sub_nc_u32_e32 v27, 0x70, v23
	v_cmp_gt_u32_e32 vcc_lo, 0x71, v23
	v_dual_cndmask_b32 v27, 0, v27 :: v_dual_and_b32 v26, 0x7fffff, v16
	s_delay_alu instid0(VALU_DEP_1) | instskip(SKIP_2) | instid1(VALU_DEP_4)
	v_or_b32_e32 v36, 0x800000, v26
	v_cmp_eq_u32_e32 vcc_lo, 0, v23
	v_add_nc_u32_e32 v23, 0xffffff91, v23
	v_cndmask_b32_e64 v27, v27, 0x6f, vcc_lo
	s_delay_alu instid0(VALU_DEP_4) | instskip(NEXT) | instid1(VALU_DEP_3)
	v_cndmask_b32_e32 v26, v36, v26, vcc_lo
	v_cndmask_b32_e64 v23, v23, 0xffffff92, vcc_lo
	s_delay_alu instid0(VALU_DEP_3) | instskip(NEXT) | instid1(VALU_DEP_3)
	v_lshl_add_u32 v36, 0x200000, v27, -1
	v_lshrrev_b32_e32 v37, v27, v26
	v_lshlrev_b32_e64 v39, v27, 0x100000
	s_delay_alu instid0(VALU_DEP_4) | instskip(NEXT) | instid1(VALU_DEP_4)
	v_add_nc_u32_e32 v27, v27, v23
	v_and_b32_e32 v26, v36, v26
	s_delay_alu instid0(VALU_DEP_4) | instskip(NEXT) | instid1(VALU_DEP_2)
	v_bfe_u32 v38, v37, 21, 1
	v_cmp_eq_u32_e64 s13, v26, v39
	s_delay_alu instid0(VALU_DEP_2) | instskip(NEXT) | instid1(VALU_DEP_1)
	v_add_nc_u32_e32 v36, -1, v38
	v_cndmask_b32_e64 v26, 0, v36, s13
	v_lshrrev_b32_e32 v36, 23, v37
	s_mov_b32 s13, exec_lo
	s_delay_alu instid0(VALU_DEP_2) | instskip(NEXT) | instid1(VALU_DEP_2)
	v_add_nc_u32_e32 v26, v26, v37
	v_xor_b32_e32 v36, 1, v36
	s_delay_alu instid0(VALU_DEP_2) | instskip(NEXT) | instid1(VALU_DEP_1)
	v_and_b32_e32 v23, 0x1fffff, v26
	v_add_nc_u32_e32 v26, v23, v37
                                        ; implicit-def: $vgpr23
	s_delay_alu instid0(VALU_DEP_3)
	v_cmpx_ne_u32_e64 v27, v36
	s_xor_b32 s13, exec_lo, s13
; %bb.11605:                            ;   in Loop: Header=BB6_11312 Depth=3
	s_delay_alu instid0(VALU_DEP_2) | instskip(SKIP_2) | instid1(VALU_DEP_2)
	v_cmp_lt_u32_e32 vcc_lo, 0xffffff, v26
	v_sub_nc_u32_e32 v23, v27, v36
	v_cndmask_b32_e64 v27, 0, 1, vcc_lo
	v_add_co_ci_u32_e32 v23, vcc_lo, 0, v23, vcc_lo
	s_delay_alu instid0(VALU_DEP_2)
	v_lshrrev_b32_e32 v26, v27, v26
; %bb.11606:                            ;   in Loop: Header=BB6_11312 Depth=3
	s_and_not1_saveexec_b32 s13, s13
; %bb.11607:                            ;   in Loop: Header=BB6_11312 Depth=3
	s_delay_alu instid0(VALU_DEP_1)
	v_bfe_u32 v23, v26, 23, 1
; %bb.11608:                            ;   in Loop: Header=BB6_11312 Depth=3
	s_or_b32 exec_lo, exec_lo, s13
	v_lshrrev_b32_e32 v26, 21, v26
	s_delay_alu instid0(VALU_DEP_2) | instskip(SKIP_2) | instid1(VALU_DEP_2)
	v_cmp_gt_i32_e32 vcc_lo, 32, v23
	v_min_i32_e32 v27, 31, v23
	v_lshrrev_b32_e32 v16, 24, v16
	v_dual_cndmask_b32 v26, 3, v26 :: v_dual_lshlrev_b32 v27, 2, v27
	s_delay_alu instid0(VALU_DEP_2) | instskip(NEXT) | instid1(VALU_DEP_2)
	v_and_b32_e32 v16, 0x80, v16
	v_or_b32_e32 v23, v23, v26
	s_delay_alu instid0(VALU_DEP_1) | instskip(SKIP_1) | instid1(VALU_DEP_1)
	v_cmp_ne_u32_e32 vcc_lo, 0, v23
	v_and_b32_e32 v36, 3, v26
	v_or3_b32 v16, v27, v16, v36
	s_delay_alu instid0(VALU_DEP_1)
	v_cndmask_b32_e32 v161, 0, v16, vcc_lo
.LBB6_11609:                            ;   in Loop: Header=BB6_11312 Depth=3
	s_or_b32 exec_lo, exec_lo, s30
.LBB6_11610:                            ;   in Loop: Header=BB6_11312 Depth=3
	s_delay_alu instid0(SALU_CYCLE_1)
	s_or_b32 exec_lo, exec_lo, s17
	flat_load_u8 v16, v[8:9] offset:768 slc dlc
	s_mov_b32 s13, 0
	s_mov_b32 s30, exec_lo
                                        ; implicit-def: $sgpr17
	s_waitcnt vmcnt(0) lgkmcnt(0)
	v_cmpx_lt_i16_e32 0x7f, v16
	s_xor_b32 s30, exec_lo, s30
	s_cbranch_execnz .LBB6_12315
; %bb.11611:                            ;   in Loop: Header=BB6_11312 Depth=3
	s_or_saveexec_b32 s30, s30
	v_mov_b32_e32 v23, s17
	s_xor_b32 exec_lo, exec_lo, s30
	s_cbranch_execnz .LBB6_12318
.LBB6_11612:                            ;   in Loop: Header=BB6_11312 Depth=3
	s_or_b32 exec_lo, exec_lo, s30
	s_and_saveexec_b32 s17, s13
	s_cbranch_execz .LBB6_11614
.LBB6_11613:                            ;   in Loop: Header=BB6_11312 Depth=3
	v_and_b32_e32 v23, 0xffff, v16
	v_lshlrev_b32_e32 v16, 24, v16
	s_delay_alu instid0(VALU_DEP_2) | instskip(NEXT) | instid1(VALU_DEP_2)
	v_and_b32_e32 v26, 3, v23
	v_and_b32_e32 v16, 0x80000000, v16
	s_delay_alu instid0(VALU_DEP_2) | instskip(NEXT) | instid1(VALU_DEP_1)
	v_clz_i32_u32_e32 v27, v26
	v_min_u32_e32 v27, 32, v27
	s_delay_alu instid0(VALU_DEP_1) | instskip(SKIP_1) | instid1(VALU_DEP_2)
	v_subrev_nc_u32_e32 v36, 29, v27
	v_sub_nc_u32_e32 v27, 30, v27
	v_lshlrev_b32_e32 v36, v36, v23
	v_bfe_u32 v23, v23, 2, 5
	s_delay_alu instid0(VALU_DEP_1) | instskip(NEXT) | instid1(VALU_DEP_3)
	v_cmp_eq_u32_e32 vcc_lo, 0, v23
	v_dual_cndmask_b32 v23, v23, v27 :: v_dual_and_b32 v36, 3, v36
	s_delay_alu instid0(VALU_DEP_1) | instskip(NEXT) | instid1(VALU_DEP_2)
	v_cndmask_b32_e32 v26, v26, v36, vcc_lo
	v_lshl_add_u32 v23, v23, 23, 0x37800000
	s_delay_alu instid0(VALU_DEP_2) | instskip(NEXT) | instid1(VALU_DEP_1)
	v_lshlrev_b32_e32 v26, 21, v26
	v_or3_b32 v23, v16, v23, v26
.LBB6_11614:                            ;   in Loop: Header=BB6_11312 Depth=3
	s_or_b32 exec_lo, exec_lo, s17
	s_delay_alu instid0(VALU_DEP_1) | instskip(SKIP_1) | instid1(VALU_DEP_1)
	v_dual_mul_f32 v16, v17, v23 :: v_dual_mov_b32 v151, 0x80
	s_mov_b32 s17, exec_lo
	v_and_b32_e32 v23, 0x7f800000, v16
	s_delay_alu instid0(VALU_DEP_1)
	v_cmpx_ne_u32_e32 0x7f800000, v23
	s_cbranch_execz .LBB6_11622
; %bb.11615:                            ;   in Loop: Header=BB6_11312 Depth=3
	v_mov_b32_e32 v151, 0
	s_mov_b32 s30, exec_lo
	v_cmpx_ne_u32_e32 0, v16
	s_cbranch_execz .LBB6_11621
; %bb.11616:                            ;   in Loop: Header=BB6_11312 Depth=3
	v_bfe_u32 v23, v16, 23, 8
	s_delay_alu instid0(VALU_DEP_1) | instskip(SKIP_1) | instid1(VALU_DEP_2)
	v_sub_nc_u32_e32 v27, 0x70, v23
	v_cmp_gt_u32_e32 vcc_lo, 0x71, v23
	v_dual_cndmask_b32 v27, 0, v27 :: v_dual_and_b32 v26, 0x7fffff, v16
	s_delay_alu instid0(VALU_DEP_1) | instskip(SKIP_2) | instid1(VALU_DEP_4)
	v_or_b32_e32 v36, 0x800000, v26
	v_cmp_eq_u32_e32 vcc_lo, 0, v23
	v_add_nc_u32_e32 v23, 0xffffff91, v23
	v_cndmask_b32_e64 v27, v27, 0x6f, vcc_lo
	s_delay_alu instid0(VALU_DEP_4) | instskip(NEXT) | instid1(VALU_DEP_3)
	v_cndmask_b32_e32 v26, v36, v26, vcc_lo
	v_cndmask_b32_e64 v23, v23, 0xffffff92, vcc_lo
	s_delay_alu instid0(VALU_DEP_3) | instskip(NEXT) | instid1(VALU_DEP_3)
	v_lshl_add_u32 v36, 0x200000, v27, -1
	v_lshrrev_b32_e32 v37, v27, v26
	v_lshlrev_b32_e64 v39, v27, 0x100000
	s_delay_alu instid0(VALU_DEP_4) | instskip(NEXT) | instid1(VALU_DEP_4)
	v_add_nc_u32_e32 v27, v27, v23
	v_and_b32_e32 v26, v36, v26
	s_delay_alu instid0(VALU_DEP_4) | instskip(NEXT) | instid1(VALU_DEP_2)
	v_bfe_u32 v38, v37, 21, 1
	v_cmp_eq_u32_e64 s13, v26, v39
	s_delay_alu instid0(VALU_DEP_2) | instskip(NEXT) | instid1(VALU_DEP_1)
	v_add_nc_u32_e32 v36, -1, v38
	v_cndmask_b32_e64 v26, 0, v36, s13
	v_lshrrev_b32_e32 v36, 23, v37
	s_mov_b32 s13, exec_lo
	s_delay_alu instid0(VALU_DEP_2) | instskip(NEXT) | instid1(VALU_DEP_2)
	v_add_nc_u32_e32 v26, v26, v37
	v_xor_b32_e32 v36, 1, v36
	s_delay_alu instid0(VALU_DEP_2) | instskip(NEXT) | instid1(VALU_DEP_1)
	v_and_b32_e32 v23, 0x1fffff, v26
	v_add_nc_u32_e32 v26, v23, v37
                                        ; implicit-def: $vgpr23
	s_delay_alu instid0(VALU_DEP_3)
	v_cmpx_ne_u32_e64 v27, v36
	s_xor_b32 s13, exec_lo, s13
; %bb.11617:                            ;   in Loop: Header=BB6_11312 Depth=3
	s_delay_alu instid0(VALU_DEP_2) | instskip(SKIP_2) | instid1(VALU_DEP_2)
	v_cmp_lt_u32_e32 vcc_lo, 0xffffff, v26
	v_sub_nc_u32_e32 v23, v27, v36
	v_cndmask_b32_e64 v27, 0, 1, vcc_lo
	v_add_co_ci_u32_e32 v23, vcc_lo, 0, v23, vcc_lo
	s_delay_alu instid0(VALU_DEP_2)
	v_lshrrev_b32_e32 v26, v27, v26
; %bb.11618:                            ;   in Loop: Header=BB6_11312 Depth=3
	s_and_not1_saveexec_b32 s13, s13
; %bb.11619:                            ;   in Loop: Header=BB6_11312 Depth=3
	s_delay_alu instid0(VALU_DEP_1)
	v_bfe_u32 v23, v26, 23, 1
; %bb.11620:                            ;   in Loop: Header=BB6_11312 Depth=3
	s_or_b32 exec_lo, exec_lo, s13
	v_lshrrev_b32_e32 v26, 21, v26
	s_delay_alu instid0(VALU_DEP_2) | instskip(SKIP_2) | instid1(VALU_DEP_2)
	v_cmp_gt_i32_e32 vcc_lo, 32, v23
	v_min_i32_e32 v27, 31, v23
	v_lshrrev_b32_e32 v16, 24, v16
	v_dual_cndmask_b32 v26, 3, v26 :: v_dual_lshlrev_b32 v27, 2, v27
	s_delay_alu instid0(VALU_DEP_2) | instskip(NEXT) | instid1(VALU_DEP_2)
	v_and_b32_e32 v16, 0x80, v16
	v_or_b32_e32 v23, v23, v26
	s_delay_alu instid0(VALU_DEP_1) | instskip(SKIP_1) | instid1(VALU_DEP_1)
	v_cmp_ne_u32_e32 vcc_lo, 0, v23
	v_and_b32_e32 v36, 3, v26
	v_or3_b32 v16, v27, v16, v36
	s_delay_alu instid0(VALU_DEP_1)
	v_cndmask_b32_e32 v151, 0, v16, vcc_lo
.LBB6_11621:                            ;   in Loop: Header=BB6_11312 Depth=3
	s_or_b32 exec_lo, exec_lo, s30
.LBB6_11622:                            ;   in Loop: Header=BB6_11312 Depth=3
	s_delay_alu instid0(SALU_CYCLE_1)
	s_or_b32 exec_lo, exec_lo, s17
	flat_load_u8 v16, v[8:9] offset:800 slc dlc
	s_mov_b32 s13, 0
	s_mov_b32 s30, exec_lo
                                        ; implicit-def: $sgpr17
	s_waitcnt vmcnt(0) lgkmcnt(0)
	v_cmpx_lt_i16_e32 0x7f, v16
	s_xor_b32 s30, exec_lo, s30
	s_cbranch_execnz .LBB6_12319
; %bb.11623:                            ;   in Loop: Header=BB6_11312 Depth=3
	s_or_saveexec_b32 s30, s30
	v_mov_b32_e32 v23, s17
	s_xor_b32 exec_lo, exec_lo, s30
	s_cbranch_execnz .LBB6_12322
.LBB6_11624:                            ;   in Loop: Header=BB6_11312 Depth=3
	s_or_b32 exec_lo, exec_lo, s30
	s_and_saveexec_b32 s17, s13
	s_cbranch_execz .LBB6_11626
.LBB6_11625:                            ;   in Loop: Header=BB6_11312 Depth=3
	v_and_b32_e32 v23, 0xffff, v16
	v_lshlrev_b32_e32 v16, 24, v16
	s_delay_alu instid0(VALU_DEP_2) | instskip(NEXT) | instid1(VALU_DEP_2)
	v_and_b32_e32 v26, 3, v23
	v_and_b32_e32 v16, 0x80000000, v16
	s_delay_alu instid0(VALU_DEP_2) | instskip(NEXT) | instid1(VALU_DEP_1)
	v_clz_i32_u32_e32 v27, v26
	v_min_u32_e32 v27, 32, v27
	s_delay_alu instid0(VALU_DEP_1) | instskip(SKIP_1) | instid1(VALU_DEP_2)
	v_subrev_nc_u32_e32 v36, 29, v27
	v_sub_nc_u32_e32 v27, 30, v27
	v_lshlrev_b32_e32 v36, v36, v23
	v_bfe_u32 v23, v23, 2, 5
	s_delay_alu instid0(VALU_DEP_1) | instskip(NEXT) | instid1(VALU_DEP_3)
	v_cmp_eq_u32_e32 vcc_lo, 0, v23
	v_dual_cndmask_b32 v23, v23, v27 :: v_dual_and_b32 v36, 3, v36
	s_delay_alu instid0(VALU_DEP_1) | instskip(NEXT) | instid1(VALU_DEP_2)
	v_cndmask_b32_e32 v26, v26, v36, vcc_lo
	v_lshl_add_u32 v23, v23, 23, 0x37800000
	s_delay_alu instid0(VALU_DEP_2) | instskip(NEXT) | instid1(VALU_DEP_1)
	v_lshlrev_b32_e32 v26, 21, v26
	v_or3_b32 v23, v16, v23, v26
.LBB6_11626:                            ;   in Loop: Header=BB6_11312 Depth=3
	s_or_b32 exec_lo, exec_lo, s17
	s_delay_alu instid0(VALU_DEP_1) | instskip(SKIP_1) | instid1(VALU_DEP_1)
	v_dual_mul_f32 v16, v17, v23 :: v_dual_mov_b32 v85, 0x80
	s_mov_b32 s17, exec_lo
	v_and_b32_e32 v23, 0x7f800000, v16
	s_delay_alu instid0(VALU_DEP_1)
	v_cmpx_ne_u32_e32 0x7f800000, v23
	s_cbranch_execz .LBB6_11634
; %bb.11627:                            ;   in Loop: Header=BB6_11312 Depth=3
	v_mov_b32_e32 v85, 0
	s_mov_b32 s30, exec_lo
	v_cmpx_ne_u32_e32 0, v16
	s_cbranch_execz .LBB6_11633
; %bb.11628:                            ;   in Loop: Header=BB6_11312 Depth=3
	v_bfe_u32 v23, v16, 23, 8
	s_delay_alu instid0(VALU_DEP_1) | instskip(SKIP_1) | instid1(VALU_DEP_2)
	v_sub_nc_u32_e32 v27, 0x70, v23
	v_cmp_gt_u32_e32 vcc_lo, 0x71, v23
	v_dual_cndmask_b32 v27, 0, v27 :: v_dual_and_b32 v26, 0x7fffff, v16
	s_delay_alu instid0(VALU_DEP_1) | instskip(SKIP_2) | instid1(VALU_DEP_4)
	v_or_b32_e32 v36, 0x800000, v26
	v_cmp_eq_u32_e32 vcc_lo, 0, v23
	v_add_nc_u32_e32 v23, 0xffffff91, v23
	v_cndmask_b32_e64 v27, v27, 0x6f, vcc_lo
	s_delay_alu instid0(VALU_DEP_4) | instskip(NEXT) | instid1(VALU_DEP_3)
	v_cndmask_b32_e32 v26, v36, v26, vcc_lo
	v_cndmask_b32_e64 v23, v23, 0xffffff92, vcc_lo
	s_delay_alu instid0(VALU_DEP_3) | instskip(NEXT) | instid1(VALU_DEP_3)
	v_lshl_add_u32 v36, 0x200000, v27, -1
	v_lshrrev_b32_e32 v37, v27, v26
	v_lshlrev_b32_e64 v39, v27, 0x100000
	s_delay_alu instid0(VALU_DEP_4) | instskip(NEXT) | instid1(VALU_DEP_4)
	v_add_nc_u32_e32 v27, v27, v23
	v_and_b32_e32 v26, v36, v26
	s_delay_alu instid0(VALU_DEP_4) | instskip(NEXT) | instid1(VALU_DEP_2)
	v_bfe_u32 v38, v37, 21, 1
	v_cmp_eq_u32_e64 s13, v26, v39
	s_delay_alu instid0(VALU_DEP_2) | instskip(NEXT) | instid1(VALU_DEP_1)
	v_add_nc_u32_e32 v36, -1, v38
	v_cndmask_b32_e64 v26, 0, v36, s13
	v_lshrrev_b32_e32 v36, 23, v37
	s_mov_b32 s13, exec_lo
	s_delay_alu instid0(VALU_DEP_2) | instskip(NEXT) | instid1(VALU_DEP_2)
	v_add_nc_u32_e32 v26, v26, v37
	v_xor_b32_e32 v36, 1, v36
	s_delay_alu instid0(VALU_DEP_2) | instskip(NEXT) | instid1(VALU_DEP_1)
	v_and_b32_e32 v23, 0x1fffff, v26
	v_add_nc_u32_e32 v26, v23, v37
                                        ; implicit-def: $vgpr23
	s_delay_alu instid0(VALU_DEP_3)
	v_cmpx_ne_u32_e64 v27, v36
	s_xor_b32 s13, exec_lo, s13
; %bb.11629:                            ;   in Loop: Header=BB6_11312 Depth=3
	s_delay_alu instid0(VALU_DEP_2) | instskip(SKIP_2) | instid1(VALU_DEP_2)
	v_cmp_lt_u32_e32 vcc_lo, 0xffffff, v26
	v_sub_nc_u32_e32 v23, v27, v36
	v_cndmask_b32_e64 v27, 0, 1, vcc_lo
	v_add_co_ci_u32_e32 v23, vcc_lo, 0, v23, vcc_lo
	s_delay_alu instid0(VALU_DEP_2)
	v_lshrrev_b32_e32 v26, v27, v26
; %bb.11630:                            ;   in Loop: Header=BB6_11312 Depth=3
	s_and_not1_saveexec_b32 s13, s13
; %bb.11631:                            ;   in Loop: Header=BB6_11312 Depth=3
	s_delay_alu instid0(VALU_DEP_1)
	v_bfe_u32 v23, v26, 23, 1
; %bb.11632:                            ;   in Loop: Header=BB6_11312 Depth=3
	s_or_b32 exec_lo, exec_lo, s13
	v_lshrrev_b32_e32 v26, 21, v26
	s_delay_alu instid0(VALU_DEP_2) | instskip(SKIP_2) | instid1(VALU_DEP_2)
	v_cmp_gt_i32_e32 vcc_lo, 32, v23
	v_min_i32_e32 v27, 31, v23
	v_lshrrev_b32_e32 v16, 24, v16
	v_dual_cndmask_b32 v26, 3, v26 :: v_dual_lshlrev_b32 v27, 2, v27
	s_delay_alu instid0(VALU_DEP_2) | instskip(NEXT) | instid1(VALU_DEP_2)
	v_and_b32_e32 v16, 0x80, v16
	v_or_b32_e32 v23, v23, v26
	s_delay_alu instid0(VALU_DEP_1) | instskip(SKIP_1) | instid1(VALU_DEP_1)
	v_cmp_ne_u32_e32 vcc_lo, 0, v23
	v_and_b32_e32 v36, 3, v26
	v_or3_b32 v16, v27, v16, v36
	s_delay_alu instid0(VALU_DEP_1)
	v_cndmask_b32_e32 v85, 0, v16, vcc_lo
.LBB6_11633:                            ;   in Loop: Header=BB6_11312 Depth=3
	s_or_b32 exec_lo, exec_lo, s30
.LBB6_11634:                            ;   in Loop: Header=BB6_11312 Depth=3
	s_delay_alu instid0(SALU_CYCLE_1)
	s_or_b32 exec_lo, exec_lo, s17
	flat_load_u8 v16, v[8:9] offset:832 slc dlc
	s_mov_b32 s13, 0
	s_mov_b32 s30, exec_lo
                                        ; implicit-def: $sgpr17
	s_waitcnt vmcnt(0) lgkmcnt(0)
	v_cmpx_lt_i16_e32 0x7f, v16
	s_xor_b32 s30, exec_lo, s30
	s_cbranch_execnz .LBB6_12323
; %bb.11635:                            ;   in Loop: Header=BB6_11312 Depth=3
	s_or_saveexec_b32 s30, s30
	v_mov_b32_e32 v23, s17
	s_xor_b32 exec_lo, exec_lo, s30
	s_cbranch_execnz .LBB6_12326
.LBB6_11636:                            ;   in Loop: Header=BB6_11312 Depth=3
	s_or_b32 exec_lo, exec_lo, s30
	s_and_saveexec_b32 s17, s13
	s_cbranch_execz .LBB6_11638
.LBB6_11637:                            ;   in Loop: Header=BB6_11312 Depth=3
	v_and_b32_e32 v23, 0xffff, v16
	v_lshlrev_b32_e32 v16, 24, v16
	s_delay_alu instid0(VALU_DEP_2) | instskip(NEXT) | instid1(VALU_DEP_2)
	v_and_b32_e32 v26, 3, v23
	v_and_b32_e32 v16, 0x80000000, v16
	s_delay_alu instid0(VALU_DEP_2) | instskip(NEXT) | instid1(VALU_DEP_1)
	v_clz_i32_u32_e32 v27, v26
	v_min_u32_e32 v27, 32, v27
	s_delay_alu instid0(VALU_DEP_1) | instskip(SKIP_1) | instid1(VALU_DEP_2)
	v_subrev_nc_u32_e32 v36, 29, v27
	v_sub_nc_u32_e32 v27, 30, v27
	v_lshlrev_b32_e32 v36, v36, v23
	v_bfe_u32 v23, v23, 2, 5
	s_delay_alu instid0(VALU_DEP_1) | instskip(NEXT) | instid1(VALU_DEP_3)
	v_cmp_eq_u32_e32 vcc_lo, 0, v23
	v_dual_cndmask_b32 v23, v23, v27 :: v_dual_and_b32 v36, 3, v36
	s_delay_alu instid0(VALU_DEP_1) | instskip(NEXT) | instid1(VALU_DEP_2)
	v_cndmask_b32_e32 v26, v26, v36, vcc_lo
	v_lshl_add_u32 v23, v23, 23, 0x37800000
	s_delay_alu instid0(VALU_DEP_2) | instskip(NEXT) | instid1(VALU_DEP_1)
	v_lshlrev_b32_e32 v26, 21, v26
	v_or3_b32 v23, v16, v23, v26
.LBB6_11638:                            ;   in Loop: Header=BB6_11312 Depth=3
	s_or_b32 exec_lo, exec_lo, s17
	s_delay_alu instid0(VALU_DEP_1) | instskip(SKIP_1) | instid1(VALU_DEP_1)
	v_dual_mul_f32 v16, v17, v23 :: v_dual_mov_b32 v83, 0x80
	s_mov_b32 s17, exec_lo
	v_and_b32_e32 v23, 0x7f800000, v16
	s_delay_alu instid0(VALU_DEP_1)
	v_cmpx_ne_u32_e32 0x7f800000, v23
	s_cbranch_execz .LBB6_11646
; %bb.11639:                            ;   in Loop: Header=BB6_11312 Depth=3
	v_mov_b32_e32 v83, 0
	s_mov_b32 s30, exec_lo
	v_cmpx_ne_u32_e32 0, v16
	s_cbranch_execz .LBB6_11645
; %bb.11640:                            ;   in Loop: Header=BB6_11312 Depth=3
	v_bfe_u32 v23, v16, 23, 8
	s_delay_alu instid0(VALU_DEP_1) | instskip(SKIP_1) | instid1(VALU_DEP_2)
	v_sub_nc_u32_e32 v27, 0x70, v23
	v_cmp_gt_u32_e32 vcc_lo, 0x71, v23
	v_dual_cndmask_b32 v27, 0, v27 :: v_dual_and_b32 v26, 0x7fffff, v16
	s_delay_alu instid0(VALU_DEP_1) | instskip(SKIP_2) | instid1(VALU_DEP_4)
	v_or_b32_e32 v36, 0x800000, v26
	v_cmp_eq_u32_e32 vcc_lo, 0, v23
	v_add_nc_u32_e32 v23, 0xffffff91, v23
	v_cndmask_b32_e64 v27, v27, 0x6f, vcc_lo
	s_delay_alu instid0(VALU_DEP_4) | instskip(NEXT) | instid1(VALU_DEP_3)
	v_cndmask_b32_e32 v26, v36, v26, vcc_lo
	v_cndmask_b32_e64 v23, v23, 0xffffff92, vcc_lo
	s_delay_alu instid0(VALU_DEP_3) | instskip(NEXT) | instid1(VALU_DEP_3)
	v_lshl_add_u32 v36, 0x200000, v27, -1
	v_lshrrev_b32_e32 v37, v27, v26
	v_lshlrev_b32_e64 v39, v27, 0x100000
	s_delay_alu instid0(VALU_DEP_4) | instskip(NEXT) | instid1(VALU_DEP_4)
	v_add_nc_u32_e32 v27, v27, v23
	v_and_b32_e32 v26, v36, v26
	s_delay_alu instid0(VALU_DEP_4) | instskip(NEXT) | instid1(VALU_DEP_2)
	v_bfe_u32 v38, v37, 21, 1
	v_cmp_eq_u32_e64 s13, v26, v39
	s_delay_alu instid0(VALU_DEP_2) | instskip(NEXT) | instid1(VALU_DEP_1)
	v_add_nc_u32_e32 v36, -1, v38
	v_cndmask_b32_e64 v26, 0, v36, s13
	v_lshrrev_b32_e32 v36, 23, v37
	s_mov_b32 s13, exec_lo
	s_delay_alu instid0(VALU_DEP_2) | instskip(NEXT) | instid1(VALU_DEP_2)
	v_add_nc_u32_e32 v26, v26, v37
	v_xor_b32_e32 v36, 1, v36
	s_delay_alu instid0(VALU_DEP_2) | instskip(NEXT) | instid1(VALU_DEP_1)
	v_and_b32_e32 v23, 0x1fffff, v26
	v_add_nc_u32_e32 v26, v23, v37
                                        ; implicit-def: $vgpr23
	s_delay_alu instid0(VALU_DEP_3)
	v_cmpx_ne_u32_e64 v27, v36
	s_xor_b32 s13, exec_lo, s13
; %bb.11641:                            ;   in Loop: Header=BB6_11312 Depth=3
	s_delay_alu instid0(VALU_DEP_2) | instskip(SKIP_2) | instid1(VALU_DEP_2)
	v_cmp_lt_u32_e32 vcc_lo, 0xffffff, v26
	v_sub_nc_u32_e32 v23, v27, v36
	v_cndmask_b32_e64 v27, 0, 1, vcc_lo
	v_add_co_ci_u32_e32 v23, vcc_lo, 0, v23, vcc_lo
	s_delay_alu instid0(VALU_DEP_2)
	v_lshrrev_b32_e32 v26, v27, v26
; %bb.11642:                            ;   in Loop: Header=BB6_11312 Depth=3
	s_and_not1_saveexec_b32 s13, s13
; %bb.11643:                            ;   in Loop: Header=BB6_11312 Depth=3
	s_delay_alu instid0(VALU_DEP_1)
	v_bfe_u32 v23, v26, 23, 1
; %bb.11644:                            ;   in Loop: Header=BB6_11312 Depth=3
	s_or_b32 exec_lo, exec_lo, s13
	v_lshrrev_b32_e32 v26, 21, v26
	s_delay_alu instid0(VALU_DEP_2) | instskip(SKIP_2) | instid1(VALU_DEP_2)
	v_cmp_gt_i32_e32 vcc_lo, 32, v23
	v_min_i32_e32 v27, 31, v23
	v_lshrrev_b32_e32 v16, 24, v16
	v_dual_cndmask_b32 v26, 3, v26 :: v_dual_lshlrev_b32 v27, 2, v27
	s_delay_alu instid0(VALU_DEP_2) | instskip(NEXT) | instid1(VALU_DEP_2)
	v_and_b32_e32 v16, 0x80, v16
	v_or_b32_e32 v23, v23, v26
	s_delay_alu instid0(VALU_DEP_1) | instskip(SKIP_1) | instid1(VALU_DEP_1)
	v_cmp_ne_u32_e32 vcc_lo, 0, v23
	v_and_b32_e32 v36, 3, v26
	v_or3_b32 v16, v27, v16, v36
	s_delay_alu instid0(VALU_DEP_1)
	v_cndmask_b32_e32 v83, 0, v16, vcc_lo
.LBB6_11645:                            ;   in Loop: Header=BB6_11312 Depth=3
	s_or_b32 exec_lo, exec_lo, s30
.LBB6_11646:                            ;   in Loop: Header=BB6_11312 Depth=3
	s_delay_alu instid0(SALU_CYCLE_1)
	s_or_b32 exec_lo, exec_lo, s17
	flat_load_u8 v16, v[8:9] offset:864 slc dlc
	s_mov_b32 s13, 0
	s_mov_b32 s30, exec_lo
                                        ; implicit-def: $sgpr17
	s_waitcnt vmcnt(0) lgkmcnt(0)
	v_cmpx_lt_i16_e32 0x7f, v16
	s_xor_b32 s30, exec_lo, s30
	s_cbranch_execnz .LBB6_12327
; %bb.11647:                            ;   in Loop: Header=BB6_11312 Depth=3
	s_or_saveexec_b32 s30, s30
	v_mov_b32_e32 v23, s17
	s_xor_b32 exec_lo, exec_lo, s30
	s_cbranch_execnz .LBB6_12330
.LBB6_11648:                            ;   in Loop: Header=BB6_11312 Depth=3
	s_or_b32 exec_lo, exec_lo, s30
	s_and_saveexec_b32 s17, s13
	s_cbranch_execz .LBB6_11650
.LBB6_11649:                            ;   in Loop: Header=BB6_11312 Depth=3
	v_and_b32_e32 v23, 0xffff, v16
	v_lshlrev_b32_e32 v16, 24, v16
	s_delay_alu instid0(VALU_DEP_2) | instskip(NEXT) | instid1(VALU_DEP_2)
	v_and_b32_e32 v26, 3, v23
	v_and_b32_e32 v16, 0x80000000, v16
	s_delay_alu instid0(VALU_DEP_2) | instskip(NEXT) | instid1(VALU_DEP_1)
	v_clz_i32_u32_e32 v27, v26
	v_min_u32_e32 v27, 32, v27
	s_delay_alu instid0(VALU_DEP_1) | instskip(SKIP_1) | instid1(VALU_DEP_2)
	v_subrev_nc_u32_e32 v36, 29, v27
	v_sub_nc_u32_e32 v27, 30, v27
	v_lshlrev_b32_e32 v36, v36, v23
	v_bfe_u32 v23, v23, 2, 5
	s_delay_alu instid0(VALU_DEP_1) | instskip(NEXT) | instid1(VALU_DEP_3)
	v_cmp_eq_u32_e32 vcc_lo, 0, v23
	v_dual_cndmask_b32 v23, v23, v27 :: v_dual_and_b32 v36, 3, v36
	s_delay_alu instid0(VALU_DEP_1) | instskip(NEXT) | instid1(VALU_DEP_2)
	v_cndmask_b32_e32 v26, v26, v36, vcc_lo
	v_lshl_add_u32 v23, v23, 23, 0x37800000
	s_delay_alu instid0(VALU_DEP_2) | instskip(NEXT) | instid1(VALU_DEP_1)
	v_lshlrev_b32_e32 v26, 21, v26
	v_or3_b32 v23, v16, v23, v26
.LBB6_11650:                            ;   in Loop: Header=BB6_11312 Depth=3
	s_or_b32 exec_lo, exec_lo, s17
	s_delay_alu instid0(VALU_DEP_1) | instskip(SKIP_2) | instid1(VALU_DEP_2)
	v_mul_f32_e32 v16, v17, v23
	v_mov_b32_e32 v82, 0x80
	s_mov_b32 s17, exec_lo
	v_and_b32_e32 v23, 0x7f800000, v16
	s_delay_alu instid0(VALU_DEP_1)
	v_cmpx_ne_u32_e32 0x7f800000, v23
	s_cbranch_execz .LBB6_11658
; %bb.11651:                            ;   in Loop: Header=BB6_11312 Depth=3
	v_mov_b32_e32 v82, 0
	s_mov_b32 s30, exec_lo
	v_cmpx_ne_u32_e32 0, v16
	s_cbranch_execz .LBB6_11657
; %bb.11652:                            ;   in Loop: Header=BB6_11312 Depth=3
	v_bfe_u32 v23, v16, 23, 8
	s_delay_alu instid0(VALU_DEP_1) | instskip(SKIP_1) | instid1(VALU_DEP_2)
	v_sub_nc_u32_e32 v27, 0x70, v23
	v_cmp_gt_u32_e32 vcc_lo, 0x71, v23
	v_dual_cndmask_b32 v27, 0, v27 :: v_dual_and_b32 v26, 0x7fffff, v16
	s_delay_alu instid0(VALU_DEP_1) | instskip(SKIP_2) | instid1(VALU_DEP_4)
	v_or_b32_e32 v36, 0x800000, v26
	v_cmp_eq_u32_e32 vcc_lo, 0, v23
	v_add_nc_u32_e32 v23, 0xffffff91, v23
	v_cndmask_b32_e64 v27, v27, 0x6f, vcc_lo
	s_delay_alu instid0(VALU_DEP_4) | instskip(NEXT) | instid1(VALU_DEP_3)
	v_cndmask_b32_e32 v26, v36, v26, vcc_lo
	v_cndmask_b32_e64 v23, v23, 0xffffff92, vcc_lo
	s_delay_alu instid0(VALU_DEP_3) | instskip(NEXT) | instid1(VALU_DEP_3)
	v_lshl_add_u32 v36, 0x200000, v27, -1
	v_lshrrev_b32_e32 v37, v27, v26
	v_lshlrev_b32_e64 v39, v27, 0x100000
	s_delay_alu instid0(VALU_DEP_4) | instskip(NEXT) | instid1(VALU_DEP_4)
	v_add_nc_u32_e32 v27, v27, v23
	v_and_b32_e32 v26, v36, v26
	s_delay_alu instid0(VALU_DEP_4) | instskip(NEXT) | instid1(VALU_DEP_2)
	v_bfe_u32 v38, v37, 21, 1
	v_cmp_eq_u32_e64 s13, v26, v39
	s_delay_alu instid0(VALU_DEP_2) | instskip(NEXT) | instid1(VALU_DEP_1)
	v_add_nc_u32_e32 v36, -1, v38
	v_cndmask_b32_e64 v26, 0, v36, s13
	v_lshrrev_b32_e32 v36, 23, v37
	s_mov_b32 s13, exec_lo
	s_delay_alu instid0(VALU_DEP_2) | instskip(NEXT) | instid1(VALU_DEP_2)
	v_add_nc_u32_e32 v26, v26, v37
	v_xor_b32_e32 v36, 1, v36
	s_delay_alu instid0(VALU_DEP_2) | instskip(NEXT) | instid1(VALU_DEP_1)
	v_and_b32_e32 v23, 0x1fffff, v26
	v_add_nc_u32_e32 v26, v23, v37
                                        ; implicit-def: $vgpr23
	s_delay_alu instid0(VALU_DEP_3)
	v_cmpx_ne_u32_e64 v27, v36
	s_xor_b32 s13, exec_lo, s13
; %bb.11653:                            ;   in Loop: Header=BB6_11312 Depth=3
	s_delay_alu instid0(VALU_DEP_2) | instskip(SKIP_2) | instid1(VALU_DEP_2)
	v_cmp_lt_u32_e32 vcc_lo, 0xffffff, v26
	v_sub_nc_u32_e32 v23, v27, v36
	v_cndmask_b32_e64 v27, 0, 1, vcc_lo
	v_add_co_ci_u32_e32 v23, vcc_lo, 0, v23, vcc_lo
	s_delay_alu instid0(VALU_DEP_2)
	v_lshrrev_b32_e32 v26, v27, v26
; %bb.11654:                            ;   in Loop: Header=BB6_11312 Depth=3
	s_and_not1_saveexec_b32 s13, s13
; %bb.11655:                            ;   in Loop: Header=BB6_11312 Depth=3
	s_delay_alu instid0(VALU_DEP_1)
	v_bfe_u32 v23, v26, 23, 1
; %bb.11656:                            ;   in Loop: Header=BB6_11312 Depth=3
	s_or_b32 exec_lo, exec_lo, s13
	v_lshrrev_b32_e32 v26, 21, v26
	s_delay_alu instid0(VALU_DEP_2) | instskip(SKIP_2) | instid1(VALU_DEP_4)
	v_cmp_gt_i32_e32 vcc_lo, 32, v23
	v_lshrrev_b32_e32 v16, 24, v16
	v_min_i32_e32 v27, 31, v23
	v_cndmask_b32_e32 v26, 3, v26, vcc_lo
	s_delay_alu instid0(VALU_DEP_3) | instskip(NEXT) | instid1(VALU_DEP_3)
	v_and_b32_e32 v16, 0x80, v16
	v_lshlrev_b32_e32 v27, 2, v27
	s_delay_alu instid0(VALU_DEP_3) | instskip(SKIP_1) | instid1(VALU_DEP_2)
	v_and_b32_e32 v36, 3, v26
	v_or_b32_e32 v23, v23, v26
	v_or3_b32 v16, v27, v16, v36
	s_delay_alu instid0(VALU_DEP_2) | instskip(NEXT) | instid1(VALU_DEP_2)
	v_cmp_ne_u32_e32 vcc_lo, 0, v23
	v_cndmask_b32_e32 v82, 0, v16, vcc_lo
.LBB6_11657:                            ;   in Loop: Header=BB6_11312 Depth=3
	s_or_b32 exec_lo, exec_lo, s30
.LBB6_11658:                            ;   in Loop: Header=BB6_11312 Depth=3
	s_delay_alu instid0(SALU_CYCLE_1)
	s_or_b32 exec_lo, exec_lo, s17
	flat_load_u8 v16, v[8:9] offset:896 slc dlc
	s_mov_b32 s13, 0
	s_mov_b32 s30, exec_lo
                                        ; implicit-def: $sgpr17
	s_waitcnt vmcnt(0) lgkmcnt(0)
	v_cmpx_lt_i16_e32 0x7f, v16
	s_xor_b32 s30, exec_lo, s30
	s_cbranch_execnz .LBB6_12331
; %bb.11659:                            ;   in Loop: Header=BB6_11312 Depth=3
	s_or_saveexec_b32 s30, s30
	v_mov_b32_e32 v23, s17
	s_xor_b32 exec_lo, exec_lo, s30
	s_cbranch_execnz .LBB6_12334
.LBB6_11660:                            ;   in Loop: Header=BB6_11312 Depth=3
	s_or_b32 exec_lo, exec_lo, s30
	s_and_saveexec_b32 s17, s13
	s_cbranch_execz .LBB6_11662
.LBB6_11661:                            ;   in Loop: Header=BB6_11312 Depth=3
	v_and_b32_e32 v23, 0xffff, v16
	v_lshlrev_b32_e32 v16, 24, v16
	s_delay_alu instid0(VALU_DEP_2) | instskip(NEXT) | instid1(VALU_DEP_2)
	v_and_b32_e32 v26, 3, v23
	v_and_b32_e32 v16, 0x80000000, v16
	s_delay_alu instid0(VALU_DEP_2) | instskip(NEXT) | instid1(VALU_DEP_1)
	v_clz_i32_u32_e32 v27, v26
	v_min_u32_e32 v27, 32, v27
	s_delay_alu instid0(VALU_DEP_1) | instskip(SKIP_1) | instid1(VALU_DEP_2)
	v_subrev_nc_u32_e32 v36, 29, v27
	v_sub_nc_u32_e32 v27, 30, v27
	v_lshlrev_b32_e32 v36, v36, v23
	v_bfe_u32 v23, v23, 2, 5
	s_delay_alu instid0(VALU_DEP_1) | instskip(NEXT) | instid1(VALU_DEP_3)
	v_cmp_eq_u32_e32 vcc_lo, 0, v23
	v_dual_cndmask_b32 v23, v23, v27 :: v_dual_and_b32 v36, 3, v36
	s_delay_alu instid0(VALU_DEP_1) | instskip(NEXT) | instid1(VALU_DEP_2)
	v_cndmask_b32_e32 v26, v26, v36, vcc_lo
	v_lshl_add_u32 v23, v23, 23, 0x37800000
	s_delay_alu instid0(VALU_DEP_2) | instskip(NEXT) | instid1(VALU_DEP_1)
	v_lshlrev_b32_e32 v26, 21, v26
	v_or3_b32 v23, v16, v23, v26
.LBB6_11662:                            ;   in Loop: Header=BB6_11312 Depth=3
	s_or_b32 exec_lo, exec_lo, s17
	s_delay_alu instid0(VALU_DEP_1) | instskip(SKIP_2) | instid1(VALU_DEP_2)
	v_mul_f32_e32 v16, v17, v23
	v_mov_b32_e32 v80, 0x80
	s_mov_b32 s17, exec_lo
	v_and_b32_e32 v23, 0x7f800000, v16
	s_delay_alu instid0(VALU_DEP_1)
	v_cmpx_ne_u32_e32 0x7f800000, v23
	s_cbranch_execz .LBB6_11670
; %bb.11663:                            ;   in Loop: Header=BB6_11312 Depth=3
	v_mov_b32_e32 v80, 0
	s_mov_b32 s30, exec_lo
	v_cmpx_ne_u32_e32 0, v16
	s_cbranch_execz .LBB6_11669
; %bb.11664:                            ;   in Loop: Header=BB6_11312 Depth=3
	v_bfe_u32 v23, v16, 23, 8
	s_delay_alu instid0(VALU_DEP_1) | instskip(SKIP_1) | instid1(VALU_DEP_2)
	v_sub_nc_u32_e32 v27, 0x70, v23
	v_cmp_gt_u32_e32 vcc_lo, 0x71, v23
	v_dual_cndmask_b32 v27, 0, v27 :: v_dual_and_b32 v26, 0x7fffff, v16
	s_delay_alu instid0(VALU_DEP_1) | instskip(SKIP_2) | instid1(VALU_DEP_4)
	v_or_b32_e32 v36, 0x800000, v26
	v_cmp_eq_u32_e32 vcc_lo, 0, v23
	v_add_nc_u32_e32 v23, 0xffffff91, v23
	v_cndmask_b32_e64 v27, v27, 0x6f, vcc_lo
	s_delay_alu instid0(VALU_DEP_4) | instskip(NEXT) | instid1(VALU_DEP_3)
	v_cndmask_b32_e32 v26, v36, v26, vcc_lo
	v_cndmask_b32_e64 v23, v23, 0xffffff92, vcc_lo
	s_delay_alu instid0(VALU_DEP_3) | instskip(NEXT) | instid1(VALU_DEP_3)
	v_lshl_add_u32 v36, 0x200000, v27, -1
	v_lshrrev_b32_e32 v37, v27, v26
	v_lshlrev_b32_e64 v39, v27, 0x100000
	s_delay_alu instid0(VALU_DEP_4) | instskip(NEXT) | instid1(VALU_DEP_4)
	v_add_nc_u32_e32 v27, v27, v23
	v_and_b32_e32 v26, v36, v26
	s_delay_alu instid0(VALU_DEP_4) | instskip(NEXT) | instid1(VALU_DEP_2)
	v_bfe_u32 v38, v37, 21, 1
	v_cmp_eq_u32_e64 s13, v26, v39
	s_delay_alu instid0(VALU_DEP_2) | instskip(NEXT) | instid1(VALU_DEP_1)
	v_add_nc_u32_e32 v36, -1, v38
	v_cndmask_b32_e64 v26, 0, v36, s13
	v_lshrrev_b32_e32 v36, 23, v37
	s_mov_b32 s13, exec_lo
	s_delay_alu instid0(VALU_DEP_2) | instskip(NEXT) | instid1(VALU_DEP_2)
	v_add_nc_u32_e32 v26, v26, v37
	v_xor_b32_e32 v36, 1, v36
	s_delay_alu instid0(VALU_DEP_2) | instskip(NEXT) | instid1(VALU_DEP_1)
	v_and_b32_e32 v23, 0x1fffff, v26
	v_add_nc_u32_e32 v26, v23, v37
                                        ; implicit-def: $vgpr23
	s_delay_alu instid0(VALU_DEP_3)
	v_cmpx_ne_u32_e64 v27, v36
	s_xor_b32 s13, exec_lo, s13
; %bb.11665:                            ;   in Loop: Header=BB6_11312 Depth=3
	s_delay_alu instid0(VALU_DEP_2) | instskip(SKIP_2) | instid1(VALU_DEP_2)
	v_cmp_lt_u32_e32 vcc_lo, 0xffffff, v26
	v_sub_nc_u32_e32 v23, v27, v36
	v_cndmask_b32_e64 v27, 0, 1, vcc_lo
	v_add_co_ci_u32_e32 v23, vcc_lo, 0, v23, vcc_lo
	s_delay_alu instid0(VALU_DEP_2)
	v_lshrrev_b32_e32 v26, v27, v26
; %bb.11666:                            ;   in Loop: Header=BB6_11312 Depth=3
	s_and_not1_saveexec_b32 s13, s13
; %bb.11667:                            ;   in Loop: Header=BB6_11312 Depth=3
	s_delay_alu instid0(VALU_DEP_1)
	v_bfe_u32 v23, v26, 23, 1
; %bb.11668:                            ;   in Loop: Header=BB6_11312 Depth=3
	s_or_b32 exec_lo, exec_lo, s13
	v_lshrrev_b32_e32 v26, 21, v26
	s_delay_alu instid0(VALU_DEP_2) | instskip(SKIP_2) | instid1(VALU_DEP_4)
	v_cmp_gt_i32_e32 vcc_lo, 32, v23
	v_lshrrev_b32_e32 v16, 24, v16
	v_min_i32_e32 v27, 31, v23
	v_cndmask_b32_e32 v26, 3, v26, vcc_lo
	s_delay_alu instid0(VALU_DEP_3) | instskip(NEXT) | instid1(VALU_DEP_3)
	v_and_b32_e32 v16, 0x80, v16
	v_lshlrev_b32_e32 v27, 2, v27
	s_delay_alu instid0(VALU_DEP_3) | instskip(SKIP_1) | instid1(VALU_DEP_2)
	v_and_b32_e32 v36, 3, v26
	v_or_b32_e32 v23, v23, v26
	v_or3_b32 v16, v27, v16, v36
	s_delay_alu instid0(VALU_DEP_2) | instskip(NEXT) | instid1(VALU_DEP_2)
	v_cmp_ne_u32_e32 vcc_lo, 0, v23
	v_cndmask_b32_e32 v80, 0, v16, vcc_lo
.LBB6_11669:                            ;   in Loop: Header=BB6_11312 Depth=3
	s_or_b32 exec_lo, exec_lo, s30
.LBB6_11670:                            ;   in Loop: Header=BB6_11312 Depth=3
	s_delay_alu instid0(SALU_CYCLE_1)
	s_or_b32 exec_lo, exec_lo, s17
	flat_load_u8 v16, v[8:9] offset:928 slc dlc
	s_mov_b32 s13, 0
	s_mov_b32 s30, exec_lo
                                        ; implicit-def: $sgpr17
	s_waitcnt vmcnt(0) lgkmcnt(0)
	v_cmpx_lt_i16_e32 0x7f, v16
	s_xor_b32 s30, exec_lo, s30
	s_cbranch_execnz .LBB6_12335
; %bb.11671:                            ;   in Loop: Header=BB6_11312 Depth=3
	s_or_saveexec_b32 s30, s30
	v_mov_b32_e32 v23, s17
	s_xor_b32 exec_lo, exec_lo, s30
	s_cbranch_execnz .LBB6_12338
.LBB6_11672:                            ;   in Loop: Header=BB6_11312 Depth=3
	s_or_b32 exec_lo, exec_lo, s30
	s_and_saveexec_b32 s17, s13
	s_cbranch_execz .LBB6_11674
.LBB6_11673:                            ;   in Loop: Header=BB6_11312 Depth=3
	v_and_b32_e32 v23, 0xffff, v16
	v_lshlrev_b32_e32 v16, 24, v16
	s_delay_alu instid0(VALU_DEP_2) | instskip(NEXT) | instid1(VALU_DEP_2)
	v_and_b32_e32 v26, 3, v23
	v_and_b32_e32 v16, 0x80000000, v16
	s_delay_alu instid0(VALU_DEP_2) | instskip(NEXT) | instid1(VALU_DEP_1)
	v_clz_i32_u32_e32 v27, v26
	v_min_u32_e32 v27, 32, v27
	s_delay_alu instid0(VALU_DEP_1) | instskip(SKIP_1) | instid1(VALU_DEP_2)
	v_subrev_nc_u32_e32 v36, 29, v27
	v_sub_nc_u32_e32 v27, 30, v27
	v_lshlrev_b32_e32 v36, v36, v23
	v_bfe_u32 v23, v23, 2, 5
	s_delay_alu instid0(VALU_DEP_1) | instskip(NEXT) | instid1(VALU_DEP_3)
	v_cmp_eq_u32_e32 vcc_lo, 0, v23
	v_dual_cndmask_b32 v23, v23, v27 :: v_dual_and_b32 v36, 3, v36
	s_delay_alu instid0(VALU_DEP_1) | instskip(NEXT) | instid1(VALU_DEP_2)
	v_cndmask_b32_e32 v26, v26, v36, vcc_lo
	v_lshl_add_u32 v23, v23, 23, 0x37800000
	s_delay_alu instid0(VALU_DEP_2) | instskip(NEXT) | instid1(VALU_DEP_1)
	v_lshlrev_b32_e32 v26, 21, v26
	v_or3_b32 v23, v16, v23, v26
.LBB6_11674:                            ;   in Loop: Header=BB6_11312 Depth=3
	s_or_b32 exec_lo, exec_lo, s17
	s_delay_alu instid0(VALU_DEP_1) | instskip(SKIP_1) | instid1(VALU_DEP_1)
	v_dual_mul_f32 v16, v17, v23 :: v_dual_mov_b32 v69, 0x80
	s_mov_b32 s17, exec_lo
	v_and_b32_e32 v23, 0x7f800000, v16
	s_delay_alu instid0(VALU_DEP_1)
	v_cmpx_ne_u32_e32 0x7f800000, v23
	s_cbranch_execz .LBB6_11682
; %bb.11675:                            ;   in Loop: Header=BB6_11312 Depth=3
	v_mov_b32_e32 v69, 0
	s_mov_b32 s30, exec_lo
	v_cmpx_ne_u32_e32 0, v16
	s_cbranch_execz .LBB6_11681
; %bb.11676:                            ;   in Loop: Header=BB6_11312 Depth=3
	v_bfe_u32 v23, v16, 23, 8
	s_delay_alu instid0(VALU_DEP_1) | instskip(SKIP_1) | instid1(VALU_DEP_2)
	v_sub_nc_u32_e32 v27, 0x70, v23
	v_cmp_gt_u32_e32 vcc_lo, 0x71, v23
	v_dual_cndmask_b32 v27, 0, v27 :: v_dual_and_b32 v26, 0x7fffff, v16
	s_delay_alu instid0(VALU_DEP_1) | instskip(SKIP_2) | instid1(VALU_DEP_4)
	v_or_b32_e32 v36, 0x800000, v26
	v_cmp_eq_u32_e32 vcc_lo, 0, v23
	v_add_nc_u32_e32 v23, 0xffffff91, v23
	v_cndmask_b32_e64 v27, v27, 0x6f, vcc_lo
	s_delay_alu instid0(VALU_DEP_4) | instskip(NEXT) | instid1(VALU_DEP_3)
	v_cndmask_b32_e32 v26, v36, v26, vcc_lo
	v_cndmask_b32_e64 v23, v23, 0xffffff92, vcc_lo
	s_delay_alu instid0(VALU_DEP_3) | instskip(NEXT) | instid1(VALU_DEP_3)
	v_lshl_add_u32 v36, 0x200000, v27, -1
	v_lshrrev_b32_e32 v37, v27, v26
	v_lshlrev_b32_e64 v39, v27, 0x100000
	s_delay_alu instid0(VALU_DEP_4) | instskip(NEXT) | instid1(VALU_DEP_4)
	v_add_nc_u32_e32 v27, v27, v23
	v_and_b32_e32 v26, v36, v26
	s_delay_alu instid0(VALU_DEP_4) | instskip(NEXT) | instid1(VALU_DEP_2)
	v_bfe_u32 v38, v37, 21, 1
	v_cmp_eq_u32_e64 s13, v26, v39
	s_delay_alu instid0(VALU_DEP_2) | instskip(NEXT) | instid1(VALU_DEP_1)
	v_add_nc_u32_e32 v36, -1, v38
	v_cndmask_b32_e64 v26, 0, v36, s13
	v_lshrrev_b32_e32 v36, 23, v37
	s_mov_b32 s13, exec_lo
	s_delay_alu instid0(VALU_DEP_2) | instskip(NEXT) | instid1(VALU_DEP_2)
	v_add_nc_u32_e32 v26, v26, v37
	v_xor_b32_e32 v36, 1, v36
	s_delay_alu instid0(VALU_DEP_2) | instskip(NEXT) | instid1(VALU_DEP_1)
	v_and_b32_e32 v23, 0x1fffff, v26
	v_add_nc_u32_e32 v26, v23, v37
                                        ; implicit-def: $vgpr23
	s_delay_alu instid0(VALU_DEP_3)
	v_cmpx_ne_u32_e64 v27, v36
	s_xor_b32 s13, exec_lo, s13
; %bb.11677:                            ;   in Loop: Header=BB6_11312 Depth=3
	s_delay_alu instid0(VALU_DEP_2) | instskip(SKIP_2) | instid1(VALU_DEP_2)
	v_cmp_lt_u32_e32 vcc_lo, 0xffffff, v26
	v_sub_nc_u32_e32 v23, v27, v36
	v_cndmask_b32_e64 v27, 0, 1, vcc_lo
	v_add_co_ci_u32_e32 v23, vcc_lo, 0, v23, vcc_lo
	s_delay_alu instid0(VALU_DEP_2)
	v_lshrrev_b32_e32 v26, v27, v26
; %bb.11678:                            ;   in Loop: Header=BB6_11312 Depth=3
	s_and_not1_saveexec_b32 s13, s13
; %bb.11679:                            ;   in Loop: Header=BB6_11312 Depth=3
	s_delay_alu instid0(VALU_DEP_1)
	v_bfe_u32 v23, v26, 23, 1
; %bb.11680:                            ;   in Loop: Header=BB6_11312 Depth=3
	s_or_b32 exec_lo, exec_lo, s13
	v_lshrrev_b32_e32 v26, 21, v26
	s_delay_alu instid0(VALU_DEP_2) | instskip(SKIP_2) | instid1(VALU_DEP_2)
	v_cmp_gt_i32_e32 vcc_lo, 32, v23
	v_min_i32_e32 v27, 31, v23
	v_lshrrev_b32_e32 v16, 24, v16
	v_dual_cndmask_b32 v26, 3, v26 :: v_dual_lshlrev_b32 v27, 2, v27
	s_delay_alu instid0(VALU_DEP_2) | instskip(NEXT) | instid1(VALU_DEP_2)
	v_and_b32_e32 v16, 0x80, v16
	v_or_b32_e32 v23, v23, v26
	s_delay_alu instid0(VALU_DEP_1) | instskip(SKIP_1) | instid1(VALU_DEP_1)
	v_cmp_ne_u32_e32 vcc_lo, 0, v23
	v_and_b32_e32 v36, 3, v26
	v_or3_b32 v16, v27, v16, v36
	s_delay_alu instid0(VALU_DEP_1)
	v_cndmask_b32_e32 v69, 0, v16, vcc_lo
.LBB6_11681:                            ;   in Loop: Header=BB6_11312 Depth=3
	s_or_b32 exec_lo, exec_lo, s30
.LBB6_11682:                            ;   in Loop: Header=BB6_11312 Depth=3
	s_delay_alu instid0(SALU_CYCLE_1)
	s_or_b32 exec_lo, exec_lo, s17
	flat_load_u8 v16, v[8:9] offset:960 slc dlc
	s_mov_b32 s13, 0
	s_mov_b32 s30, exec_lo
                                        ; implicit-def: $sgpr17
	s_waitcnt vmcnt(0) lgkmcnt(0)
	v_cmpx_lt_i16_e32 0x7f, v16
	s_xor_b32 s30, exec_lo, s30
	s_cbranch_execnz .LBB6_12339
; %bb.11683:                            ;   in Loop: Header=BB6_11312 Depth=3
	s_or_saveexec_b32 s30, s30
	v_mov_b32_e32 v23, s17
	s_xor_b32 exec_lo, exec_lo, s30
	s_cbranch_execnz .LBB6_12342
.LBB6_11684:                            ;   in Loop: Header=BB6_11312 Depth=3
	s_or_b32 exec_lo, exec_lo, s30
	s_and_saveexec_b32 s17, s13
	s_cbranch_execz .LBB6_11686
.LBB6_11685:                            ;   in Loop: Header=BB6_11312 Depth=3
	v_and_b32_e32 v23, 0xffff, v16
	v_lshlrev_b32_e32 v16, 24, v16
	s_delay_alu instid0(VALU_DEP_2) | instskip(NEXT) | instid1(VALU_DEP_2)
	v_and_b32_e32 v26, 3, v23
	v_and_b32_e32 v16, 0x80000000, v16
	s_delay_alu instid0(VALU_DEP_2) | instskip(NEXT) | instid1(VALU_DEP_1)
	v_clz_i32_u32_e32 v27, v26
	v_min_u32_e32 v27, 32, v27
	s_delay_alu instid0(VALU_DEP_1) | instskip(SKIP_1) | instid1(VALU_DEP_2)
	v_subrev_nc_u32_e32 v36, 29, v27
	v_sub_nc_u32_e32 v27, 30, v27
	v_lshlrev_b32_e32 v36, v36, v23
	v_bfe_u32 v23, v23, 2, 5
	s_delay_alu instid0(VALU_DEP_1) | instskip(NEXT) | instid1(VALU_DEP_3)
	v_cmp_eq_u32_e32 vcc_lo, 0, v23
	v_dual_cndmask_b32 v23, v23, v27 :: v_dual_and_b32 v36, 3, v36
	s_delay_alu instid0(VALU_DEP_1) | instskip(NEXT) | instid1(VALU_DEP_2)
	v_cndmask_b32_e32 v26, v26, v36, vcc_lo
	v_lshl_add_u32 v23, v23, 23, 0x37800000
	s_delay_alu instid0(VALU_DEP_2) | instskip(NEXT) | instid1(VALU_DEP_1)
	v_lshlrev_b32_e32 v26, 21, v26
	v_or3_b32 v23, v16, v23, v26
.LBB6_11686:                            ;   in Loop: Header=BB6_11312 Depth=3
	s_or_b32 exec_lo, exec_lo, s17
	s_delay_alu instid0(VALU_DEP_1) | instskip(NEXT) | instid1(VALU_DEP_1)
	v_mul_f32_e32 v16, v17, v23
	v_and_b32_e32 v23, 0x7f800000, v16
	s_delay_alu instid0(VALU_DEP_1)
	v_cmp_ne_u32_e32 vcc_lo, 0x7f800000, v23
	v_mov_b32_e32 v23, 0x80
	s_and_saveexec_b32 s17, vcc_lo
	s_cbranch_execz .LBB6_11694
; %bb.11687:                            ;   in Loop: Header=BB6_11312 Depth=3
	v_mov_b32_e32 v23, 0
	s_mov_b32 s30, exec_lo
	v_cmpx_ne_u32_e32 0, v16
	s_cbranch_execz .LBB6_11693
; %bb.11688:                            ;   in Loop: Header=BB6_11312 Depth=3
	v_bfe_u32 v23, v16, 23, 8
	s_delay_alu instid0(VALU_DEP_1) | instskip(SKIP_1) | instid1(VALU_DEP_2)
	v_sub_nc_u32_e32 v27, 0x70, v23
	v_cmp_gt_u32_e32 vcc_lo, 0x71, v23
	v_dual_cndmask_b32 v27, 0, v27 :: v_dual_and_b32 v26, 0x7fffff, v16
	s_delay_alu instid0(VALU_DEP_1) | instskip(SKIP_2) | instid1(VALU_DEP_4)
	v_or_b32_e32 v36, 0x800000, v26
	v_cmp_eq_u32_e32 vcc_lo, 0, v23
	v_add_nc_u32_e32 v23, 0xffffff91, v23
	v_cndmask_b32_e64 v27, v27, 0x6f, vcc_lo
	s_delay_alu instid0(VALU_DEP_4) | instskip(NEXT) | instid1(VALU_DEP_3)
	v_cndmask_b32_e32 v26, v36, v26, vcc_lo
	v_cndmask_b32_e64 v23, v23, 0xffffff92, vcc_lo
	s_delay_alu instid0(VALU_DEP_3) | instskip(NEXT) | instid1(VALU_DEP_3)
	v_lshl_add_u32 v36, 0x200000, v27, -1
	v_lshrrev_b32_e32 v37, v27, v26
	v_lshlrev_b32_e64 v39, v27, 0x100000
	s_delay_alu instid0(VALU_DEP_4) | instskip(NEXT) | instid1(VALU_DEP_4)
	v_add_nc_u32_e32 v27, v27, v23
	v_and_b32_e32 v26, v36, v26
	s_delay_alu instid0(VALU_DEP_4) | instskip(NEXT) | instid1(VALU_DEP_2)
	v_bfe_u32 v38, v37, 21, 1
	v_cmp_eq_u32_e64 s13, v26, v39
	s_delay_alu instid0(VALU_DEP_2) | instskip(NEXT) | instid1(VALU_DEP_1)
	v_add_nc_u32_e32 v36, -1, v38
	v_cndmask_b32_e64 v26, 0, v36, s13
	v_lshrrev_b32_e32 v36, 23, v37
	s_mov_b32 s13, exec_lo
	s_delay_alu instid0(VALU_DEP_2) | instskip(NEXT) | instid1(VALU_DEP_2)
	v_add_nc_u32_e32 v26, v26, v37
	v_xor_b32_e32 v36, 1, v36
	s_delay_alu instid0(VALU_DEP_2) | instskip(NEXT) | instid1(VALU_DEP_1)
	v_and_b32_e32 v23, 0x1fffff, v26
	v_add_nc_u32_e32 v26, v23, v37
                                        ; implicit-def: $vgpr23
	s_delay_alu instid0(VALU_DEP_3)
	v_cmpx_ne_u32_e64 v27, v36
	s_xor_b32 s13, exec_lo, s13
; %bb.11689:                            ;   in Loop: Header=BB6_11312 Depth=3
	s_delay_alu instid0(VALU_DEP_2) | instskip(SKIP_2) | instid1(VALU_DEP_2)
	v_cmp_lt_u32_e32 vcc_lo, 0xffffff, v26
	v_sub_nc_u32_e32 v23, v27, v36
	v_cndmask_b32_e64 v27, 0, 1, vcc_lo
	v_add_co_ci_u32_e32 v23, vcc_lo, 0, v23, vcc_lo
	s_delay_alu instid0(VALU_DEP_2)
	v_lshrrev_b32_e32 v26, v27, v26
; %bb.11690:                            ;   in Loop: Header=BB6_11312 Depth=3
	s_and_not1_saveexec_b32 s13, s13
; %bb.11691:                            ;   in Loop: Header=BB6_11312 Depth=3
	s_delay_alu instid0(VALU_DEP_1)
	v_bfe_u32 v23, v26, 23, 1
; %bb.11692:                            ;   in Loop: Header=BB6_11312 Depth=3
	s_or_b32 exec_lo, exec_lo, s13
	v_lshrrev_b32_e32 v26, 21, v26
	s_delay_alu instid0(VALU_DEP_2) | instskip(SKIP_2) | instid1(VALU_DEP_2)
	v_cmp_gt_i32_e32 vcc_lo, 32, v23
	v_min_i32_e32 v27, 31, v23
	v_lshrrev_b32_e32 v16, 24, v16
	v_dual_cndmask_b32 v26, 3, v26 :: v_dual_lshlrev_b32 v27, 2, v27
	s_delay_alu instid0(VALU_DEP_2) | instskip(NEXT) | instid1(VALU_DEP_2)
	v_and_b32_e32 v16, 0x80, v16
	v_or_b32_e32 v23, v23, v26
	s_delay_alu instid0(VALU_DEP_1) | instskip(SKIP_1) | instid1(VALU_DEP_1)
	v_cmp_ne_u32_e32 vcc_lo, 0, v23
	v_and_b32_e32 v36, 3, v26
	v_or3_b32 v16, v27, v16, v36
	s_delay_alu instid0(VALU_DEP_1)
	v_cndmask_b32_e32 v23, 0, v16, vcc_lo
.LBB6_11693:                            ;   in Loop: Header=BB6_11312 Depth=3
	s_or_b32 exec_lo, exec_lo, s30
.LBB6_11694:                            ;   in Loop: Header=BB6_11312 Depth=3
	s_delay_alu instid0(SALU_CYCLE_1)
	s_or_b32 exec_lo, exec_lo, s17
	flat_load_u8 v16, v[8:9] offset:992 slc dlc
	s_mov_b32 s13, 0
	s_mov_b32 s30, exec_lo
                                        ; implicit-def: $sgpr17
	s_waitcnt vmcnt(0) lgkmcnt(0)
	v_cmpx_lt_i16_e32 0x7f, v16
	s_xor_b32 s30, exec_lo, s30
	s_cbranch_execnz .LBB6_12343
; %bb.11695:                            ;   in Loop: Header=BB6_11312 Depth=3
	s_or_saveexec_b32 s30, s30
	v_mov_b32_e32 v26, s17
	s_xor_b32 exec_lo, exec_lo, s30
	s_cbranch_execnz .LBB6_12346
.LBB6_11696:                            ;   in Loop: Header=BB6_11312 Depth=3
	s_or_b32 exec_lo, exec_lo, s30
	s_and_saveexec_b32 s17, s13
	s_cbranch_execz .LBB6_11698
.LBB6_11697:                            ;   in Loop: Header=BB6_11312 Depth=3
	v_and_b32_e32 v26, 0xffff, v16
	v_lshlrev_b32_e32 v16, 24, v16
	s_delay_alu instid0(VALU_DEP_2) | instskip(NEXT) | instid1(VALU_DEP_2)
	v_and_b32_e32 v27, 3, v26
	v_and_b32_e32 v16, 0x80000000, v16
	s_delay_alu instid0(VALU_DEP_2) | instskip(NEXT) | instid1(VALU_DEP_1)
	v_clz_i32_u32_e32 v36, v27
	v_min_u32_e32 v36, 32, v36
	s_delay_alu instid0(VALU_DEP_1) | instskip(SKIP_1) | instid1(VALU_DEP_2)
	v_subrev_nc_u32_e32 v37, 29, v36
	v_sub_nc_u32_e32 v36, 30, v36
	v_lshlrev_b32_e32 v37, v37, v26
	v_bfe_u32 v26, v26, 2, 5
	s_delay_alu instid0(VALU_DEP_2) | instskip(NEXT) | instid1(VALU_DEP_2)
	v_and_b32_e32 v37, 3, v37
	v_cmp_eq_u32_e32 vcc_lo, 0, v26
	s_delay_alu instid0(VALU_DEP_2) | instskip(NEXT) | instid1(VALU_DEP_1)
	v_dual_cndmask_b32 v26, v26, v36 :: v_dual_cndmask_b32 v27, v27, v37
	v_lshl_add_u32 v26, v26, 23, 0x37800000
	s_delay_alu instid0(VALU_DEP_2) | instskip(NEXT) | instid1(VALU_DEP_1)
	v_lshlrev_b32_e32 v27, 21, v27
	v_or3_b32 v26, v16, v26, v27
.LBB6_11698:                            ;   in Loop: Header=BB6_11312 Depth=3
	s_or_b32 exec_lo, exec_lo, s17
	s_delay_alu instid0(VALU_DEP_1) | instskip(NEXT) | instid1(VALU_DEP_1)
	v_mul_f32_e32 v16, v17, v26
	v_and_b32_e32 v17, 0x7f800000, v16
	s_delay_alu instid0(VALU_DEP_1)
	v_cmp_ne_u32_e32 vcc_lo, 0x7f800000, v17
	v_mov_b32_e32 v17, 0x80
	s_and_saveexec_b32 s17, vcc_lo
	s_cbranch_execz .LBB6_11706
; %bb.11699:                            ;   in Loop: Header=BB6_11312 Depth=3
	v_mov_b32_e32 v17, 0
	s_mov_b32 s30, exec_lo
	v_cmpx_ne_u32_e32 0, v16
	s_cbranch_execz .LBB6_11705
; %bb.11700:                            ;   in Loop: Header=BB6_11312 Depth=3
	v_bfe_u32 v17, v16, 23, 8
	s_delay_alu instid0(VALU_DEP_1) | instskip(SKIP_1) | instid1(VALU_DEP_2)
	v_sub_nc_u32_e32 v27, 0x70, v17
	v_cmp_gt_u32_e32 vcc_lo, 0x71, v17
	v_dual_cndmask_b32 v27, 0, v27 :: v_dual_and_b32 v26, 0x7fffff, v16
	s_delay_alu instid0(VALU_DEP_1) | instskip(SKIP_2) | instid1(VALU_DEP_4)
	v_or_b32_e32 v36, 0x800000, v26
	v_cmp_eq_u32_e32 vcc_lo, 0, v17
	v_add_nc_u32_e32 v17, 0xffffff91, v17
	v_cndmask_b32_e64 v27, v27, 0x6f, vcc_lo
	s_delay_alu instid0(VALU_DEP_4) | instskip(NEXT) | instid1(VALU_DEP_3)
	v_cndmask_b32_e32 v26, v36, v26, vcc_lo
	v_cndmask_b32_e64 v17, v17, 0xffffff92, vcc_lo
	s_delay_alu instid0(VALU_DEP_3) | instskip(NEXT) | instid1(VALU_DEP_3)
	v_lshl_add_u32 v36, 0x200000, v27, -1
	v_lshrrev_b32_e32 v37, v27, v26
	v_lshlrev_b32_e64 v39, v27, 0x100000
	s_delay_alu instid0(VALU_DEP_4) | instskip(NEXT) | instid1(VALU_DEP_4)
	v_add_nc_u32_e32 v27, v27, v17
	v_and_b32_e32 v26, v36, v26
	s_delay_alu instid0(VALU_DEP_4) | instskip(NEXT) | instid1(VALU_DEP_2)
	v_bfe_u32 v38, v37, 21, 1
	v_cmp_eq_u32_e64 s13, v26, v39
	s_delay_alu instid0(VALU_DEP_2) | instskip(NEXT) | instid1(VALU_DEP_1)
	v_add_nc_u32_e32 v36, -1, v38
	v_cndmask_b32_e64 v26, 0, v36, s13
	v_lshrrev_b32_e32 v36, 23, v37
	s_mov_b32 s13, exec_lo
	s_delay_alu instid0(VALU_DEP_2) | instskip(NEXT) | instid1(VALU_DEP_2)
	v_add_nc_u32_e32 v26, v26, v37
	v_xor_b32_e32 v36, 1, v36
	s_delay_alu instid0(VALU_DEP_2) | instskip(NEXT) | instid1(VALU_DEP_1)
	v_and_b32_e32 v17, 0x1fffff, v26
	v_add_nc_u32_e32 v26, v17, v37
                                        ; implicit-def: $vgpr17
	s_delay_alu instid0(VALU_DEP_3)
	v_cmpx_ne_u32_e64 v27, v36
	s_xor_b32 s13, exec_lo, s13
; %bb.11701:                            ;   in Loop: Header=BB6_11312 Depth=3
	s_delay_alu instid0(VALU_DEP_2) | instskip(SKIP_2) | instid1(VALU_DEP_2)
	v_cmp_lt_u32_e32 vcc_lo, 0xffffff, v26
	v_sub_nc_u32_e32 v17, v27, v36
	v_cndmask_b32_e64 v27, 0, 1, vcc_lo
	v_add_co_ci_u32_e32 v17, vcc_lo, 0, v17, vcc_lo
	s_delay_alu instid0(VALU_DEP_2)
	v_lshrrev_b32_e32 v26, v27, v26
; %bb.11702:                            ;   in Loop: Header=BB6_11312 Depth=3
	s_and_not1_saveexec_b32 s13, s13
; %bb.11703:                            ;   in Loop: Header=BB6_11312 Depth=3
	s_delay_alu instid0(VALU_DEP_1)
	v_bfe_u32 v17, v26, 23, 1
; %bb.11704:                            ;   in Loop: Header=BB6_11312 Depth=3
	s_or_b32 exec_lo, exec_lo, s13
	v_lshrrev_b32_e32 v26, 21, v26
	s_delay_alu instid0(VALU_DEP_2) | instskip(SKIP_2) | instid1(VALU_DEP_2)
	v_cmp_gt_i32_e32 vcc_lo, 32, v17
	v_min_i32_e32 v27, 31, v17
	v_lshrrev_b32_e32 v16, 24, v16
	v_dual_cndmask_b32 v26, 3, v26 :: v_dual_lshlrev_b32 v27, 2, v27
	s_delay_alu instid0(VALU_DEP_2) | instskip(NEXT) | instid1(VALU_DEP_2)
	v_and_b32_e32 v16, 0x80, v16
	v_or_b32_e32 v17, v17, v26
	s_delay_alu instid0(VALU_DEP_1) | instskip(SKIP_1) | instid1(VALU_DEP_1)
	v_cmp_ne_u32_e32 vcc_lo, 0, v17
	v_and_b32_e32 v36, 3, v26
	v_or3_b32 v16, v27, v16, v36
	s_delay_alu instid0(VALU_DEP_1)
	v_cndmask_b32_e32 v17, 0, v16, vcc_lo
.LBB6_11705:                            ;   in Loop: Header=BB6_11312 Depth=3
	s_or_b32 exec_lo, exec_lo, s30
.LBB6_11706:                            ;   in Loop: Header=BB6_11312 Depth=3
	s_delay_alu instid0(SALU_CYCLE_1)
	s_or_b32 exec_lo, exec_lo, s17
	s_clause 0x1f
	flat_load_u8 v48, v[10:11] slc dlc
	flat_load_u8 v39, v[10:11] offset:32 slc dlc
	flat_load_u8 v38, v[10:11] offset:64 slc dlc
	;; [unrolled: 1-line block ×31, first 2 shown]
	v_and_b32_e32 v52, 0xff, v22
	s_mov_b32 s13, 0
	s_mov_b32 s30, exec_lo
                                        ; implicit-def: $sgpr17
	s_delay_alu instid0(VALU_DEP_1)
	v_cmpx_lt_i16_e32 0x7f, v52
	s_xor_b32 s30, exec_lo, s30
	s_cbranch_execnz .LBB6_12347
; %bb.11707:                            ;   in Loop: Header=BB6_11312 Depth=3
	s_or_saveexec_b32 s30, s30
	v_mov_b32_e32 v49, s17
	s_xor_b32 exec_lo, exec_lo, s30
	s_cbranch_execnz .LBB6_12350
.LBB6_11708:                            ;   in Loop: Header=BB6_11312 Depth=3
	s_or_b32 exec_lo, exec_lo, s30
	s_and_saveexec_b32 s17, s13
	s_cbranch_execz .LBB6_11710
.LBB6_11709:                            ;   in Loop: Header=BB6_11312 Depth=3
	v_and_b32_e32 v49, 3, v22
	v_lshrrev_b16 v52, 2, v22
	s_delay_alu instid0(VALU_DEP_2) | instskip(NEXT) | instid1(VALU_DEP_1)
	v_clz_i32_u32_e32 v50, v49
	v_min_u32_e32 v50, 32, v50
	s_delay_alu instid0(VALU_DEP_1) | instskip(SKIP_1) | instid1(VALU_DEP_2)
	v_subrev_nc_u32_e32 v51, 29, v50
	v_sub_nc_u32_e32 v50, 30, v50
	v_lshlrev_b32_e32 v51, v51, v22
	v_lshlrev_b32_e32 v22, 24, v22
	s_delay_alu instid0(VALU_DEP_2) | instskip(SKIP_1) | instid1(VALU_DEP_3)
	v_and_b32_e32 v51, 3, v51
	v_and_b32_e32 v52, 31, v52
	;; [unrolled: 1-line block ×3, first 2 shown]
	s_delay_alu instid0(VALU_DEP_2) | instskip(NEXT) | instid1(VALU_DEP_4)
	v_cmp_eq_u32_e32 vcc_lo, 0, v52
	v_dual_cndmask_b32 v49, v49, v51 :: v_dual_cndmask_b32 v50, v52, v50
	s_delay_alu instid0(VALU_DEP_1) | instskip(NEXT) | instid1(VALU_DEP_2)
	v_lshlrev_b32_e32 v49, 21, v49
	v_lshl_add_u32 v50, v50, 23, 0x37800000
	s_delay_alu instid0(VALU_DEP_1)
	v_or3_b32 v49, v22, v50, v49
.LBB6_11710:                            ;   in Loop: Header=BB6_11312 Depth=3
	s_or_b32 exec_lo, exec_lo, s17
	s_waitcnt vmcnt(31) lgkmcnt(31)
	v_and_b32_e32 v52, 0xff, v48
	s_mov_b32 s13, 0
	s_mov_b32 s30, exec_lo
                                        ; implicit-def: $sgpr17
	s_delay_alu instid0(VALU_DEP_1)
	v_cmpx_lt_i16_e32 0x7f, v52
	s_xor_b32 s30, exec_lo, s30
	s_cbranch_execnz .LBB6_12351
; %bb.11711:                            ;   in Loop: Header=BB6_11312 Depth=3
	s_or_saveexec_b32 s30, s30
	v_mov_b32_e32 v22, s17
	s_xor_b32 exec_lo, exec_lo, s30
	s_cbranch_execnz .LBB6_12354
.LBB6_11712:                            ;   in Loop: Header=BB6_11312 Depth=3
	s_or_b32 exec_lo, exec_lo, s30
	s_and_saveexec_b32 s17, s13
	s_cbranch_execz .LBB6_11714
.LBB6_11713:                            ;   in Loop: Header=BB6_11312 Depth=3
	v_and_b32_e32 v22, 3, v48
	v_lshrrev_b16 v52, 2, v48
	s_delay_alu instid0(VALU_DEP_2) | instskip(NEXT) | instid1(VALU_DEP_2)
	v_clz_i32_u32_e32 v50, v22
	v_and_b32_e32 v52, 31, v52
	s_delay_alu instid0(VALU_DEP_2) | instskip(NEXT) | instid1(VALU_DEP_2)
	v_min_u32_e32 v50, 32, v50
	v_cmp_eq_u32_e32 vcc_lo, 0, v52
	s_delay_alu instid0(VALU_DEP_2) | instskip(SKIP_1) | instid1(VALU_DEP_1)
	v_subrev_nc_u32_e32 v51, 29, v50
	v_sub_nc_u32_e32 v50, 30, v50
	v_dual_cndmask_b32 v50, v52, v50 :: v_dual_lshlrev_b32 v51, v51, v48
	v_lshlrev_b32_e32 v48, 24, v48
	s_delay_alu instid0(VALU_DEP_2) | instskip(NEXT) | instid1(VALU_DEP_3)
	v_and_b32_e32 v51, 3, v51
	v_lshl_add_u32 v50, v50, 23, 0x37800000
	s_delay_alu instid0(VALU_DEP_3) | instskip(NEXT) | instid1(VALU_DEP_3)
	v_and_b32_e32 v48, 0x80000000, v48
	v_cndmask_b32_e32 v22, v22, v51, vcc_lo
	s_delay_alu instid0(VALU_DEP_1) | instskip(NEXT) | instid1(VALU_DEP_1)
	v_lshlrev_b32_e32 v22, 21, v22
	v_or3_b32 v22, v48, v50, v22
.LBB6_11714:                            ;   in Loop: Header=BB6_11312 Depth=3
	s_or_b32 exec_lo, exec_lo, s17
	s_delay_alu instid0(VALU_DEP_1) | instskip(NEXT) | instid1(VALU_DEP_1)
	v_add_f32_e32 v48, v49, v22
	v_and_b32_e32 v22, 0x7f800000, v48
	s_delay_alu instid0(VALU_DEP_1)
	v_cmp_ne_u32_e32 vcc_lo, 0x7f800000, v22
	v_mov_b32_e32 v22, 0x80
	s_and_saveexec_b32 s17, vcc_lo
	s_cbranch_execz .LBB6_11722
; %bb.11715:                            ;   in Loop: Header=BB6_11312 Depth=3
	v_mov_b32_e32 v22, 0
	s_mov_b32 s30, exec_lo
	v_cmpx_ne_u32_e32 0, v48
	s_cbranch_execz .LBB6_11721
; %bb.11716:                            ;   in Loop: Header=BB6_11312 Depth=3
	v_bfe_u32 v22, v48, 23, 8
	s_delay_alu instid0(VALU_DEP_1) | instskip(SKIP_1) | instid1(VALU_DEP_2)
	v_sub_nc_u32_e32 v50, 0x70, v22
	v_cmp_gt_u32_e32 vcc_lo, 0x71, v22
	v_dual_cndmask_b32 v50, 0, v50 :: v_dual_and_b32 v49, 0x7fffff, v48
	s_delay_alu instid0(VALU_DEP_1) | instskip(SKIP_2) | instid1(VALU_DEP_4)
	v_or_b32_e32 v51, 0x800000, v49
	v_cmp_eq_u32_e32 vcc_lo, 0, v22
	v_add_nc_u32_e32 v22, 0xffffff91, v22
	v_cndmask_b32_e64 v50, v50, 0x6f, vcc_lo
	s_delay_alu instid0(VALU_DEP_4) | instskip(NEXT) | instid1(VALU_DEP_3)
	v_cndmask_b32_e32 v49, v51, v49, vcc_lo
	v_cndmask_b32_e64 v22, v22, 0xffffff92, vcc_lo
	s_delay_alu instid0(VALU_DEP_3) | instskip(NEXT) | instid1(VALU_DEP_3)
	v_lshl_add_u32 v52, 0x200000, v50, -1
	v_lshrrev_b32_e32 v51, v50, v49
	v_lshlrev_b32_e64 v54, v50, 0x100000
	s_delay_alu instid0(VALU_DEP_3) | instskip(NEXT) | instid1(VALU_DEP_3)
	v_and_b32_e32 v49, v52, v49
	v_bfe_u32 v53, v51, 21, 1
	s_delay_alu instid0(VALU_DEP_2) | instskip(NEXT) | instid1(VALU_DEP_2)
	v_cmp_eq_u32_e64 s13, v49, v54
	v_add_nc_u32_e32 v52, -1, v53
	v_lshrrev_b32_e32 v53, 23, v51
	s_delay_alu instid0(VALU_DEP_2) | instskip(SKIP_1) | instid1(VALU_DEP_3)
	v_cndmask_b32_e64 v49, 0, v52, s13
	v_add_nc_u32_e32 v52, v50, v22
	v_xor_b32_e32 v53, 1, v53
	s_mov_b32 s13, exec_lo
	s_delay_alu instid0(VALU_DEP_3) | instskip(NEXT) | instid1(VALU_DEP_1)
	v_add_nc_u32_e32 v49, v49, v51
	v_and_b32_e32 v22, 0x1fffff, v49
	s_delay_alu instid0(VALU_DEP_1)
	v_add_nc_u32_e32 v49, v22, v51
                                        ; implicit-def: $vgpr22
	v_cmpx_ne_u32_e64 v52, v53
	s_xor_b32 s13, exec_lo, s13
; %bb.11717:                            ;   in Loop: Header=BB6_11312 Depth=3
	s_delay_alu instid0(VALU_DEP_2) | instskip(SKIP_2) | instid1(VALU_DEP_2)
	v_cmp_lt_u32_e32 vcc_lo, 0xffffff, v49
	v_sub_nc_u32_e32 v22, v52, v53
	v_cndmask_b32_e64 v50, 0, 1, vcc_lo
	v_add_co_ci_u32_e32 v22, vcc_lo, 0, v22, vcc_lo
	s_delay_alu instid0(VALU_DEP_2)
	v_lshrrev_b32_e32 v49, v50, v49
; %bb.11718:                            ;   in Loop: Header=BB6_11312 Depth=3
	s_and_not1_saveexec_b32 s13, s13
; %bb.11719:                            ;   in Loop: Header=BB6_11312 Depth=3
	s_delay_alu instid0(VALU_DEP_1)
	v_bfe_u32 v22, v49, 23, 1
; %bb.11720:                            ;   in Loop: Header=BB6_11312 Depth=3
	s_or_b32 exec_lo, exec_lo, s13
	v_lshrrev_b32_e32 v49, 21, v49
	s_delay_alu instid0(VALU_DEP_2) | instskip(SKIP_2) | instid1(VALU_DEP_2)
	v_cmp_gt_i32_e32 vcc_lo, 32, v22
	v_lshrrev_b32_e32 v48, 24, v48
	v_min_i32_e32 v50, 31, v22
	v_dual_cndmask_b32 v49, 3, v49 :: v_dual_and_b32 v48, 0x80, v48
	s_delay_alu instid0(VALU_DEP_2) | instskip(NEXT) | instid1(VALU_DEP_2)
	v_lshlrev_b32_e32 v50, 2, v50
	v_or_b32_e32 v22, v22, v49
	s_delay_alu instid0(VALU_DEP_1) | instskip(SKIP_1) | instid1(VALU_DEP_1)
	v_cmp_ne_u32_e32 vcc_lo, 0, v22
	v_and_b32_e32 v51, 3, v49
	v_or3_b32 v48, v50, v48, v51
	s_delay_alu instid0(VALU_DEP_1)
	v_cndmask_b32_e32 v22, 0, v48, vcc_lo
.LBB6_11721:                            ;   in Loop: Header=BB6_11312 Depth=3
	s_or_b32 exec_lo, exec_lo, s30
.LBB6_11722:                            ;   in Loop: Header=BB6_11312 Depth=3
	s_delay_alu instid0(SALU_CYCLE_1) | instskip(SKIP_3) | instid1(VALU_DEP_1)
	s_or_b32 exec_lo, exec_lo, s17
	v_and_b32_e32 v49, 0xff, v81
	s_mov_b32 s13, 0
	s_mov_b32 s30, exec_lo
                                        ; implicit-def: $sgpr17
	v_cmpx_lt_i16_e32 0x7f, v49
	s_xor_b32 s30, exec_lo, s30
	s_cbranch_execnz .LBB6_12355
; %bb.11723:                            ;   in Loop: Header=BB6_11312 Depth=3
	s_or_saveexec_b32 s30, s30
	v_mov_b32_e32 v48, s17
	s_xor_b32 exec_lo, exec_lo, s30
	s_cbranch_execnz .LBB6_12358
.LBB6_11724:                            ;   in Loop: Header=BB6_11312 Depth=3
	s_or_b32 exec_lo, exec_lo, s30
	s_and_saveexec_b32 s17, s13
	s_cbranch_execz .LBB6_11726
.LBB6_11725:                            ;   in Loop: Header=BB6_11312 Depth=3
	v_and_b32_e32 v48, 3, v81
	v_lshrrev_b16 v51, 2, v81
	v_lshlrev_b32_e32 v52, 24, v81
	s_delay_alu instid0(VALU_DEP_3) | instskip(NEXT) | instid1(VALU_DEP_1)
	v_clz_i32_u32_e32 v49, v48
	v_min_u32_e32 v49, 32, v49
	s_delay_alu instid0(VALU_DEP_1) | instskip(SKIP_1) | instid1(VALU_DEP_2)
	v_subrev_nc_u32_e32 v50, 29, v49
	v_sub_nc_u32_e32 v49, 30, v49
	v_lshlrev_b32_e32 v50, v50, v81
	s_delay_alu instid0(VALU_DEP_1) | instskip(SKIP_1) | instid1(VALU_DEP_1)
	v_and_b32_e32 v50, 3, v50
	v_and_b32_e32 v51, 31, v51
	v_cmp_eq_u32_e32 vcc_lo, 0, v51
	s_delay_alu instid0(VALU_DEP_3) | instskip(SKIP_1) | instid1(VALU_DEP_2)
	v_dual_cndmask_b32 v48, v48, v50 :: v_dual_cndmask_b32 v49, v51, v49
	v_and_b32_e32 v50, 0x80000000, v52
	v_lshlrev_b32_e32 v48, 21, v48
	s_delay_alu instid0(VALU_DEP_3) | instskip(NEXT) | instid1(VALU_DEP_1)
	v_lshl_add_u32 v49, v49, 23, 0x37800000
	v_or3_b32 v48, v50, v49, v48
.LBB6_11726:                            ;   in Loop: Header=BB6_11312 Depth=3
	s_or_b32 exec_lo, exec_lo, s17
	s_waitcnt vmcnt(30) lgkmcnt(30)
	v_and_b32_e32 v52, 0xff, v39
	s_mov_b32 s13, 0
	s_mov_b32 s30, exec_lo
                                        ; implicit-def: $sgpr17
	s_delay_alu instid0(VALU_DEP_1)
	v_cmpx_lt_i16_e32 0x7f, v52
	s_xor_b32 s30, exec_lo, s30
	s_cbranch_execnz .LBB6_12359
; %bb.11727:                            ;   in Loop: Header=BB6_11312 Depth=3
	s_or_saveexec_b32 s30, s30
	v_mov_b32_e32 v49, s17
	s_xor_b32 exec_lo, exec_lo, s30
	s_cbranch_execnz .LBB6_12362
.LBB6_11728:                            ;   in Loop: Header=BB6_11312 Depth=3
	s_or_b32 exec_lo, exec_lo, s30
	s_and_saveexec_b32 s17, s13
	s_cbranch_execz .LBB6_11730
.LBB6_11729:                            ;   in Loop: Header=BB6_11312 Depth=3
	v_lshrrev_b16 v52, 2, v39
	s_delay_alu instid0(VALU_DEP_1) | instskip(NEXT) | instid1(VALU_DEP_1)
	v_and_b32_e32 v52, 31, v52
	v_cmp_eq_u32_e32 vcc_lo, 0, v52
	v_and_b32_e32 v49, 3, v39
	s_delay_alu instid0(VALU_DEP_1) | instskip(NEXT) | instid1(VALU_DEP_1)
	v_clz_i32_u32_e32 v50, v49
	v_min_u32_e32 v50, 32, v50
	s_delay_alu instid0(VALU_DEP_1) | instskip(SKIP_1) | instid1(VALU_DEP_1)
	v_subrev_nc_u32_e32 v51, 29, v50
	v_sub_nc_u32_e32 v50, 30, v50
	v_dual_cndmask_b32 v50, v52, v50 :: v_dual_lshlrev_b32 v51, v51, v39
	v_lshlrev_b32_e32 v39, 24, v39
	s_delay_alu instid0(VALU_DEP_2) | instskip(NEXT) | instid1(VALU_DEP_3)
	v_and_b32_e32 v51, 3, v51
	v_lshl_add_u32 v50, v50, 23, 0x37800000
	s_delay_alu instid0(VALU_DEP_3) | instskip(NEXT) | instid1(VALU_DEP_3)
	v_and_b32_e32 v39, 0x80000000, v39
	v_cndmask_b32_e32 v49, v49, v51, vcc_lo
	s_delay_alu instid0(VALU_DEP_1) | instskip(NEXT) | instid1(VALU_DEP_1)
	v_lshlrev_b32_e32 v49, 21, v49
	v_or3_b32 v49, v39, v50, v49
.LBB6_11730:                            ;   in Loop: Header=BB6_11312 Depth=3
	s_or_b32 exec_lo, exec_lo, s17
	s_delay_alu instid0(VALU_DEP_1) | instskip(SKIP_2) | instid1(VALU_DEP_2)
	v_add_f32_e32 v39, v48, v49
	v_mov_b32_e32 v81, 0x80
	s_mov_b32 s17, exec_lo
	v_and_b32_e32 v48, 0x7f800000, v39
	s_delay_alu instid0(VALU_DEP_1)
	v_cmpx_ne_u32_e32 0x7f800000, v48
	s_cbranch_execz .LBB6_11738
; %bb.11731:                            ;   in Loop: Header=BB6_11312 Depth=3
	v_mov_b32_e32 v81, 0
	s_mov_b32 s30, exec_lo
	v_cmpx_ne_u32_e32 0, v39
	s_cbranch_execz .LBB6_11737
; %bb.11732:                            ;   in Loop: Header=BB6_11312 Depth=3
	v_bfe_u32 v48, v39, 23, 8
	s_delay_alu instid0(VALU_DEP_1) | instskip(SKIP_1) | instid1(VALU_DEP_2)
	v_sub_nc_u32_e32 v50, 0x70, v48
	v_cmp_gt_u32_e32 vcc_lo, 0x71, v48
	v_dual_cndmask_b32 v50, 0, v50 :: v_dual_and_b32 v49, 0x7fffff, v39
	s_delay_alu instid0(VALU_DEP_1) | instskip(SKIP_2) | instid1(VALU_DEP_4)
	v_or_b32_e32 v51, 0x800000, v49
	v_cmp_eq_u32_e32 vcc_lo, 0, v48
	v_add_nc_u32_e32 v48, 0xffffff91, v48
	v_cndmask_b32_e64 v50, v50, 0x6f, vcc_lo
	s_delay_alu instid0(VALU_DEP_4) | instskip(NEXT) | instid1(VALU_DEP_3)
	v_cndmask_b32_e32 v49, v51, v49, vcc_lo
	v_cndmask_b32_e64 v48, v48, 0xffffff92, vcc_lo
	s_delay_alu instid0(VALU_DEP_3) | instskip(NEXT) | instid1(VALU_DEP_3)
	v_lshl_add_u32 v52, 0x200000, v50, -1
	v_lshrrev_b32_e32 v51, v50, v49
	v_lshlrev_b32_e64 v54, v50, 0x100000
	s_delay_alu instid0(VALU_DEP_3) | instskip(NEXT) | instid1(VALU_DEP_3)
	v_and_b32_e32 v49, v52, v49
	v_bfe_u32 v53, v51, 21, 1
	s_delay_alu instid0(VALU_DEP_2) | instskip(NEXT) | instid1(VALU_DEP_2)
	v_cmp_eq_u32_e64 s13, v49, v54
	v_add_nc_u32_e32 v52, -1, v53
	v_lshrrev_b32_e32 v53, 23, v51
	s_delay_alu instid0(VALU_DEP_2) | instskip(SKIP_1) | instid1(VALU_DEP_3)
	v_cndmask_b32_e64 v49, 0, v52, s13
	v_add_nc_u32_e32 v52, v50, v48
	v_xor_b32_e32 v53, 1, v53
	s_mov_b32 s13, exec_lo
	s_delay_alu instid0(VALU_DEP_3) | instskip(NEXT) | instid1(VALU_DEP_1)
	v_add_nc_u32_e32 v49, v49, v51
	v_and_b32_e32 v48, 0x1fffff, v49
	s_delay_alu instid0(VALU_DEP_1)
	v_add_nc_u32_e32 v49, v48, v51
                                        ; implicit-def: $vgpr48
	v_cmpx_ne_u32_e64 v52, v53
	s_xor_b32 s13, exec_lo, s13
; %bb.11733:                            ;   in Loop: Header=BB6_11312 Depth=3
	s_delay_alu instid0(VALU_DEP_2) | instskip(SKIP_2) | instid1(VALU_DEP_2)
	v_cmp_lt_u32_e32 vcc_lo, 0xffffff, v49
	v_sub_nc_u32_e32 v48, v52, v53
	v_cndmask_b32_e64 v50, 0, 1, vcc_lo
	v_add_co_ci_u32_e32 v48, vcc_lo, 0, v48, vcc_lo
	s_delay_alu instid0(VALU_DEP_2)
	v_lshrrev_b32_e32 v49, v50, v49
; %bb.11734:                            ;   in Loop: Header=BB6_11312 Depth=3
	s_and_not1_saveexec_b32 s13, s13
; %bb.11735:                            ;   in Loop: Header=BB6_11312 Depth=3
	s_delay_alu instid0(VALU_DEP_1)
	v_bfe_u32 v48, v49, 23, 1
; %bb.11736:                            ;   in Loop: Header=BB6_11312 Depth=3
	s_or_b32 exec_lo, exec_lo, s13
	v_lshrrev_b32_e32 v49, 21, v49
	s_delay_alu instid0(VALU_DEP_2) | instskip(SKIP_2) | instid1(VALU_DEP_4)
	v_cmp_gt_i32_e32 vcc_lo, 32, v48
	v_lshrrev_b32_e32 v39, 24, v39
	v_min_i32_e32 v50, 31, v48
	v_cndmask_b32_e32 v49, 3, v49, vcc_lo
	s_delay_alu instid0(VALU_DEP_3) | instskip(NEXT) | instid1(VALU_DEP_3)
	v_and_b32_e32 v39, 0x80, v39
	v_lshlrev_b32_e32 v50, 2, v50
	s_delay_alu instid0(VALU_DEP_3) | instskip(SKIP_1) | instid1(VALU_DEP_2)
	v_and_b32_e32 v51, 3, v49
	v_or_b32_e32 v48, v48, v49
	v_or3_b32 v39, v50, v39, v51
	s_delay_alu instid0(VALU_DEP_2) | instskip(NEXT) | instid1(VALU_DEP_2)
	v_cmp_ne_u32_e32 vcc_lo, 0, v48
	v_cndmask_b32_e32 v81, 0, v39, vcc_lo
.LBB6_11737:                            ;   in Loop: Header=BB6_11312 Depth=3
	s_or_b32 exec_lo, exec_lo, s30
.LBB6_11738:                            ;   in Loop: Header=BB6_11312 Depth=3
	s_delay_alu instid0(SALU_CYCLE_1) | instskip(SKIP_3) | instid1(VALU_DEP_1)
	s_or_b32 exec_lo, exec_lo, s17
	v_and_b32_e32 v48, 0xff, v160
	s_mov_b32 s13, 0
	s_mov_b32 s30, exec_lo
                                        ; implicit-def: $sgpr17
	v_cmpx_lt_i16_e32 0x7f, v48
	s_xor_b32 s30, exec_lo, s30
	s_cbranch_execnz .LBB6_12363
; %bb.11739:                            ;   in Loop: Header=BB6_11312 Depth=3
	s_or_saveexec_b32 s30, s30
	v_mov_b32_e32 v39, s17
	s_xor_b32 exec_lo, exec_lo, s30
	s_cbranch_execnz .LBB6_12366
.LBB6_11740:                            ;   in Loop: Header=BB6_11312 Depth=3
	s_or_b32 exec_lo, exec_lo, s30
	s_and_saveexec_b32 s17, s13
	s_cbranch_execz .LBB6_11742
.LBB6_11741:                            ;   in Loop: Header=BB6_11312 Depth=3
	v_and_b32_e32 v39, 3, v160
	v_lshrrev_b16 v50, 2, v160
	v_lshlrev_b32_e32 v51, 24, v160
	s_delay_alu instid0(VALU_DEP_3) | instskip(NEXT) | instid1(VALU_DEP_1)
	v_clz_i32_u32_e32 v48, v39
	v_min_u32_e32 v48, 32, v48
	s_delay_alu instid0(VALU_DEP_1) | instskip(SKIP_1) | instid1(VALU_DEP_2)
	v_subrev_nc_u32_e32 v49, 29, v48
	v_sub_nc_u32_e32 v48, 30, v48
	v_lshlrev_b32_e32 v49, v49, v160
	s_delay_alu instid0(VALU_DEP_1) | instskip(SKIP_1) | instid1(VALU_DEP_1)
	v_and_b32_e32 v49, 3, v49
	v_and_b32_e32 v50, 31, v50
	v_cmp_eq_u32_e32 vcc_lo, 0, v50
	s_delay_alu instid0(VALU_DEP_3) | instskip(SKIP_1) | instid1(VALU_DEP_2)
	v_dual_cndmask_b32 v39, v39, v49 :: v_dual_cndmask_b32 v48, v50, v48
	v_and_b32_e32 v49, 0x80000000, v51
	v_lshlrev_b32_e32 v39, 21, v39
	s_delay_alu instid0(VALU_DEP_3) | instskip(NEXT) | instid1(VALU_DEP_1)
	v_lshl_add_u32 v48, v48, 23, 0x37800000
	v_or3_b32 v39, v49, v48, v39
.LBB6_11742:                            ;   in Loop: Header=BB6_11312 Depth=3
	s_or_b32 exec_lo, exec_lo, s17
	s_waitcnt vmcnt(29) lgkmcnt(29)
	v_and_b32_e32 v49, 0xff, v38
	s_mov_b32 s13, 0
	s_mov_b32 s30, exec_lo
                                        ; implicit-def: $sgpr17
	s_delay_alu instid0(VALU_DEP_1)
	v_cmpx_lt_i16_e32 0x7f, v49
	s_xor_b32 s30, exec_lo, s30
	s_cbranch_execnz .LBB6_12367
; %bb.11743:                            ;   in Loop: Header=BB6_11312 Depth=3
	s_or_saveexec_b32 s30, s30
	v_mov_b32_e32 v48, s17
	s_xor_b32 exec_lo, exec_lo, s30
	s_cbranch_execnz .LBB6_12370
.LBB6_11744:                            ;   in Loop: Header=BB6_11312 Depth=3
	s_or_b32 exec_lo, exec_lo, s30
	s_and_saveexec_b32 s17, s13
	s_cbranch_execz .LBB6_11746
.LBB6_11745:                            ;   in Loop: Header=BB6_11312 Depth=3
	v_lshrrev_b16 v51, 2, v38
	s_delay_alu instid0(VALU_DEP_1) | instskip(NEXT) | instid1(VALU_DEP_1)
	v_and_b32_e32 v51, 31, v51
	v_cmp_eq_u32_e32 vcc_lo, 0, v51
	v_and_b32_e32 v48, 3, v38
	s_delay_alu instid0(VALU_DEP_1) | instskip(NEXT) | instid1(VALU_DEP_1)
	v_clz_i32_u32_e32 v49, v48
	v_min_u32_e32 v49, 32, v49
	s_delay_alu instid0(VALU_DEP_1) | instskip(SKIP_1) | instid1(VALU_DEP_1)
	v_subrev_nc_u32_e32 v50, 29, v49
	v_sub_nc_u32_e32 v49, 30, v49
	v_dual_cndmask_b32 v49, v51, v49 :: v_dual_lshlrev_b32 v50, v50, v38
	v_lshlrev_b32_e32 v38, 24, v38
	s_delay_alu instid0(VALU_DEP_2) | instskip(NEXT) | instid1(VALU_DEP_3)
	v_and_b32_e32 v50, 3, v50
	v_lshl_add_u32 v49, v49, 23, 0x37800000
	s_delay_alu instid0(VALU_DEP_3) | instskip(NEXT) | instid1(VALU_DEP_3)
	v_and_b32_e32 v38, 0x80000000, v38
	v_cndmask_b32_e32 v48, v48, v50, vcc_lo
	s_delay_alu instid0(VALU_DEP_1) | instskip(NEXT) | instid1(VALU_DEP_1)
	v_lshlrev_b32_e32 v48, 21, v48
	v_or3_b32 v48, v38, v49, v48
.LBB6_11746:                            ;   in Loop: Header=BB6_11312 Depth=3
	s_or_b32 exec_lo, exec_lo, s17
	s_delay_alu instid0(VALU_DEP_1) | instskip(SKIP_2) | instid1(VALU_DEP_2)
	v_add_f32_e32 v38, v39, v48
	v_mov_b32_e32 v160, 0x80
	s_mov_b32 s17, exec_lo
	v_and_b32_e32 v39, 0x7f800000, v38
	s_delay_alu instid0(VALU_DEP_1)
	v_cmpx_ne_u32_e32 0x7f800000, v39
	s_cbranch_execz .LBB6_11754
; %bb.11747:                            ;   in Loop: Header=BB6_11312 Depth=3
	v_mov_b32_e32 v160, 0
	s_mov_b32 s30, exec_lo
	v_cmpx_ne_u32_e32 0, v38
	s_cbranch_execz .LBB6_11753
; %bb.11748:                            ;   in Loop: Header=BB6_11312 Depth=3
	v_bfe_u32 v39, v38, 23, 8
	s_delay_alu instid0(VALU_DEP_1) | instskip(SKIP_1) | instid1(VALU_DEP_2)
	v_sub_nc_u32_e32 v49, 0x70, v39
	v_cmp_gt_u32_e32 vcc_lo, 0x71, v39
	v_dual_cndmask_b32 v49, 0, v49 :: v_dual_and_b32 v48, 0x7fffff, v38
	s_delay_alu instid0(VALU_DEP_1) | instskip(SKIP_2) | instid1(VALU_DEP_4)
	v_or_b32_e32 v50, 0x800000, v48
	v_cmp_eq_u32_e32 vcc_lo, 0, v39
	v_add_nc_u32_e32 v39, 0xffffff91, v39
	v_cndmask_b32_e64 v49, v49, 0x6f, vcc_lo
	s_delay_alu instid0(VALU_DEP_4) | instskip(NEXT) | instid1(VALU_DEP_3)
	v_cndmask_b32_e32 v48, v50, v48, vcc_lo
	v_cndmask_b32_e64 v39, v39, 0xffffff92, vcc_lo
	s_delay_alu instid0(VALU_DEP_3) | instskip(NEXT) | instid1(VALU_DEP_3)
	v_lshl_add_u32 v51, 0x200000, v49, -1
	v_lshrrev_b32_e32 v50, v49, v48
	v_lshlrev_b32_e64 v53, v49, 0x100000
	s_delay_alu instid0(VALU_DEP_4) | instskip(NEXT) | instid1(VALU_DEP_4)
	v_add_nc_u32_e32 v49, v49, v39
	v_and_b32_e32 v48, v51, v48
	s_delay_alu instid0(VALU_DEP_4) | instskip(NEXT) | instid1(VALU_DEP_2)
	v_bfe_u32 v52, v50, 21, 1
	v_cmp_eq_u32_e64 s13, v48, v53
	s_delay_alu instid0(VALU_DEP_2) | instskip(NEXT) | instid1(VALU_DEP_1)
	v_add_nc_u32_e32 v51, -1, v52
	v_cndmask_b32_e64 v48, 0, v51, s13
	v_lshrrev_b32_e32 v51, 23, v50
	s_mov_b32 s13, exec_lo
	s_delay_alu instid0(VALU_DEP_2) | instskip(NEXT) | instid1(VALU_DEP_2)
	v_add_nc_u32_e32 v48, v48, v50
	v_xor_b32_e32 v52, 1, v51
	s_delay_alu instid0(VALU_DEP_2) | instskip(NEXT) | instid1(VALU_DEP_1)
	v_and_b32_e32 v39, 0x1fffff, v48
	v_add_nc_u32_e32 v48, v39, v50
                                        ; implicit-def: $vgpr39
	s_delay_alu instid0(VALU_DEP_3)
	v_cmpx_ne_u32_e64 v49, v52
	s_xor_b32 s13, exec_lo, s13
; %bb.11749:                            ;   in Loop: Header=BB6_11312 Depth=3
	s_delay_alu instid0(VALU_DEP_2) | instskip(SKIP_2) | instid1(VALU_DEP_2)
	v_cmp_lt_u32_e32 vcc_lo, 0xffffff, v48
	v_sub_nc_u32_e32 v39, v49, v52
	v_cndmask_b32_e64 v49, 0, 1, vcc_lo
	v_add_co_ci_u32_e32 v39, vcc_lo, 0, v39, vcc_lo
	s_delay_alu instid0(VALU_DEP_2)
	v_lshrrev_b32_e32 v48, v49, v48
; %bb.11750:                            ;   in Loop: Header=BB6_11312 Depth=3
	s_and_not1_saveexec_b32 s13, s13
; %bb.11751:                            ;   in Loop: Header=BB6_11312 Depth=3
	s_delay_alu instid0(VALU_DEP_1)
	v_bfe_u32 v39, v48, 23, 1
; %bb.11752:                            ;   in Loop: Header=BB6_11312 Depth=3
	s_or_b32 exec_lo, exec_lo, s13
	v_lshrrev_b32_e32 v48, 21, v48
	s_delay_alu instid0(VALU_DEP_2) | instskip(SKIP_2) | instid1(VALU_DEP_4)
	v_cmp_gt_i32_e32 vcc_lo, 32, v39
	v_lshrrev_b32_e32 v38, 24, v38
	v_min_i32_e32 v49, 31, v39
	v_cndmask_b32_e32 v48, 3, v48, vcc_lo
	s_delay_alu instid0(VALU_DEP_3) | instskip(NEXT) | instid1(VALU_DEP_3)
	v_and_b32_e32 v38, 0x80, v38
	v_lshlrev_b32_e32 v49, 2, v49
	s_delay_alu instid0(VALU_DEP_3) | instskip(SKIP_1) | instid1(VALU_DEP_2)
	v_and_b32_e32 v50, 3, v48
	v_or_b32_e32 v39, v39, v48
	v_or3_b32 v38, v49, v38, v50
	s_delay_alu instid0(VALU_DEP_2) | instskip(NEXT) | instid1(VALU_DEP_2)
	v_cmp_ne_u32_e32 vcc_lo, 0, v39
	v_cndmask_b32_e32 v160, 0, v38, vcc_lo
.LBB6_11753:                            ;   in Loop: Header=BB6_11312 Depth=3
	s_or_b32 exec_lo, exec_lo, s30
.LBB6_11754:                            ;   in Loop: Header=BB6_11312 Depth=3
	s_delay_alu instid0(SALU_CYCLE_1) | instskip(SKIP_3) | instid1(VALU_DEP_1)
	s_or_b32 exec_lo, exec_lo, s17
	v_and_b32_e32 v39, 0xff, v165
	s_mov_b32 s13, 0
	s_mov_b32 s30, exec_lo
                                        ; implicit-def: $sgpr17
	v_cmpx_lt_i16_e32 0x7f, v39
	s_xor_b32 s30, exec_lo, s30
	s_cbranch_execnz .LBB6_12371
; %bb.11755:                            ;   in Loop: Header=BB6_11312 Depth=3
	s_or_saveexec_b32 s30, s30
	v_mov_b32_e32 v38, s17
	s_xor_b32 exec_lo, exec_lo, s30
	s_cbranch_execnz .LBB6_12374
.LBB6_11756:                            ;   in Loop: Header=BB6_11312 Depth=3
	s_or_b32 exec_lo, exec_lo, s30
	s_and_saveexec_b32 s17, s13
	s_cbranch_execz .LBB6_11758
.LBB6_11757:                            ;   in Loop: Header=BB6_11312 Depth=3
	v_lshrrev_b16 v49, 2, v165
	v_lshlrev_b32_e32 v50, 24, v165
	s_delay_alu instid0(VALU_DEP_2) | instskip(NEXT) | instid1(VALU_DEP_1)
	v_and_b32_e32 v49, 31, v49
	v_cmp_eq_u32_e32 vcc_lo, 0, v49
	v_and_b32_e32 v38, 3, v165
	s_delay_alu instid0(VALU_DEP_1) | instskip(NEXT) | instid1(VALU_DEP_1)
	v_clz_i32_u32_e32 v39, v38
	v_min_u32_e32 v39, 32, v39
	s_delay_alu instid0(VALU_DEP_1) | instskip(SKIP_1) | instid1(VALU_DEP_1)
	v_subrev_nc_u32_e32 v48, 29, v39
	v_sub_nc_u32_e32 v39, 30, v39
	v_dual_cndmask_b32 v39, v49, v39 :: v_dual_lshlrev_b32 v48, v48, v165
	s_delay_alu instid0(VALU_DEP_1) | instskip(NEXT) | instid1(VALU_DEP_2)
	v_and_b32_e32 v48, 3, v48
	v_lshl_add_u32 v39, v39, 23, 0x37800000
	s_delay_alu instid0(VALU_DEP_2) | instskip(SKIP_1) | instid1(VALU_DEP_2)
	v_cndmask_b32_e32 v38, v38, v48, vcc_lo
	v_and_b32_e32 v48, 0x80000000, v50
	v_lshlrev_b32_e32 v38, 21, v38
	s_delay_alu instid0(VALU_DEP_1)
	v_or3_b32 v38, v48, v39, v38
.LBB6_11758:                            ;   in Loop: Header=BB6_11312 Depth=3
	s_or_b32 exec_lo, exec_lo, s17
	s_waitcnt vmcnt(28) lgkmcnt(28)
	v_and_b32_e32 v48, 0xff, v37
	s_mov_b32 s13, 0
	s_mov_b32 s30, exec_lo
                                        ; implicit-def: $sgpr17
	s_delay_alu instid0(VALU_DEP_1)
	v_cmpx_lt_i16_e32 0x7f, v48
	s_xor_b32 s30, exec_lo, s30
	s_cbranch_execnz .LBB6_12375
; %bb.11759:                            ;   in Loop: Header=BB6_11312 Depth=3
	s_or_saveexec_b32 s30, s30
	v_mov_b32_e32 v39, s17
	s_xor_b32 exec_lo, exec_lo, s30
	s_cbranch_execnz .LBB6_12378
.LBB6_11760:                            ;   in Loop: Header=BB6_11312 Depth=3
	s_or_b32 exec_lo, exec_lo, s30
	s_and_saveexec_b32 s17, s13
	s_cbranch_execz .LBB6_11762
.LBB6_11761:                            ;   in Loop: Header=BB6_11312 Depth=3
	v_lshrrev_b16 v50, 2, v37
	s_delay_alu instid0(VALU_DEP_1) | instskip(NEXT) | instid1(VALU_DEP_1)
	v_and_b32_e32 v50, 31, v50
	v_cmp_eq_u32_e32 vcc_lo, 0, v50
	v_and_b32_e32 v39, 3, v37
	s_delay_alu instid0(VALU_DEP_1) | instskip(NEXT) | instid1(VALU_DEP_1)
	v_clz_i32_u32_e32 v48, v39
	v_min_u32_e32 v48, 32, v48
	s_delay_alu instid0(VALU_DEP_1) | instskip(SKIP_1) | instid1(VALU_DEP_1)
	v_subrev_nc_u32_e32 v49, 29, v48
	v_sub_nc_u32_e32 v48, 30, v48
	v_dual_cndmask_b32 v48, v50, v48 :: v_dual_lshlrev_b32 v49, v49, v37
	v_lshlrev_b32_e32 v37, 24, v37
	s_delay_alu instid0(VALU_DEP_2) | instskip(NEXT) | instid1(VALU_DEP_3)
	v_and_b32_e32 v49, 3, v49
	v_lshl_add_u32 v48, v48, 23, 0x37800000
	s_delay_alu instid0(VALU_DEP_3) | instskip(NEXT) | instid1(VALU_DEP_3)
	v_and_b32_e32 v37, 0x80000000, v37
	v_cndmask_b32_e32 v39, v39, v49, vcc_lo
	s_delay_alu instid0(VALU_DEP_1) | instskip(NEXT) | instid1(VALU_DEP_1)
	v_lshlrev_b32_e32 v39, 21, v39
	v_or3_b32 v39, v37, v48, v39
.LBB6_11762:                            ;   in Loop: Header=BB6_11312 Depth=3
	s_or_b32 exec_lo, exec_lo, s17
	s_delay_alu instid0(VALU_DEP_1) | instskip(SKIP_2) | instid1(VALU_DEP_2)
	v_add_f32_e32 v37, v38, v39
	v_mov_b32_e32 v165, 0x80
	s_mov_b32 s17, exec_lo
	v_and_b32_e32 v38, 0x7f800000, v37
	s_delay_alu instid0(VALU_DEP_1)
	v_cmpx_ne_u32_e32 0x7f800000, v38
	s_cbranch_execz .LBB6_11770
; %bb.11763:                            ;   in Loop: Header=BB6_11312 Depth=3
	v_mov_b32_e32 v165, 0
	s_mov_b32 s30, exec_lo
	v_cmpx_ne_u32_e32 0, v37
	s_cbranch_execz .LBB6_11769
; %bb.11764:                            ;   in Loop: Header=BB6_11312 Depth=3
	v_bfe_u32 v38, v37, 23, 8
	s_delay_alu instid0(VALU_DEP_1) | instskip(SKIP_1) | instid1(VALU_DEP_2)
	v_sub_nc_u32_e32 v48, 0x70, v38
	v_cmp_gt_u32_e32 vcc_lo, 0x71, v38
	v_dual_cndmask_b32 v48, 0, v48 :: v_dual_and_b32 v39, 0x7fffff, v37
	s_delay_alu instid0(VALU_DEP_1) | instskip(SKIP_2) | instid1(VALU_DEP_4)
	v_or_b32_e32 v49, 0x800000, v39
	v_cmp_eq_u32_e32 vcc_lo, 0, v38
	v_add_nc_u32_e32 v38, 0xffffff91, v38
	v_cndmask_b32_e64 v48, v48, 0x6f, vcc_lo
	s_delay_alu instid0(VALU_DEP_4) | instskip(NEXT) | instid1(VALU_DEP_3)
	v_cndmask_b32_e32 v39, v49, v39, vcc_lo
	v_cndmask_b32_e64 v38, v38, 0xffffff92, vcc_lo
	s_delay_alu instid0(VALU_DEP_3) | instskip(NEXT) | instid1(VALU_DEP_3)
	v_lshl_add_u32 v49, 0x200000, v48, -1
	v_lshrrev_b32_e32 v50, v48, v39
	v_lshlrev_b32_e64 v52, v48, 0x100000
	s_delay_alu instid0(VALU_DEP_4) | instskip(NEXT) | instid1(VALU_DEP_4)
	v_add_nc_u32_e32 v48, v48, v38
	v_and_b32_e32 v39, v49, v39
	s_delay_alu instid0(VALU_DEP_4) | instskip(NEXT) | instid1(VALU_DEP_2)
	v_bfe_u32 v51, v50, 21, 1
	v_cmp_eq_u32_e64 s13, v39, v52
	s_delay_alu instid0(VALU_DEP_2) | instskip(NEXT) | instid1(VALU_DEP_1)
	v_add_nc_u32_e32 v49, -1, v51
	v_cndmask_b32_e64 v39, 0, v49, s13
	v_lshrrev_b32_e32 v49, 23, v50
	s_mov_b32 s13, exec_lo
	s_delay_alu instid0(VALU_DEP_2) | instskip(NEXT) | instid1(VALU_DEP_2)
	v_add_nc_u32_e32 v39, v39, v50
	v_xor_b32_e32 v49, 1, v49
	s_delay_alu instid0(VALU_DEP_2) | instskip(NEXT) | instid1(VALU_DEP_1)
	v_and_b32_e32 v38, 0x1fffff, v39
	v_add_nc_u32_e32 v39, v38, v50
                                        ; implicit-def: $vgpr38
	s_delay_alu instid0(VALU_DEP_3)
	v_cmpx_ne_u32_e64 v48, v49
	s_xor_b32 s13, exec_lo, s13
; %bb.11765:                            ;   in Loop: Header=BB6_11312 Depth=3
	s_delay_alu instid0(VALU_DEP_2) | instskip(SKIP_2) | instid1(VALU_DEP_2)
	v_cmp_lt_u32_e32 vcc_lo, 0xffffff, v39
	v_sub_nc_u32_e32 v38, v48, v49
	v_cndmask_b32_e64 v48, 0, 1, vcc_lo
	v_add_co_ci_u32_e32 v38, vcc_lo, 0, v38, vcc_lo
	s_delay_alu instid0(VALU_DEP_2)
	v_lshrrev_b32_e32 v39, v48, v39
; %bb.11766:                            ;   in Loop: Header=BB6_11312 Depth=3
	s_and_not1_saveexec_b32 s13, s13
; %bb.11767:                            ;   in Loop: Header=BB6_11312 Depth=3
	s_delay_alu instid0(VALU_DEP_1)
	v_bfe_u32 v38, v39, 23, 1
; %bb.11768:                            ;   in Loop: Header=BB6_11312 Depth=3
	s_or_b32 exec_lo, exec_lo, s13
	v_lshrrev_b32_e32 v39, 21, v39
	s_delay_alu instid0(VALU_DEP_2) | instskip(SKIP_2) | instid1(VALU_DEP_4)
	v_cmp_gt_i32_e32 vcc_lo, 32, v38
	v_lshrrev_b32_e32 v37, 24, v37
	v_min_i32_e32 v48, 31, v38
	v_cndmask_b32_e32 v39, 3, v39, vcc_lo
	s_delay_alu instid0(VALU_DEP_3) | instskip(NEXT) | instid1(VALU_DEP_3)
	v_and_b32_e32 v37, 0x80, v37
	v_lshlrev_b32_e32 v48, 2, v48
	s_delay_alu instid0(VALU_DEP_3) | instskip(SKIP_1) | instid1(VALU_DEP_2)
	v_and_b32_e32 v49, 3, v39
	v_or_b32_e32 v38, v38, v39
	v_or3_b32 v37, v48, v37, v49
	s_delay_alu instid0(VALU_DEP_2) | instskip(NEXT) | instid1(VALU_DEP_2)
	v_cmp_ne_u32_e32 vcc_lo, 0, v38
	v_cndmask_b32_e32 v165, 0, v37, vcc_lo
.LBB6_11769:                            ;   in Loop: Header=BB6_11312 Depth=3
	s_or_b32 exec_lo, exec_lo, s30
.LBB6_11770:                            ;   in Loop: Header=BB6_11312 Depth=3
	s_delay_alu instid0(SALU_CYCLE_1) | instskip(SKIP_3) | instid1(VALU_DEP_1)
	s_or_b32 exec_lo, exec_lo, s17
	v_and_b32_e32 v38, 0xff, v178
	s_mov_b32 s13, 0
	s_mov_b32 s30, exec_lo
                                        ; implicit-def: $sgpr17
	v_cmpx_lt_i16_e32 0x7f, v38
	s_xor_b32 s30, exec_lo, s30
	s_cbranch_execnz .LBB6_12379
; %bb.11771:                            ;   in Loop: Header=BB6_11312 Depth=3
	s_or_saveexec_b32 s30, s30
	v_mov_b32_e32 v37, s17
	s_xor_b32 exec_lo, exec_lo, s30
	s_cbranch_execnz .LBB6_12382
.LBB6_11772:                            ;   in Loop: Header=BB6_11312 Depth=3
	s_or_b32 exec_lo, exec_lo, s30
	s_and_saveexec_b32 s17, s13
	s_cbranch_execz .LBB6_11774
.LBB6_11773:                            ;   in Loop: Header=BB6_11312 Depth=3
	v_and_b32_e32 v37, 3, v178
	v_lshrrev_b16 v48, 2, v178
	v_lshlrev_b32_e32 v49, 24, v178
	s_delay_alu instid0(VALU_DEP_3) | instskip(NEXT) | instid1(VALU_DEP_1)
	v_clz_i32_u32_e32 v38, v37
	v_min_u32_e32 v38, 32, v38
	s_delay_alu instid0(VALU_DEP_1) | instskip(SKIP_1) | instid1(VALU_DEP_2)
	v_subrev_nc_u32_e32 v39, 29, v38
	v_sub_nc_u32_e32 v38, 30, v38
	v_lshlrev_b32_e32 v39, v39, v178
	s_delay_alu instid0(VALU_DEP_1) | instskip(SKIP_1) | instid1(VALU_DEP_1)
	v_and_b32_e32 v39, 3, v39
	v_and_b32_e32 v48, 31, v48
	v_cmp_eq_u32_e32 vcc_lo, 0, v48
	s_delay_alu instid0(VALU_DEP_3) | instskip(SKIP_1) | instid1(VALU_DEP_2)
	v_dual_cndmask_b32 v37, v37, v39 :: v_dual_cndmask_b32 v38, v48, v38
	v_and_b32_e32 v39, 0x80000000, v49
	v_lshlrev_b32_e32 v37, 21, v37
	s_delay_alu instid0(VALU_DEP_3) | instskip(NEXT) | instid1(VALU_DEP_1)
	v_lshl_add_u32 v38, v38, 23, 0x37800000
	v_or3_b32 v37, v39, v38, v37
.LBB6_11774:                            ;   in Loop: Header=BB6_11312 Depth=3
	s_or_b32 exec_lo, exec_lo, s17
	s_waitcnt vmcnt(27) lgkmcnt(27)
	v_and_b32_e32 v39, 0xff, v36
	s_mov_b32 s13, 0
	s_mov_b32 s30, exec_lo
                                        ; implicit-def: $sgpr17
	s_delay_alu instid0(VALU_DEP_1)
	v_cmpx_lt_i16_e32 0x7f, v39
	s_xor_b32 s30, exec_lo, s30
	s_cbranch_execnz .LBB6_12383
; %bb.11775:                            ;   in Loop: Header=BB6_11312 Depth=3
	s_or_saveexec_b32 s30, s30
	v_mov_b32_e32 v38, s17
	s_xor_b32 exec_lo, exec_lo, s30
	s_cbranch_execnz .LBB6_12386
.LBB6_11776:                            ;   in Loop: Header=BB6_11312 Depth=3
	s_or_b32 exec_lo, exec_lo, s30
	s_and_saveexec_b32 s17, s13
	s_cbranch_execz .LBB6_11778
.LBB6_11777:                            ;   in Loop: Header=BB6_11312 Depth=3
	v_lshrrev_b16 v49, 2, v36
	s_delay_alu instid0(VALU_DEP_1) | instskip(NEXT) | instid1(VALU_DEP_1)
	v_and_b32_e32 v49, 31, v49
	v_cmp_eq_u32_e32 vcc_lo, 0, v49
	v_and_b32_e32 v38, 3, v36
	s_delay_alu instid0(VALU_DEP_1) | instskip(NEXT) | instid1(VALU_DEP_1)
	v_clz_i32_u32_e32 v39, v38
	v_min_u32_e32 v39, 32, v39
	s_delay_alu instid0(VALU_DEP_1) | instskip(SKIP_1) | instid1(VALU_DEP_1)
	v_subrev_nc_u32_e32 v48, 29, v39
	v_sub_nc_u32_e32 v39, 30, v39
	v_dual_cndmask_b32 v39, v49, v39 :: v_dual_lshlrev_b32 v48, v48, v36
	v_lshlrev_b32_e32 v36, 24, v36
	s_delay_alu instid0(VALU_DEP_2) | instskip(NEXT) | instid1(VALU_DEP_3)
	v_and_b32_e32 v48, 3, v48
	v_lshl_add_u32 v39, v39, 23, 0x37800000
	s_delay_alu instid0(VALU_DEP_3) | instskip(NEXT) | instid1(VALU_DEP_3)
	v_and_b32_e32 v36, 0x80000000, v36
	v_cndmask_b32_e32 v38, v38, v48, vcc_lo
	s_delay_alu instid0(VALU_DEP_1) | instskip(NEXT) | instid1(VALU_DEP_1)
	v_lshlrev_b32_e32 v38, 21, v38
	v_or3_b32 v38, v36, v39, v38
.LBB6_11778:                            ;   in Loop: Header=BB6_11312 Depth=3
	s_or_b32 exec_lo, exec_lo, s17
	s_delay_alu instid0(VALU_DEP_1) | instskip(SKIP_2) | instid1(VALU_DEP_2)
	v_add_f32_e32 v36, v37, v38
	v_mov_b32_e32 v178, 0x80
	s_mov_b32 s17, exec_lo
	v_and_b32_e32 v37, 0x7f800000, v36
	s_delay_alu instid0(VALU_DEP_1)
	v_cmpx_ne_u32_e32 0x7f800000, v37
	s_cbranch_execz .LBB6_11786
; %bb.11779:                            ;   in Loop: Header=BB6_11312 Depth=3
	v_mov_b32_e32 v178, 0
	s_mov_b32 s30, exec_lo
	v_cmpx_ne_u32_e32 0, v36
	s_cbranch_execz .LBB6_11785
; %bb.11780:                            ;   in Loop: Header=BB6_11312 Depth=3
	v_bfe_u32 v37, v36, 23, 8
	s_delay_alu instid0(VALU_DEP_1) | instskip(SKIP_1) | instid1(VALU_DEP_2)
	v_sub_nc_u32_e32 v39, 0x70, v37
	v_cmp_gt_u32_e32 vcc_lo, 0x71, v37
	v_dual_cndmask_b32 v39, 0, v39 :: v_dual_and_b32 v38, 0x7fffff, v36
	s_delay_alu instid0(VALU_DEP_1) | instskip(SKIP_2) | instid1(VALU_DEP_4)
	v_or_b32_e32 v48, 0x800000, v38
	v_cmp_eq_u32_e32 vcc_lo, 0, v37
	v_add_nc_u32_e32 v37, 0xffffff91, v37
	v_cndmask_b32_e64 v39, v39, 0x6f, vcc_lo
	s_delay_alu instid0(VALU_DEP_4) | instskip(NEXT) | instid1(VALU_DEP_3)
	v_cndmask_b32_e32 v38, v48, v38, vcc_lo
	v_cndmask_b32_e64 v37, v37, 0xffffff92, vcc_lo
	s_delay_alu instid0(VALU_DEP_3) | instskip(NEXT) | instid1(VALU_DEP_3)
	v_lshl_add_u32 v48, 0x200000, v39, -1
	v_lshrrev_b32_e32 v49, v39, v38
	v_lshlrev_b32_e64 v51, v39, 0x100000
	s_delay_alu instid0(VALU_DEP_4) | instskip(NEXT) | instid1(VALU_DEP_4)
	v_add_nc_u32_e32 v39, v39, v37
	v_and_b32_e32 v38, v48, v38
	s_delay_alu instid0(VALU_DEP_4) | instskip(NEXT) | instid1(VALU_DEP_2)
	v_bfe_u32 v50, v49, 21, 1
	v_cmp_eq_u32_e64 s13, v38, v51
	s_delay_alu instid0(VALU_DEP_2) | instskip(NEXT) | instid1(VALU_DEP_1)
	v_add_nc_u32_e32 v48, -1, v50
	v_cndmask_b32_e64 v38, 0, v48, s13
	v_lshrrev_b32_e32 v48, 23, v49
	s_mov_b32 s13, exec_lo
	s_delay_alu instid0(VALU_DEP_2) | instskip(NEXT) | instid1(VALU_DEP_2)
	v_add_nc_u32_e32 v38, v38, v49
	v_xor_b32_e32 v48, 1, v48
	s_delay_alu instid0(VALU_DEP_2) | instskip(NEXT) | instid1(VALU_DEP_1)
	v_and_b32_e32 v37, 0x1fffff, v38
	v_add_nc_u32_e32 v38, v37, v49
                                        ; implicit-def: $vgpr37
	s_delay_alu instid0(VALU_DEP_3)
	v_cmpx_ne_u32_e64 v39, v48
	s_xor_b32 s13, exec_lo, s13
; %bb.11781:                            ;   in Loop: Header=BB6_11312 Depth=3
	s_delay_alu instid0(VALU_DEP_2) | instskip(SKIP_2) | instid1(VALU_DEP_2)
	v_cmp_lt_u32_e32 vcc_lo, 0xffffff, v38
	v_sub_nc_u32_e32 v37, v39, v48
	v_cndmask_b32_e64 v39, 0, 1, vcc_lo
	v_add_co_ci_u32_e32 v37, vcc_lo, 0, v37, vcc_lo
	s_delay_alu instid0(VALU_DEP_2)
	v_lshrrev_b32_e32 v38, v39, v38
; %bb.11782:                            ;   in Loop: Header=BB6_11312 Depth=3
	s_and_not1_saveexec_b32 s13, s13
; %bb.11783:                            ;   in Loop: Header=BB6_11312 Depth=3
	s_delay_alu instid0(VALU_DEP_1)
	v_bfe_u32 v37, v38, 23, 1
; %bb.11784:                            ;   in Loop: Header=BB6_11312 Depth=3
	s_or_b32 exec_lo, exec_lo, s13
	v_lshrrev_b32_e32 v38, 21, v38
	s_delay_alu instid0(VALU_DEP_2) | instskip(SKIP_2) | instid1(VALU_DEP_4)
	v_cmp_gt_i32_e32 vcc_lo, 32, v37
	v_lshrrev_b32_e32 v36, 24, v36
	v_min_i32_e32 v39, 31, v37
	v_cndmask_b32_e32 v38, 3, v38, vcc_lo
	s_delay_alu instid0(VALU_DEP_3) | instskip(NEXT) | instid1(VALU_DEP_3)
	v_and_b32_e32 v36, 0x80, v36
	v_lshlrev_b32_e32 v39, 2, v39
	s_delay_alu instid0(VALU_DEP_3) | instskip(SKIP_1) | instid1(VALU_DEP_2)
	v_and_b32_e32 v48, 3, v38
	v_or_b32_e32 v37, v37, v38
	v_or3_b32 v36, v39, v36, v48
	s_delay_alu instid0(VALU_DEP_2) | instskip(NEXT) | instid1(VALU_DEP_2)
	v_cmp_ne_u32_e32 vcc_lo, 0, v37
	v_cndmask_b32_e32 v178, 0, v36, vcc_lo
.LBB6_11785:                            ;   in Loop: Header=BB6_11312 Depth=3
	s_or_b32 exec_lo, exec_lo, s30
.LBB6_11786:                            ;   in Loop: Header=BB6_11312 Depth=3
	s_delay_alu instid0(SALU_CYCLE_1) | instskip(SKIP_3) | instid1(VALU_DEP_1)
	s_or_b32 exec_lo, exec_lo, s17
	v_and_b32_e32 v37, 0xff, v102
	s_mov_b32 s13, 0
	s_mov_b32 s30, exec_lo
                                        ; implicit-def: $sgpr17
	v_cmpx_lt_i16_e32 0x7f, v37
	s_xor_b32 s30, exec_lo, s30
	s_cbranch_execnz .LBB6_12387
; %bb.11787:                            ;   in Loop: Header=BB6_11312 Depth=3
	s_or_saveexec_b32 s30, s30
	v_mov_b32_e32 v36, s17
	s_xor_b32 exec_lo, exec_lo, s30
	s_cbranch_execnz .LBB6_12390
.LBB6_11788:                            ;   in Loop: Header=BB6_11312 Depth=3
	s_or_b32 exec_lo, exec_lo, s30
	s_and_saveexec_b32 s17, s13
	s_cbranch_execz .LBB6_11790
.LBB6_11789:                            ;   in Loop: Header=BB6_11312 Depth=3
	v_lshrrev_b16 v39, 2, v102
	v_lshlrev_b32_e32 v48, 24, v102
	s_delay_alu instid0(VALU_DEP_2) | instskip(NEXT) | instid1(VALU_DEP_1)
	v_and_b32_e32 v39, 31, v39
	v_cmp_eq_u32_e32 vcc_lo, 0, v39
	v_and_b32_e32 v36, 3, v102
	s_delay_alu instid0(VALU_DEP_1) | instskip(NEXT) | instid1(VALU_DEP_1)
	v_clz_i32_u32_e32 v37, v36
	v_min_u32_e32 v37, 32, v37
	s_delay_alu instid0(VALU_DEP_1) | instskip(SKIP_1) | instid1(VALU_DEP_1)
	v_subrev_nc_u32_e32 v38, 29, v37
	v_sub_nc_u32_e32 v37, 30, v37
	v_dual_cndmask_b32 v37, v39, v37 :: v_dual_lshlrev_b32 v38, v38, v102
	s_delay_alu instid0(VALU_DEP_1) | instskip(NEXT) | instid1(VALU_DEP_2)
	v_and_b32_e32 v38, 3, v38
	v_lshl_add_u32 v37, v37, 23, 0x37800000
	s_delay_alu instid0(VALU_DEP_2) | instskip(SKIP_1) | instid1(VALU_DEP_2)
	v_cndmask_b32_e32 v36, v36, v38, vcc_lo
	v_and_b32_e32 v38, 0x80000000, v48
	v_lshlrev_b32_e32 v36, 21, v36
	s_delay_alu instid0(VALU_DEP_1)
	v_or3_b32 v36, v38, v37, v36
.LBB6_11790:                            ;   in Loop: Header=BB6_11312 Depth=3
	s_or_b32 exec_lo, exec_lo, s17
	s_waitcnt vmcnt(26) lgkmcnt(26)
	v_and_b32_e32 v38, 0xff, v27
	s_mov_b32 s13, 0
	s_mov_b32 s30, exec_lo
                                        ; implicit-def: $sgpr17
	s_delay_alu instid0(VALU_DEP_1)
	v_cmpx_lt_i16_e32 0x7f, v38
	s_xor_b32 s30, exec_lo, s30
	s_cbranch_execnz .LBB6_12391
; %bb.11791:                            ;   in Loop: Header=BB6_11312 Depth=3
	s_or_saveexec_b32 s30, s30
	v_mov_b32_e32 v37, s17
	s_xor_b32 exec_lo, exec_lo, s30
	s_cbranch_execnz .LBB6_12394
.LBB6_11792:                            ;   in Loop: Header=BB6_11312 Depth=3
	s_or_b32 exec_lo, exec_lo, s30
	s_and_saveexec_b32 s17, s13
	s_cbranch_execz .LBB6_11794
.LBB6_11793:                            ;   in Loop: Header=BB6_11312 Depth=3
	v_lshrrev_b16 v48, 2, v27
	s_delay_alu instid0(VALU_DEP_1) | instskip(NEXT) | instid1(VALU_DEP_1)
	v_and_b32_e32 v48, 31, v48
	v_cmp_eq_u32_e32 vcc_lo, 0, v48
	v_and_b32_e32 v37, 3, v27
	s_delay_alu instid0(VALU_DEP_1) | instskip(NEXT) | instid1(VALU_DEP_1)
	v_clz_i32_u32_e32 v38, v37
	v_min_u32_e32 v38, 32, v38
	s_delay_alu instid0(VALU_DEP_1) | instskip(SKIP_1) | instid1(VALU_DEP_1)
	v_subrev_nc_u32_e32 v39, 29, v38
	v_sub_nc_u32_e32 v38, 30, v38
	v_dual_cndmask_b32 v38, v48, v38 :: v_dual_lshlrev_b32 v39, v39, v27
	v_lshlrev_b32_e32 v27, 24, v27
	s_delay_alu instid0(VALU_DEP_2) | instskip(NEXT) | instid1(VALU_DEP_3)
	v_and_b32_e32 v39, 3, v39
	v_lshl_add_u32 v38, v38, 23, 0x37800000
	s_delay_alu instid0(VALU_DEP_3) | instskip(NEXT) | instid1(VALU_DEP_3)
	v_and_b32_e32 v27, 0x80000000, v27
	v_cndmask_b32_e32 v37, v37, v39, vcc_lo
	s_delay_alu instid0(VALU_DEP_1) | instskip(NEXT) | instid1(VALU_DEP_1)
	v_lshlrev_b32_e32 v37, 21, v37
	v_or3_b32 v37, v27, v38, v37
.LBB6_11794:                            ;   in Loop: Header=BB6_11312 Depth=3
	s_or_b32 exec_lo, exec_lo, s17
	s_delay_alu instid0(VALU_DEP_1) | instskip(SKIP_1) | instid1(VALU_DEP_1)
	v_dual_add_f32 v27, v36, v37 :: v_dual_mov_b32 v102, 0x80
	s_mov_b32 s17, exec_lo
	v_and_b32_e32 v36, 0x7f800000, v27
	s_delay_alu instid0(VALU_DEP_1)
	v_cmpx_ne_u32_e32 0x7f800000, v36
	s_cbranch_execz .LBB6_11802
; %bb.11795:                            ;   in Loop: Header=BB6_11312 Depth=3
	v_mov_b32_e32 v102, 0
	s_mov_b32 s30, exec_lo
	v_cmpx_ne_u32_e32 0, v27
	s_cbranch_execz .LBB6_11801
; %bb.11796:                            ;   in Loop: Header=BB6_11312 Depth=3
	v_bfe_u32 v36, v27, 23, 8
	s_delay_alu instid0(VALU_DEP_1) | instskip(SKIP_1) | instid1(VALU_DEP_2)
	v_sub_nc_u32_e32 v38, 0x70, v36
	v_cmp_gt_u32_e32 vcc_lo, 0x71, v36
	v_dual_cndmask_b32 v38, 0, v38 :: v_dual_and_b32 v37, 0x7fffff, v27
	s_delay_alu instid0(VALU_DEP_1) | instskip(SKIP_2) | instid1(VALU_DEP_4)
	v_or_b32_e32 v39, 0x800000, v37
	v_cmp_eq_u32_e32 vcc_lo, 0, v36
	v_add_nc_u32_e32 v36, 0xffffff91, v36
	v_cndmask_b32_e64 v38, v38, 0x6f, vcc_lo
	s_delay_alu instid0(VALU_DEP_4) | instskip(NEXT) | instid1(VALU_DEP_3)
	v_cndmask_b32_e32 v37, v39, v37, vcc_lo
	v_cndmask_b32_e64 v36, v36, 0xffffff92, vcc_lo
	s_delay_alu instid0(VALU_DEP_3) | instskip(NEXT) | instid1(VALU_DEP_3)
	v_lshl_add_u32 v39, 0x200000, v38, -1
	v_lshrrev_b32_e32 v48, v38, v37
	v_lshlrev_b32_e64 v50, v38, 0x100000
	s_delay_alu instid0(VALU_DEP_4) | instskip(NEXT) | instid1(VALU_DEP_4)
	v_add_nc_u32_e32 v38, v38, v36
	v_and_b32_e32 v37, v39, v37
	s_delay_alu instid0(VALU_DEP_4) | instskip(NEXT) | instid1(VALU_DEP_2)
	v_bfe_u32 v49, v48, 21, 1
	v_cmp_eq_u32_e64 s13, v37, v50
	s_delay_alu instid0(VALU_DEP_2) | instskip(NEXT) | instid1(VALU_DEP_1)
	v_add_nc_u32_e32 v39, -1, v49
	v_cndmask_b32_e64 v37, 0, v39, s13
	v_lshrrev_b32_e32 v39, 23, v48
	s_mov_b32 s13, exec_lo
	s_delay_alu instid0(VALU_DEP_2) | instskip(NEXT) | instid1(VALU_DEP_2)
	v_add_nc_u32_e32 v37, v37, v48
	v_xor_b32_e32 v39, 1, v39
	s_delay_alu instid0(VALU_DEP_2) | instskip(NEXT) | instid1(VALU_DEP_1)
	v_and_b32_e32 v36, 0x1fffff, v37
	v_add_nc_u32_e32 v37, v36, v48
                                        ; implicit-def: $vgpr36
	s_delay_alu instid0(VALU_DEP_3)
	v_cmpx_ne_u32_e64 v38, v39
	s_xor_b32 s13, exec_lo, s13
; %bb.11797:                            ;   in Loop: Header=BB6_11312 Depth=3
	s_delay_alu instid0(VALU_DEP_2) | instskip(SKIP_2) | instid1(VALU_DEP_2)
	v_cmp_lt_u32_e32 vcc_lo, 0xffffff, v37
	v_sub_nc_u32_e32 v36, v38, v39
	v_cndmask_b32_e64 v38, 0, 1, vcc_lo
	v_add_co_ci_u32_e32 v36, vcc_lo, 0, v36, vcc_lo
	s_delay_alu instid0(VALU_DEP_2)
	v_lshrrev_b32_e32 v37, v38, v37
; %bb.11798:                            ;   in Loop: Header=BB6_11312 Depth=3
	s_and_not1_saveexec_b32 s13, s13
; %bb.11799:                            ;   in Loop: Header=BB6_11312 Depth=3
	s_delay_alu instid0(VALU_DEP_1)
	v_bfe_u32 v36, v37, 23, 1
; %bb.11800:                            ;   in Loop: Header=BB6_11312 Depth=3
	s_or_b32 exec_lo, exec_lo, s13
	v_lshrrev_b32_e32 v37, 21, v37
	s_delay_alu instid0(VALU_DEP_2) | instskip(SKIP_2) | instid1(VALU_DEP_2)
	v_cmp_gt_i32_e32 vcc_lo, 32, v36
	v_min_i32_e32 v38, 31, v36
	v_lshrrev_b32_e32 v27, 24, v27
	v_dual_cndmask_b32 v37, 3, v37 :: v_dual_lshlrev_b32 v38, 2, v38
	s_delay_alu instid0(VALU_DEP_2) | instskip(NEXT) | instid1(VALU_DEP_2)
	v_and_b32_e32 v27, 0x80, v27
	v_or_b32_e32 v36, v36, v37
	s_delay_alu instid0(VALU_DEP_1) | instskip(SKIP_1) | instid1(VALU_DEP_1)
	v_cmp_ne_u32_e32 vcc_lo, 0, v36
	v_and_b32_e32 v39, 3, v37
	v_or3_b32 v27, v38, v27, v39
	s_delay_alu instid0(VALU_DEP_1)
	v_cndmask_b32_e32 v102, 0, v27, vcc_lo
.LBB6_11801:                            ;   in Loop: Header=BB6_11312 Depth=3
	s_or_b32 exec_lo, exec_lo, s30
.LBB6_11802:                            ;   in Loop: Header=BB6_11312 Depth=3
	s_delay_alu instid0(SALU_CYCLE_1) | instskip(SKIP_3) | instid1(VALU_DEP_1)
	s_or_b32 exec_lo, exec_lo, s17
	v_and_b32_e32 v36, 0xff, v44
	s_mov_b32 s13, 0
	s_mov_b32 s30, exec_lo
                                        ; implicit-def: $sgpr17
	v_cmpx_lt_i16_e32 0x7f, v36
	s_xor_b32 s30, exec_lo, s30
	s_cbranch_execnz .LBB6_12395
; %bb.11803:                            ;   in Loop: Header=BB6_11312 Depth=3
	s_or_saveexec_b32 s30, s30
	v_mov_b32_e32 v27, s17
	s_xor_b32 exec_lo, exec_lo, s30
	s_cbranch_execnz .LBB6_12398
.LBB6_11804:                            ;   in Loop: Header=BB6_11312 Depth=3
	s_or_b32 exec_lo, exec_lo, s30
	s_and_saveexec_b32 s17, s13
	s_cbranch_execz .LBB6_11806
.LBB6_11805:                            ;   in Loop: Header=BB6_11312 Depth=3
	v_and_b32_e32 v27, 3, v44
	v_lshrrev_b16 v38, 2, v44
	v_lshlrev_b32_e32 v39, 24, v44
	s_delay_alu instid0(VALU_DEP_3) | instskip(NEXT) | instid1(VALU_DEP_1)
	v_clz_i32_u32_e32 v36, v27
	v_min_u32_e32 v36, 32, v36
	s_delay_alu instid0(VALU_DEP_1) | instskip(SKIP_1) | instid1(VALU_DEP_2)
	v_subrev_nc_u32_e32 v37, 29, v36
	v_sub_nc_u32_e32 v36, 30, v36
	v_lshlrev_b32_e32 v37, v37, v44
	s_delay_alu instid0(VALU_DEP_1) | instskip(SKIP_1) | instid1(VALU_DEP_1)
	v_and_b32_e32 v37, 3, v37
	v_and_b32_e32 v38, 31, v38
	v_cmp_eq_u32_e32 vcc_lo, 0, v38
	s_delay_alu instid0(VALU_DEP_3) | instskip(SKIP_1) | instid1(VALU_DEP_2)
	v_dual_cndmask_b32 v27, v27, v37 :: v_dual_cndmask_b32 v36, v38, v36
	v_and_b32_e32 v37, 0x80000000, v39
	v_lshlrev_b32_e32 v27, 21, v27
	s_delay_alu instid0(VALU_DEP_3) | instskip(NEXT) | instid1(VALU_DEP_1)
	v_lshl_add_u32 v36, v36, 23, 0x37800000
	v_or3_b32 v27, v37, v36, v27
.LBB6_11806:                            ;   in Loop: Header=BB6_11312 Depth=3
	s_or_b32 exec_lo, exec_lo, s17
	s_waitcnt vmcnt(25) lgkmcnt(25)
	v_and_b32_e32 v37, 0xff, v26
	s_mov_b32 s13, 0
	s_mov_b32 s30, exec_lo
                                        ; implicit-def: $sgpr17
	s_delay_alu instid0(VALU_DEP_1)
	v_cmpx_lt_i16_e32 0x7f, v37
	s_xor_b32 s30, exec_lo, s30
	s_cbranch_execnz .LBB6_12399
; %bb.11807:                            ;   in Loop: Header=BB6_11312 Depth=3
	s_or_saveexec_b32 s30, s30
	v_mov_b32_e32 v36, s17
	s_xor_b32 exec_lo, exec_lo, s30
	s_cbranch_execnz .LBB6_12402
.LBB6_11808:                            ;   in Loop: Header=BB6_11312 Depth=3
	s_or_b32 exec_lo, exec_lo, s30
	s_and_saveexec_b32 s17, s13
	s_cbranch_execz .LBB6_11810
.LBB6_11809:                            ;   in Loop: Header=BB6_11312 Depth=3
	v_lshrrev_b16 v39, 2, v26
	s_delay_alu instid0(VALU_DEP_1) | instskip(NEXT) | instid1(VALU_DEP_1)
	v_and_b32_e32 v39, 31, v39
	v_cmp_eq_u32_e32 vcc_lo, 0, v39
	v_and_b32_e32 v36, 3, v26
	s_delay_alu instid0(VALU_DEP_1) | instskip(NEXT) | instid1(VALU_DEP_1)
	v_clz_i32_u32_e32 v37, v36
	v_min_u32_e32 v37, 32, v37
	s_delay_alu instid0(VALU_DEP_1) | instskip(SKIP_1) | instid1(VALU_DEP_1)
	v_subrev_nc_u32_e32 v38, 29, v37
	v_sub_nc_u32_e32 v37, 30, v37
	v_dual_cndmask_b32 v37, v39, v37 :: v_dual_lshlrev_b32 v38, v38, v26
	v_lshlrev_b32_e32 v26, 24, v26
	s_delay_alu instid0(VALU_DEP_2) | instskip(NEXT) | instid1(VALU_DEP_3)
	v_and_b32_e32 v38, 3, v38
	v_lshl_add_u32 v37, v37, 23, 0x37800000
	s_delay_alu instid0(VALU_DEP_3) | instskip(NEXT) | instid1(VALU_DEP_3)
	v_and_b32_e32 v26, 0x80000000, v26
	v_cndmask_b32_e32 v36, v36, v38, vcc_lo
	s_delay_alu instid0(VALU_DEP_1) | instskip(NEXT) | instid1(VALU_DEP_1)
	v_lshlrev_b32_e32 v36, 21, v36
	v_or3_b32 v36, v26, v37, v36
.LBB6_11810:                            ;   in Loop: Header=BB6_11312 Depth=3
	s_or_b32 exec_lo, exec_lo, s17
	s_delay_alu instid0(VALU_DEP_1) | instskip(SKIP_2) | instid1(VALU_DEP_2)
	v_add_f32_e32 v26, v27, v36
	v_mov_b32_e32 v44, 0x80
	s_mov_b32 s17, exec_lo
	v_and_b32_e32 v27, 0x7f800000, v26
	s_delay_alu instid0(VALU_DEP_1)
	v_cmpx_ne_u32_e32 0x7f800000, v27
	s_cbranch_execz .LBB6_11818
; %bb.11811:                            ;   in Loop: Header=BB6_11312 Depth=3
	v_mov_b32_e32 v44, 0
	s_mov_b32 s30, exec_lo
	v_cmpx_ne_u32_e32 0, v26
	s_cbranch_execz .LBB6_11817
; %bb.11812:                            ;   in Loop: Header=BB6_11312 Depth=3
	v_bfe_u32 v27, v26, 23, 8
	s_delay_alu instid0(VALU_DEP_1) | instskip(SKIP_1) | instid1(VALU_DEP_2)
	v_sub_nc_u32_e32 v37, 0x70, v27
	v_cmp_gt_u32_e32 vcc_lo, 0x71, v27
	v_dual_cndmask_b32 v37, 0, v37 :: v_dual_and_b32 v36, 0x7fffff, v26
	s_delay_alu instid0(VALU_DEP_1) | instskip(SKIP_2) | instid1(VALU_DEP_4)
	v_or_b32_e32 v38, 0x800000, v36
	v_cmp_eq_u32_e32 vcc_lo, 0, v27
	v_add_nc_u32_e32 v27, 0xffffff91, v27
	v_cndmask_b32_e64 v37, v37, 0x6f, vcc_lo
	s_delay_alu instid0(VALU_DEP_4) | instskip(NEXT) | instid1(VALU_DEP_3)
	v_cndmask_b32_e32 v36, v38, v36, vcc_lo
	v_cndmask_b32_e64 v27, v27, 0xffffff92, vcc_lo
	s_delay_alu instid0(VALU_DEP_3) | instskip(NEXT) | instid1(VALU_DEP_3)
	v_lshl_add_u32 v38, 0x200000, v37, -1
	v_lshrrev_b32_e32 v39, v37, v36
	v_lshlrev_b32_e64 v49, v37, 0x100000
	s_delay_alu instid0(VALU_DEP_4) | instskip(NEXT) | instid1(VALU_DEP_4)
	v_add_nc_u32_e32 v37, v37, v27
	v_and_b32_e32 v36, v38, v36
	s_delay_alu instid0(VALU_DEP_4) | instskip(NEXT) | instid1(VALU_DEP_2)
	v_bfe_u32 v48, v39, 21, 1
	v_cmp_eq_u32_e64 s13, v36, v49
	s_delay_alu instid0(VALU_DEP_2) | instskip(NEXT) | instid1(VALU_DEP_1)
	v_add_nc_u32_e32 v38, -1, v48
	v_cndmask_b32_e64 v36, 0, v38, s13
	v_lshrrev_b32_e32 v38, 23, v39
	s_mov_b32 s13, exec_lo
	s_delay_alu instid0(VALU_DEP_2) | instskip(NEXT) | instid1(VALU_DEP_2)
	v_add_nc_u32_e32 v36, v36, v39
	v_xor_b32_e32 v38, 1, v38
	s_delay_alu instid0(VALU_DEP_2) | instskip(NEXT) | instid1(VALU_DEP_1)
	v_and_b32_e32 v27, 0x1fffff, v36
	v_add_nc_u32_e32 v36, v27, v39
                                        ; implicit-def: $vgpr27
	s_delay_alu instid0(VALU_DEP_3)
	v_cmpx_ne_u32_e64 v37, v38
	s_xor_b32 s13, exec_lo, s13
; %bb.11813:                            ;   in Loop: Header=BB6_11312 Depth=3
	s_delay_alu instid0(VALU_DEP_2) | instskip(SKIP_2) | instid1(VALU_DEP_2)
	v_cmp_lt_u32_e32 vcc_lo, 0xffffff, v36
	v_sub_nc_u32_e32 v27, v37, v38
	v_cndmask_b32_e64 v37, 0, 1, vcc_lo
	v_add_co_ci_u32_e32 v27, vcc_lo, 0, v27, vcc_lo
	s_delay_alu instid0(VALU_DEP_2)
	v_lshrrev_b32_e32 v36, v37, v36
; %bb.11814:                            ;   in Loop: Header=BB6_11312 Depth=3
	s_and_not1_saveexec_b32 s13, s13
; %bb.11815:                            ;   in Loop: Header=BB6_11312 Depth=3
	s_delay_alu instid0(VALU_DEP_1)
	v_bfe_u32 v27, v36, 23, 1
; %bb.11816:                            ;   in Loop: Header=BB6_11312 Depth=3
	s_or_b32 exec_lo, exec_lo, s13
	v_lshrrev_b32_e32 v36, 21, v36
	s_delay_alu instid0(VALU_DEP_2) | instskip(SKIP_2) | instid1(VALU_DEP_4)
	v_cmp_gt_i32_e32 vcc_lo, 32, v27
	v_lshrrev_b32_e32 v26, 24, v26
	v_min_i32_e32 v37, 31, v27
	v_cndmask_b32_e32 v36, 3, v36, vcc_lo
	s_delay_alu instid0(VALU_DEP_3) | instskip(NEXT) | instid1(VALU_DEP_3)
	v_and_b32_e32 v26, 0x80, v26
	v_lshlrev_b32_e32 v37, 2, v37
	s_delay_alu instid0(VALU_DEP_3) | instskip(SKIP_1) | instid1(VALU_DEP_2)
	v_and_b32_e32 v38, 3, v36
	v_or_b32_e32 v27, v27, v36
	v_or3_b32 v26, v37, v26, v38
	s_delay_alu instid0(VALU_DEP_2) | instskip(NEXT) | instid1(VALU_DEP_2)
	v_cmp_ne_u32_e32 vcc_lo, 0, v27
	v_cndmask_b32_e32 v44, 0, v26, vcc_lo
.LBB6_11817:                            ;   in Loop: Header=BB6_11312 Depth=3
	s_or_b32 exec_lo, exec_lo, s30
.LBB6_11818:                            ;   in Loop: Header=BB6_11312 Depth=3
	s_delay_alu instid0(SALU_CYCLE_1) | instskip(SKIP_3) | instid1(VALU_DEP_1)
	s_or_b32 exec_lo, exec_lo, s17
	v_and_b32_e32 v27, 0xff, v57
	s_mov_b32 s13, 0
	s_mov_b32 s30, exec_lo
                                        ; implicit-def: $sgpr17
	v_cmpx_lt_i16_e32 0x7f, v27
	s_xor_b32 s30, exec_lo, s30
	s_cbranch_execnz .LBB6_12403
; %bb.11819:                            ;   in Loop: Header=BB6_11312 Depth=3
	s_or_saveexec_b32 s30, s30
	v_mov_b32_e32 v26, s17
	s_xor_b32 exec_lo, exec_lo, s30
	s_cbranch_execnz .LBB6_12406
.LBB6_11820:                            ;   in Loop: Header=BB6_11312 Depth=3
	s_or_b32 exec_lo, exec_lo, s30
	s_and_saveexec_b32 s17, s13
	s_cbranch_execz .LBB6_11822
.LBB6_11821:                            ;   in Loop: Header=BB6_11312 Depth=3
	v_lshrrev_b16 v37, 2, v57
	v_lshlrev_b32_e32 v38, 24, v57
	s_delay_alu instid0(VALU_DEP_2) | instskip(NEXT) | instid1(VALU_DEP_1)
	v_and_b32_e32 v37, 31, v37
	v_cmp_eq_u32_e32 vcc_lo, 0, v37
	v_and_b32_e32 v26, 3, v57
	s_delay_alu instid0(VALU_DEP_1) | instskip(NEXT) | instid1(VALU_DEP_1)
	v_clz_i32_u32_e32 v27, v26
	v_min_u32_e32 v27, 32, v27
	s_delay_alu instid0(VALU_DEP_1) | instskip(SKIP_1) | instid1(VALU_DEP_1)
	v_subrev_nc_u32_e32 v36, 29, v27
	v_sub_nc_u32_e32 v27, 30, v27
	v_dual_cndmask_b32 v27, v37, v27 :: v_dual_lshlrev_b32 v36, v36, v57
	s_delay_alu instid0(VALU_DEP_1) | instskip(NEXT) | instid1(VALU_DEP_2)
	v_and_b32_e32 v36, 3, v36
	v_lshl_add_u32 v27, v27, 23, 0x37800000
	s_delay_alu instid0(VALU_DEP_2) | instskip(SKIP_1) | instid1(VALU_DEP_2)
	v_cndmask_b32_e32 v26, v26, v36, vcc_lo
	v_and_b32_e32 v36, 0x80000000, v38
	v_lshlrev_b32_e32 v26, 21, v26
	s_delay_alu instid0(VALU_DEP_1)
	v_or3_b32 v26, v36, v27, v26
.LBB6_11822:                            ;   in Loop: Header=BB6_11312 Depth=3
	s_or_b32 exec_lo, exec_lo, s17
	s_waitcnt vmcnt(24) lgkmcnt(24)
	v_and_b32_e32 v36, 0xff, v98
	s_mov_b32 s13, 0
	s_mov_b32 s30, exec_lo
                                        ; implicit-def: $sgpr17
	s_delay_alu instid0(VALU_DEP_1)
	v_cmpx_lt_i16_e32 0x7f, v36
	s_xor_b32 s30, exec_lo, s30
	s_cbranch_execnz .LBB6_12407
; %bb.11823:                            ;   in Loop: Header=BB6_11312 Depth=3
	s_or_saveexec_b32 s30, s30
	v_mov_b32_e32 v27, s17
	s_xor_b32 exec_lo, exec_lo, s30
	s_cbranch_execnz .LBB6_12410
.LBB6_11824:                            ;   in Loop: Header=BB6_11312 Depth=3
	s_or_b32 exec_lo, exec_lo, s30
	s_and_saveexec_b32 s17, s13
	s_cbranch_execz .LBB6_11826
.LBB6_11825:                            ;   in Loop: Header=BB6_11312 Depth=3
	v_lshrrev_b16 v38, 2, v98
	v_lshlrev_b32_e32 v39, 24, v98
	s_delay_alu instid0(VALU_DEP_2) | instskip(NEXT) | instid1(VALU_DEP_1)
	v_and_b32_e32 v38, 31, v38
	v_cmp_eq_u32_e32 vcc_lo, 0, v38
	v_and_b32_e32 v27, 3, v98
	s_delay_alu instid0(VALU_DEP_1) | instskip(NEXT) | instid1(VALU_DEP_1)
	v_clz_i32_u32_e32 v36, v27
	v_min_u32_e32 v36, 32, v36
	s_delay_alu instid0(VALU_DEP_1) | instskip(SKIP_1) | instid1(VALU_DEP_1)
	v_subrev_nc_u32_e32 v37, 29, v36
	v_sub_nc_u32_e32 v36, 30, v36
	v_dual_cndmask_b32 v36, v38, v36 :: v_dual_lshlrev_b32 v37, v37, v98
	s_delay_alu instid0(VALU_DEP_1) | instskip(NEXT) | instid1(VALU_DEP_2)
	v_and_b32_e32 v37, 3, v37
	v_lshl_add_u32 v36, v36, 23, 0x37800000
	s_delay_alu instid0(VALU_DEP_2) | instskip(SKIP_1) | instid1(VALU_DEP_2)
	v_cndmask_b32_e32 v27, v27, v37, vcc_lo
	v_and_b32_e32 v37, 0x80000000, v39
	v_lshlrev_b32_e32 v27, 21, v27
	s_delay_alu instid0(VALU_DEP_1)
	v_or3_b32 v27, v37, v36, v27
.LBB6_11826:                            ;   in Loop: Header=BB6_11312 Depth=3
	s_or_b32 exec_lo, exec_lo, s17
	s_delay_alu instid0(VALU_DEP_1) | instskip(SKIP_1) | instid1(VALU_DEP_1)
	v_dual_add_f32 v26, v26, v27 :: v_dual_mov_b32 v57, 0x80
	s_mov_b32 s17, exec_lo
	v_and_b32_e32 v27, 0x7f800000, v26
	s_delay_alu instid0(VALU_DEP_1)
	v_cmpx_ne_u32_e32 0x7f800000, v27
	s_cbranch_execz .LBB6_11834
; %bb.11827:                            ;   in Loop: Header=BB6_11312 Depth=3
	v_mov_b32_e32 v57, 0
	s_mov_b32 s30, exec_lo
	v_cmpx_ne_u32_e32 0, v26
	s_cbranch_execz .LBB6_11833
; %bb.11828:                            ;   in Loop: Header=BB6_11312 Depth=3
	v_bfe_u32 v27, v26, 23, 8
	s_delay_alu instid0(VALU_DEP_1) | instskip(SKIP_1) | instid1(VALU_DEP_2)
	v_sub_nc_u32_e32 v37, 0x70, v27
	v_cmp_gt_u32_e32 vcc_lo, 0x71, v27
	v_dual_cndmask_b32 v37, 0, v37 :: v_dual_and_b32 v36, 0x7fffff, v26
	s_delay_alu instid0(VALU_DEP_1) | instskip(SKIP_2) | instid1(VALU_DEP_4)
	v_or_b32_e32 v38, 0x800000, v36
	v_cmp_eq_u32_e32 vcc_lo, 0, v27
	v_add_nc_u32_e32 v27, 0xffffff91, v27
	v_cndmask_b32_e64 v37, v37, 0x6f, vcc_lo
	s_delay_alu instid0(VALU_DEP_4) | instskip(NEXT) | instid1(VALU_DEP_3)
	v_cndmask_b32_e32 v36, v38, v36, vcc_lo
	v_cndmask_b32_e64 v27, v27, 0xffffff92, vcc_lo
	s_delay_alu instid0(VALU_DEP_3) | instskip(NEXT) | instid1(VALU_DEP_3)
	v_lshl_add_u32 v38, 0x200000, v37, -1
	v_lshrrev_b32_e32 v39, v37, v36
	v_lshlrev_b32_e64 v49, v37, 0x100000
	s_delay_alu instid0(VALU_DEP_4) | instskip(NEXT) | instid1(VALU_DEP_4)
	v_add_nc_u32_e32 v37, v37, v27
	v_and_b32_e32 v36, v38, v36
	s_delay_alu instid0(VALU_DEP_4) | instskip(NEXT) | instid1(VALU_DEP_2)
	v_bfe_u32 v48, v39, 21, 1
	v_cmp_eq_u32_e64 s13, v36, v49
	s_delay_alu instid0(VALU_DEP_2) | instskip(NEXT) | instid1(VALU_DEP_1)
	v_add_nc_u32_e32 v38, -1, v48
	v_cndmask_b32_e64 v36, 0, v38, s13
	v_lshrrev_b32_e32 v38, 23, v39
	s_mov_b32 s13, exec_lo
	s_delay_alu instid0(VALU_DEP_2) | instskip(NEXT) | instid1(VALU_DEP_2)
	v_add_nc_u32_e32 v36, v36, v39
	v_xor_b32_e32 v38, 1, v38
	s_delay_alu instid0(VALU_DEP_2) | instskip(NEXT) | instid1(VALU_DEP_1)
	v_and_b32_e32 v27, 0x1fffff, v36
	v_add_nc_u32_e32 v36, v27, v39
                                        ; implicit-def: $vgpr27
	s_delay_alu instid0(VALU_DEP_3)
	v_cmpx_ne_u32_e64 v37, v38
	s_xor_b32 s13, exec_lo, s13
; %bb.11829:                            ;   in Loop: Header=BB6_11312 Depth=3
	s_delay_alu instid0(VALU_DEP_2) | instskip(SKIP_2) | instid1(VALU_DEP_2)
	v_cmp_lt_u32_e32 vcc_lo, 0xffffff, v36
	v_sub_nc_u32_e32 v27, v37, v38
	v_cndmask_b32_e64 v37, 0, 1, vcc_lo
	v_add_co_ci_u32_e32 v27, vcc_lo, 0, v27, vcc_lo
	s_delay_alu instid0(VALU_DEP_2)
	v_lshrrev_b32_e32 v36, v37, v36
; %bb.11830:                            ;   in Loop: Header=BB6_11312 Depth=3
	s_and_not1_saveexec_b32 s13, s13
; %bb.11831:                            ;   in Loop: Header=BB6_11312 Depth=3
	s_delay_alu instid0(VALU_DEP_1)
	v_bfe_u32 v27, v36, 23, 1
; %bb.11832:                            ;   in Loop: Header=BB6_11312 Depth=3
	s_or_b32 exec_lo, exec_lo, s13
	v_lshrrev_b32_e32 v36, 21, v36
	s_delay_alu instid0(VALU_DEP_2) | instskip(SKIP_2) | instid1(VALU_DEP_2)
	v_cmp_gt_i32_e32 vcc_lo, 32, v27
	v_min_i32_e32 v37, 31, v27
	v_lshrrev_b32_e32 v26, 24, v26
	v_dual_cndmask_b32 v36, 3, v36 :: v_dual_lshlrev_b32 v37, 2, v37
	s_delay_alu instid0(VALU_DEP_2) | instskip(NEXT) | instid1(VALU_DEP_2)
	v_and_b32_e32 v26, 0x80, v26
	v_or_b32_e32 v27, v27, v36
	s_delay_alu instid0(VALU_DEP_1) | instskip(SKIP_1) | instid1(VALU_DEP_1)
	v_cmp_ne_u32_e32 vcc_lo, 0, v27
	v_and_b32_e32 v38, 3, v36
	v_or3_b32 v26, v37, v26, v38
	s_delay_alu instid0(VALU_DEP_1)
	v_cndmask_b32_e32 v57, 0, v26, vcc_lo
.LBB6_11833:                            ;   in Loop: Header=BB6_11312 Depth=3
	s_or_b32 exec_lo, exec_lo, s30
.LBB6_11834:                            ;   in Loop: Header=BB6_11312 Depth=3
	s_delay_alu instid0(SALU_CYCLE_1) | instskip(SKIP_3) | instid1(VALU_DEP_1)
	s_or_b32 exec_lo, exec_lo, s17
	v_and_b32_e32 v27, 0xff, v58
	s_mov_b32 s13, 0
	s_mov_b32 s30, exec_lo
                                        ; implicit-def: $sgpr17
	v_cmpx_lt_i16_e32 0x7f, v27
	s_xor_b32 s30, exec_lo, s30
	s_cbranch_execnz .LBB6_12411
; %bb.11835:                            ;   in Loop: Header=BB6_11312 Depth=3
	s_or_saveexec_b32 s30, s30
	v_mov_b32_e32 v26, s17
	s_xor_b32 exec_lo, exec_lo, s30
	s_cbranch_execnz .LBB6_12414
.LBB6_11836:                            ;   in Loop: Header=BB6_11312 Depth=3
	s_or_b32 exec_lo, exec_lo, s30
	s_and_saveexec_b32 s17, s13
	s_cbranch_execz .LBB6_11838
.LBB6_11837:                            ;   in Loop: Header=BB6_11312 Depth=3
	v_lshrrev_b16 v37, 2, v58
	v_lshlrev_b32_e32 v38, 24, v58
	s_delay_alu instid0(VALU_DEP_2) | instskip(NEXT) | instid1(VALU_DEP_1)
	v_and_b32_e32 v37, 31, v37
	v_cmp_eq_u32_e32 vcc_lo, 0, v37
	v_and_b32_e32 v26, 3, v58
	s_delay_alu instid0(VALU_DEP_1) | instskip(NEXT) | instid1(VALU_DEP_1)
	v_clz_i32_u32_e32 v27, v26
	v_min_u32_e32 v27, 32, v27
	s_delay_alu instid0(VALU_DEP_1) | instskip(SKIP_1) | instid1(VALU_DEP_1)
	v_subrev_nc_u32_e32 v36, 29, v27
	v_sub_nc_u32_e32 v27, 30, v27
	v_dual_cndmask_b32 v27, v37, v27 :: v_dual_lshlrev_b32 v36, v36, v58
	s_delay_alu instid0(VALU_DEP_1) | instskip(NEXT) | instid1(VALU_DEP_2)
	v_and_b32_e32 v36, 3, v36
	v_lshl_add_u32 v27, v27, 23, 0x37800000
	s_delay_alu instid0(VALU_DEP_2) | instskip(SKIP_1) | instid1(VALU_DEP_2)
	v_cndmask_b32_e32 v26, v26, v36, vcc_lo
	v_and_b32_e32 v36, 0x80000000, v38
	v_lshlrev_b32_e32 v26, 21, v26
	s_delay_alu instid0(VALU_DEP_1)
	v_or3_b32 v26, v36, v27, v26
.LBB6_11838:                            ;   in Loop: Header=BB6_11312 Depth=3
	s_or_b32 exec_lo, exec_lo, s17
	s_waitcnt vmcnt(23) lgkmcnt(23)
	v_and_b32_e32 v36, 0xff, v75
	s_mov_b32 s13, 0
	s_mov_b32 s30, exec_lo
                                        ; implicit-def: $sgpr17
	s_delay_alu instid0(VALU_DEP_1)
	v_cmpx_lt_i16_e32 0x7f, v36
	s_xor_b32 s30, exec_lo, s30
	s_cbranch_execnz .LBB6_12415
; %bb.11839:                            ;   in Loop: Header=BB6_11312 Depth=3
	s_or_saveexec_b32 s30, s30
	v_mov_b32_e32 v27, s17
	s_xor_b32 exec_lo, exec_lo, s30
	s_cbranch_execnz .LBB6_12418
.LBB6_11840:                            ;   in Loop: Header=BB6_11312 Depth=3
	s_or_b32 exec_lo, exec_lo, s30
	s_and_saveexec_b32 s17, s13
	s_cbranch_execz .LBB6_11842
.LBB6_11841:                            ;   in Loop: Header=BB6_11312 Depth=3
	v_lshrrev_b16 v38, 2, v75
	v_lshlrev_b32_e32 v39, 24, v75
	s_delay_alu instid0(VALU_DEP_2) | instskip(NEXT) | instid1(VALU_DEP_1)
	v_and_b32_e32 v38, 31, v38
	v_cmp_eq_u32_e32 vcc_lo, 0, v38
	v_and_b32_e32 v27, 3, v75
	s_delay_alu instid0(VALU_DEP_1) | instskip(NEXT) | instid1(VALU_DEP_1)
	v_clz_i32_u32_e32 v36, v27
	v_min_u32_e32 v36, 32, v36
	s_delay_alu instid0(VALU_DEP_1) | instskip(SKIP_1) | instid1(VALU_DEP_1)
	v_subrev_nc_u32_e32 v37, 29, v36
	v_sub_nc_u32_e32 v36, 30, v36
	v_dual_cndmask_b32 v36, v38, v36 :: v_dual_lshlrev_b32 v37, v37, v75
	s_delay_alu instid0(VALU_DEP_1) | instskip(NEXT) | instid1(VALU_DEP_2)
	v_and_b32_e32 v37, 3, v37
	v_lshl_add_u32 v36, v36, 23, 0x37800000
	s_delay_alu instid0(VALU_DEP_2) | instskip(SKIP_1) | instid1(VALU_DEP_2)
	v_cndmask_b32_e32 v27, v27, v37, vcc_lo
	v_and_b32_e32 v37, 0x80000000, v39
	v_lshlrev_b32_e32 v27, 21, v27
	s_delay_alu instid0(VALU_DEP_1)
	v_or3_b32 v27, v37, v36, v27
.LBB6_11842:                            ;   in Loop: Header=BB6_11312 Depth=3
	s_or_b32 exec_lo, exec_lo, s17
	s_delay_alu instid0(VALU_DEP_1) | instskip(SKIP_2) | instid1(VALU_DEP_2)
	v_add_f32_e32 v26, v26, v27
	v_mov_b32_e32 v58, 0x80
	s_mov_b32 s17, exec_lo
	v_and_b32_e32 v27, 0x7f800000, v26
	s_delay_alu instid0(VALU_DEP_1)
	v_cmpx_ne_u32_e32 0x7f800000, v27
	s_cbranch_execz .LBB6_11850
; %bb.11843:                            ;   in Loop: Header=BB6_11312 Depth=3
	v_mov_b32_e32 v58, 0
	s_mov_b32 s30, exec_lo
	v_cmpx_ne_u32_e32 0, v26
	s_cbranch_execz .LBB6_11849
; %bb.11844:                            ;   in Loop: Header=BB6_11312 Depth=3
	v_bfe_u32 v27, v26, 23, 8
	s_delay_alu instid0(VALU_DEP_1) | instskip(SKIP_1) | instid1(VALU_DEP_2)
	v_sub_nc_u32_e32 v37, 0x70, v27
	v_cmp_gt_u32_e32 vcc_lo, 0x71, v27
	v_dual_cndmask_b32 v37, 0, v37 :: v_dual_and_b32 v36, 0x7fffff, v26
	s_delay_alu instid0(VALU_DEP_1) | instskip(SKIP_2) | instid1(VALU_DEP_4)
	v_or_b32_e32 v38, 0x800000, v36
	v_cmp_eq_u32_e32 vcc_lo, 0, v27
	v_add_nc_u32_e32 v27, 0xffffff91, v27
	v_cndmask_b32_e64 v37, v37, 0x6f, vcc_lo
	s_delay_alu instid0(VALU_DEP_4) | instskip(NEXT) | instid1(VALU_DEP_3)
	v_cndmask_b32_e32 v36, v38, v36, vcc_lo
	v_cndmask_b32_e64 v27, v27, 0xffffff92, vcc_lo
	s_delay_alu instid0(VALU_DEP_3) | instskip(NEXT) | instid1(VALU_DEP_3)
	v_lshl_add_u32 v38, 0x200000, v37, -1
	v_lshrrev_b32_e32 v39, v37, v36
	v_lshlrev_b32_e64 v49, v37, 0x100000
	s_delay_alu instid0(VALU_DEP_4) | instskip(NEXT) | instid1(VALU_DEP_4)
	v_add_nc_u32_e32 v37, v37, v27
	v_and_b32_e32 v36, v38, v36
	s_delay_alu instid0(VALU_DEP_4) | instskip(NEXT) | instid1(VALU_DEP_2)
	v_bfe_u32 v48, v39, 21, 1
	v_cmp_eq_u32_e64 s13, v36, v49
	s_delay_alu instid0(VALU_DEP_2) | instskip(NEXT) | instid1(VALU_DEP_1)
	v_add_nc_u32_e32 v38, -1, v48
	v_cndmask_b32_e64 v36, 0, v38, s13
	v_lshrrev_b32_e32 v38, 23, v39
	s_mov_b32 s13, exec_lo
	s_delay_alu instid0(VALU_DEP_2) | instskip(NEXT) | instid1(VALU_DEP_2)
	v_add_nc_u32_e32 v36, v36, v39
	v_xor_b32_e32 v38, 1, v38
	s_delay_alu instid0(VALU_DEP_2) | instskip(NEXT) | instid1(VALU_DEP_1)
	v_and_b32_e32 v27, 0x1fffff, v36
	v_add_nc_u32_e32 v36, v27, v39
                                        ; implicit-def: $vgpr27
	s_delay_alu instid0(VALU_DEP_3)
	v_cmpx_ne_u32_e64 v37, v38
	s_xor_b32 s13, exec_lo, s13
; %bb.11845:                            ;   in Loop: Header=BB6_11312 Depth=3
	s_delay_alu instid0(VALU_DEP_2) | instskip(SKIP_2) | instid1(VALU_DEP_2)
	v_cmp_lt_u32_e32 vcc_lo, 0xffffff, v36
	v_sub_nc_u32_e32 v27, v37, v38
	v_cndmask_b32_e64 v37, 0, 1, vcc_lo
	v_add_co_ci_u32_e32 v27, vcc_lo, 0, v27, vcc_lo
	s_delay_alu instid0(VALU_DEP_2)
	v_lshrrev_b32_e32 v36, v37, v36
; %bb.11846:                            ;   in Loop: Header=BB6_11312 Depth=3
	s_and_not1_saveexec_b32 s13, s13
; %bb.11847:                            ;   in Loop: Header=BB6_11312 Depth=3
	s_delay_alu instid0(VALU_DEP_1)
	v_bfe_u32 v27, v36, 23, 1
; %bb.11848:                            ;   in Loop: Header=BB6_11312 Depth=3
	s_or_b32 exec_lo, exec_lo, s13
	v_lshrrev_b32_e32 v36, 21, v36
	s_delay_alu instid0(VALU_DEP_2) | instskip(SKIP_2) | instid1(VALU_DEP_4)
	v_cmp_gt_i32_e32 vcc_lo, 32, v27
	v_lshrrev_b32_e32 v26, 24, v26
	v_min_i32_e32 v37, 31, v27
	v_cndmask_b32_e32 v36, 3, v36, vcc_lo
	s_delay_alu instid0(VALU_DEP_3) | instskip(NEXT) | instid1(VALU_DEP_3)
	v_and_b32_e32 v26, 0x80, v26
	v_lshlrev_b32_e32 v37, 2, v37
	s_delay_alu instid0(VALU_DEP_3) | instskip(SKIP_1) | instid1(VALU_DEP_2)
	v_and_b32_e32 v38, 3, v36
	v_or_b32_e32 v27, v27, v36
	v_or3_b32 v26, v37, v26, v38
	s_delay_alu instid0(VALU_DEP_2) | instskip(NEXT) | instid1(VALU_DEP_2)
	v_cmp_ne_u32_e32 vcc_lo, 0, v27
	v_cndmask_b32_e32 v58, 0, v26, vcc_lo
.LBB6_11849:                            ;   in Loop: Header=BB6_11312 Depth=3
	s_or_b32 exec_lo, exec_lo, s30
.LBB6_11850:                            ;   in Loop: Header=BB6_11312 Depth=3
	s_delay_alu instid0(SALU_CYCLE_1) | instskip(SKIP_3) | instid1(VALU_DEP_1)
	s_or_b32 exec_lo, exec_lo, s17
	v_and_b32_e32 v27, 0xff, v56
	s_mov_b32 s13, 0
	s_mov_b32 s30, exec_lo
                                        ; implicit-def: $sgpr17
	v_cmpx_lt_i16_e32 0x7f, v27
	s_xor_b32 s30, exec_lo, s30
	s_cbranch_execnz .LBB6_12419
; %bb.11851:                            ;   in Loop: Header=BB6_11312 Depth=3
	s_or_saveexec_b32 s30, s30
	v_mov_b32_e32 v26, s17
	s_xor_b32 exec_lo, exec_lo, s30
	s_cbranch_execnz .LBB6_12422
.LBB6_11852:                            ;   in Loop: Header=BB6_11312 Depth=3
	s_or_b32 exec_lo, exec_lo, s30
	s_and_saveexec_b32 s17, s13
	s_cbranch_execz .LBB6_11854
.LBB6_11853:                            ;   in Loop: Header=BB6_11312 Depth=3
	v_lshrrev_b16 v37, 2, v56
	v_lshlrev_b32_e32 v38, 24, v56
	s_delay_alu instid0(VALU_DEP_2) | instskip(NEXT) | instid1(VALU_DEP_1)
	v_and_b32_e32 v37, 31, v37
	v_cmp_eq_u32_e32 vcc_lo, 0, v37
	v_and_b32_e32 v26, 3, v56
	s_delay_alu instid0(VALU_DEP_1) | instskip(NEXT) | instid1(VALU_DEP_1)
	v_clz_i32_u32_e32 v27, v26
	v_min_u32_e32 v27, 32, v27
	s_delay_alu instid0(VALU_DEP_1) | instskip(SKIP_1) | instid1(VALU_DEP_1)
	v_subrev_nc_u32_e32 v36, 29, v27
	v_sub_nc_u32_e32 v27, 30, v27
	v_dual_cndmask_b32 v27, v37, v27 :: v_dual_lshlrev_b32 v36, v36, v56
	s_delay_alu instid0(VALU_DEP_1) | instskip(NEXT) | instid1(VALU_DEP_2)
	v_and_b32_e32 v36, 3, v36
	v_lshl_add_u32 v27, v27, 23, 0x37800000
	s_delay_alu instid0(VALU_DEP_2) | instskip(SKIP_1) | instid1(VALU_DEP_2)
	v_cndmask_b32_e32 v26, v26, v36, vcc_lo
	v_and_b32_e32 v36, 0x80000000, v38
	v_lshlrev_b32_e32 v26, 21, v26
	s_delay_alu instid0(VALU_DEP_1)
	v_or3_b32 v26, v36, v27, v26
.LBB6_11854:                            ;   in Loop: Header=BB6_11312 Depth=3
	s_or_b32 exec_lo, exec_lo, s17
	s_waitcnt vmcnt(22) lgkmcnt(22)
	v_and_b32_e32 v36, 0xff, v115
	s_mov_b32 s13, 0
	s_mov_b32 s30, exec_lo
                                        ; implicit-def: $sgpr17
	s_delay_alu instid0(VALU_DEP_1)
	v_cmpx_lt_i16_e32 0x7f, v36
	s_xor_b32 s30, exec_lo, s30
	s_cbranch_execnz .LBB6_12423
; %bb.11855:                            ;   in Loop: Header=BB6_11312 Depth=3
	s_or_saveexec_b32 s30, s30
	v_mov_b32_e32 v27, s17
	s_xor_b32 exec_lo, exec_lo, s30
	s_cbranch_execnz .LBB6_12426
.LBB6_11856:                            ;   in Loop: Header=BB6_11312 Depth=3
	s_or_b32 exec_lo, exec_lo, s30
	s_and_saveexec_b32 s17, s13
	s_cbranch_execz .LBB6_11858
.LBB6_11857:                            ;   in Loop: Header=BB6_11312 Depth=3
	v_lshrrev_b16 v38, 2, v115
	v_lshlrev_b32_e32 v39, 24, v115
	s_delay_alu instid0(VALU_DEP_2) | instskip(NEXT) | instid1(VALU_DEP_1)
	v_and_b32_e32 v38, 31, v38
	v_cmp_eq_u32_e32 vcc_lo, 0, v38
	v_and_b32_e32 v27, 3, v115
	s_delay_alu instid0(VALU_DEP_1) | instskip(NEXT) | instid1(VALU_DEP_1)
	v_clz_i32_u32_e32 v36, v27
	v_min_u32_e32 v36, 32, v36
	s_delay_alu instid0(VALU_DEP_1) | instskip(SKIP_1) | instid1(VALU_DEP_1)
	v_subrev_nc_u32_e32 v37, 29, v36
	v_sub_nc_u32_e32 v36, 30, v36
	v_dual_cndmask_b32 v36, v38, v36 :: v_dual_lshlrev_b32 v37, v37, v115
	s_delay_alu instid0(VALU_DEP_1) | instskip(NEXT) | instid1(VALU_DEP_2)
	v_and_b32_e32 v37, 3, v37
	v_lshl_add_u32 v36, v36, 23, 0x37800000
	s_delay_alu instid0(VALU_DEP_2) | instskip(SKIP_1) | instid1(VALU_DEP_2)
	v_cndmask_b32_e32 v27, v27, v37, vcc_lo
	v_and_b32_e32 v37, 0x80000000, v39
	v_lshlrev_b32_e32 v27, 21, v27
	s_delay_alu instid0(VALU_DEP_1)
	v_or3_b32 v27, v37, v36, v27
.LBB6_11858:                            ;   in Loop: Header=BB6_11312 Depth=3
	s_or_b32 exec_lo, exec_lo, s17
	s_delay_alu instid0(VALU_DEP_1) | instskip(SKIP_2) | instid1(VALU_DEP_2)
	v_add_f32_e32 v26, v26, v27
	v_mov_b32_e32 v56, 0x80
	s_mov_b32 s17, exec_lo
	v_and_b32_e32 v27, 0x7f800000, v26
	s_delay_alu instid0(VALU_DEP_1)
	v_cmpx_ne_u32_e32 0x7f800000, v27
	s_cbranch_execz .LBB6_11866
; %bb.11859:                            ;   in Loop: Header=BB6_11312 Depth=3
	v_mov_b32_e32 v56, 0
	s_mov_b32 s30, exec_lo
	v_cmpx_ne_u32_e32 0, v26
	s_cbranch_execz .LBB6_11865
; %bb.11860:                            ;   in Loop: Header=BB6_11312 Depth=3
	v_bfe_u32 v27, v26, 23, 8
	s_delay_alu instid0(VALU_DEP_1) | instskip(SKIP_1) | instid1(VALU_DEP_2)
	v_sub_nc_u32_e32 v37, 0x70, v27
	v_cmp_gt_u32_e32 vcc_lo, 0x71, v27
	v_dual_cndmask_b32 v37, 0, v37 :: v_dual_and_b32 v36, 0x7fffff, v26
	s_delay_alu instid0(VALU_DEP_1) | instskip(SKIP_2) | instid1(VALU_DEP_4)
	v_or_b32_e32 v38, 0x800000, v36
	v_cmp_eq_u32_e32 vcc_lo, 0, v27
	v_add_nc_u32_e32 v27, 0xffffff91, v27
	v_cndmask_b32_e64 v37, v37, 0x6f, vcc_lo
	s_delay_alu instid0(VALU_DEP_4) | instskip(NEXT) | instid1(VALU_DEP_3)
	v_cndmask_b32_e32 v36, v38, v36, vcc_lo
	v_cndmask_b32_e64 v27, v27, 0xffffff92, vcc_lo
	s_delay_alu instid0(VALU_DEP_3) | instskip(NEXT) | instid1(VALU_DEP_3)
	v_lshl_add_u32 v38, 0x200000, v37, -1
	v_lshrrev_b32_e32 v39, v37, v36
	v_lshlrev_b32_e64 v49, v37, 0x100000
	s_delay_alu instid0(VALU_DEP_4) | instskip(NEXT) | instid1(VALU_DEP_4)
	v_add_nc_u32_e32 v37, v37, v27
	v_and_b32_e32 v36, v38, v36
	s_delay_alu instid0(VALU_DEP_4) | instskip(NEXT) | instid1(VALU_DEP_2)
	v_bfe_u32 v48, v39, 21, 1
	v_cmp_eq_u32_e64 s13, v36, v49
	s_delay_alu instid0(VALU_DEP_2) | instskip(NEXT) | instid1(VALU_DEP_1)
	v_add_nc_u32_e32 v38, -1, v48
	v_cndmask_b32_e64 v36, 0, v38, s13
	v_lshrrev_b32_e32 v38, 23, v39
	s_mov_b32 s13, exec_lo
	s_delay_alu instid0(VALU_DEP_2) | instskip(NEXT) | instid1(VALU_DEP_2)
	v_add_nc_u32_e32 v36, v36, v39
	v_xor_b32_e32 v38, 1, v38
	s_delay_alu instid0(VALU_DEP_2) | instskip(NEXT) | instid1(VALU_DEP_1)
	v_and_b32_e32 v27, 0x1fffff, v36
	v_add_nc_u32_e32 v36, v27, v39
                                        ; implicit-def: $vgpr27
	s_delay_alu instid0(VALU_DEP_3)
	v_cmpx_ne_u32_e64 v37, v38
	s_xor_b32 s13, exec_lo, s13
; %bb.11861:                            ;   in Loop: Header=BB6_11312 Depth=3
	s_delay_alu instid0(VALU_DEP_2) | instskip(SKIP_2) | instid1(VALU_DEP_2)
	v_cmp_lt_u32_e32 vcc_lo, 0xffffff, v36
	v_sub_nc_u32_e32 v27, v37, v38
	v_cndmask_b32_e64 v37, 0, 1, vcc_lo
	v_add_co_ci_u32_e32 v27, vcc_lo, 0, v27, vcc_lo
	s_delay_alu instid0(VALU_DEP_2)
	v_lshrrev_b32_e32 v36, v37, v36
; %bb.11862:                            ;   in Loop: Header=BB6_11312 Depth=3
	s_and_not1_saveexec_b32 s13, s13
; %bb.11863:                            ;   in Loop: Header=BB6_11312 Depth=3
	s_delay_alu instid0(VALU_DEP_1)
	v_bfe_u32 v27, v36, 23, 1
; %bb.11864:                            ;   in Loop: Header=BB6_11312 Depth=3
	s_or_b32 exec_lo, exec_lo, s13
	v_lshrrev_b32_e32 v36, 21, v36
	s_delay_alu instid0(VALU_DEP_2) | instskip(SKIP_2) | instid1(VALU_DEP_4)
	v_cmp_gt_i32_e32 vcc_lo, 32, v27
	v_lshrrev_b32_e32 v26, 24, v26
	v_min_i32_e32 v37, 31, v27
	v_cndmask_b32_e32 v36, 3, v36, vcc_lo
	s_delay_alu instid0(VALU_DEP_3) | instskip(NEXT) | instid1(VALU_DEP_3)
	v_and_b32_e32 v26, 0x80, v26
	v_lshlrev_b32_e32 v37, 2, v37
	s_delay_alu instid0(VALU_DEP_3) | instskip(SKIP_1) | instid1(VALU_DEP_2)
	v_and_b32_e32 v38, 3, v36
	v_or_b32_e32 v27, v27, v36
	v_or3_b32 v26, v37, v26, v38
	s_delay_alu instid0(VALU_DEP_2) | instskip(NEXT) | instid1(VALU_DEP_2)
	v_cmp_ne_u32_e32 vcc_lo, 0, v27
	v_cndmask_b32_e32 v56, 0, v26, vcc_lo
.LBB6_11865:                            ;   in Loop: Header=BB6_11312 Depth=3
	s_or_b32 exec_lo, exec_lo, s30
.LBB6_11866:                            ;   in Loop: Header=BB6_11312 Depth=3
	s_delay_alu instid0(SALU_CYCLE_1) | instskip(SKIP_3) | instid1(VALU_DEP_1)
	s_or_b32 exec_lo, exec_lo, s17
	v_and_b32_e32 v27, 0xff, v113
	s_mov_b32 s13, 0
	s_mov_b32 s30, exec_lo
                                        ; implicit-def: $sgpr17
	v_cmpx_lt_i16_e32 0x7f, v27
	s_xor_b32 s30, exec_lo, s30
	s_cbranch_execnz .LBB6_12427
; %bb.11867:                            ;   in Loop: Header=BB6_11312 Depth=3
	s_or_saveexec_b32 s30, s30
	v_mov_b32_e32 v26, s17
	s_xor_b32 exec_lo, exec_lo, s30
	s_cbranch_execnz .LBB6_12430
.LBB6_11868:                            ;   in Loop: Header=BB6_11312 Depth=3
	s_or_b32 exec_lo, exec_lo, s30
	s_and_saveexec_b32 s17, s13
	s_cbranch_execz .LBB6_11870
.LBB6_11869:                            ;   in Loop: Header=BB6_11312 Depth=3
	v_lshrrev_b16 v37, 2, v113
	v_lshlrev_b32_e32 v38, 24, v113
	s_delay_alu instid0(VALU_DEP_2) | instskip(NEXT) | instid1(VALU_DEP_1)
	v_and_b32_e32 v37, 31, v37
	v_cmp_eq_u32_e32 vcc_lo, 0, v37
	v_and_b32_e32 v26, 3, v113
	s_delay_alu instid0(VALU_DEP_1) | instskip(NEXT) | instid1(VALU_DEP_1)
	v_clz_i32_u32_e32 v27, v26
	v_min_u32_e32 v27, 32, v27
	s_delay_alu instid0(VALU_DEP_1) | instskip(SKIP_1) | instid1(VALU_DEP_1)
	v_subrev_nc_u32_e32 v36, 29, v27
	v_sub_nc_u32_e32 v27, 30, v27
	v_dual_cndmask_b32 v27, v37, v27 :: v_dual_lshlrev_b32 v36, v36, v113
	s_delay_alu instid0(VALU_DEP_1) | instskip(NEXT) | instid1(VALU_DEP_2)
	v_and_b32_e32 v36, 3, v36
	v_lshl_add_u32 v27, v27, 23, 0x37800000
	s_delay_alu instid0(VALU_DEP_2) | instskip(SKIP_1) | instid1(VALU_DEP_2)
	v_cndmask_b32_e32 v26, v26, v36, vcc_lo
	v_and_b32_e32 v36, 0x80000000, v38
	v_lshlrev_b32_e32 v26, 21, v26
	s_delay_alu instid0(VALU_DEP_1)
	v_or3_b32 v26, v36, v27, v26
.LBB6_11870:                            ;   in Loop: Header=BB6_11312 Depth=3
	s_or_b32 exec_lo, exec_lo, s17
	s_waitcnt vmcnt(21) lgkmcnt(21)
	v_and_b32_e32 v36, 0xff, v132
	s_mov_b32 s13, 0
	s_mov_b32 s30, exec_lo
                                        ; implicit-def: $sgpr17
	s_delay_alu instid0(VALU_DEP_1)
	v_cmpx_lt_i16_e32 0x7f, v36
	s_xor_b32 s30, exec_lo, s30
	s_cbranch_execnz .LBB6_12431
; %bb.11871:                            ;   in Loop: Header=BB6_11312 Depth=3
	s_or_saveexec_b32 s30, s30
	v_mov_b32_e32 v27, s17
	s_xor_b32 exec_lo, exec_lo, s30
	s_cbranch_execnz .LBB6_12434
.LBB6_11872:                            ;   in Loop: Header=BB6_11312 Depth=3
	s_or_b32 exec_lo, exec_lo, s30
	s_and_saveexec_b32 s17, s13
	s_cbranch_execz .LBB6_11874
.LBB6_11873:                            ;   in Loop: Header=BB6_11312 Depth=3
	v_and_b32_e32 v27, 3, v132
	v_lshrrev_b16 v38, 2, v132
	v_lshlrev_b32_e32 v39, 24, v132
	s_delay_alu instid0(VALU_DEP_3) | instskip(NEXT) | instid1(VALU_DEP_1)
	v_clz_i32_u32_e32 v36, v27
	v_min_u32_e32 v36, 32, v36
	s_delay_alu instid0(VALU_DEP_1) | instskip(SKIP_1) | instid1(VALU_DEP_2)
	v_subrev_nc_u32_e32 v37, 29, v36
	v_sub_nc_u32_e32 v36, 30, v36
	v_lshlrev_b32_e32 v37, v37, v132
	s_delay_alu instid0(VALU_DEP_1) | instskip(SKIP_1) | instid1(VALU_DEP_1)
	v_and_b32_e32 v37, 3, v37
	v_and_b32_e32 v38, 31, v38
	v_cmp_eq_u32_e32 vcc_lo, 0, v38
	s_delay_alu instid0(VALU_DEP_3) | instskip(SKIP_1) | instid1(VALU_DEP_2)
	v_dual_cndmask_b32 v27, v27, v37 :: v_dual_cndmask_b32 v36, v38, v36
	v_and_b32_e32 v37, 0x80000000, v39
	v_lshlrev_b32_e32 v27, 21, v27
	s_delay_alu instid0(VALU_DEP_3) | instskip(NEXT) | instid1(VALU_DEP_1)
	v_lshl_add_u32 v36, v36, 23, 0x37800000
	v_or3_b32 v27, v37, v36, v27
.LBB6_11874:                            ;   in Loop: Header=BB6_11312 Depth=3
	s_or_b32 exec_lo, exec_lo, s17
	s_delay_alu instid0(VALU_DEP_1) | instskip(SKIP_2) | instid1(VALU_DEP_2)
	v_add_f32_e32 v26, v26, v27
	v_mov_b32_e32 v98, 0x80
	s_mov_b32 s17, exec_lo
	v_and_b32_e32 v27, 0x7f800000, v26
	s_delay_alu instid0(VALU_DEP_1)
	v_cmpx_ne_u32_e32 0x7f800000, v27
	s_cbranch_execz .LBB6_11882
; %bb.11875:                            ;   in Loop: Header=BB6_11312 Depth=3
	v_mov_b32_e32 v98, 0
	s_mov_b32 s30, exec_lo
	v_cmpx_ne_u32_e32 0, v26
	s_cbranch_execz .LBB6_11881
; %bb.11876:                            ;   in Loop: Header=BB6_11312 Depth=3
	v_bfe_u32 v27, v26, 23, 8
	s_delay_alu instid0(VALU_DEP_1) | instskip(SKIP_1) | instid1(VALU_DEP_2)
	v_sub_nc_u32_e32 v37, 0x70, v27
	v_cmp_gt_u32_e32 vcc_lo, 0x71, v27
	v_dual_cndmask_b32 v37, 0, v37 :: v_dual_and_b32 v36, 0x7fffff, v26
	s_delay_alu instid0(VALU_DEP_1) | instskip(SKIP_2) | instid1(VALU_DEP_4)
	v_or_b32_e32 v38, 0x800000, v36
	v_cmp_eq_u32_e32 vcc_lo, 0, v27
	v_add_nc_u32_e32 v27, 0xffffff91, v27
	v_cndmask_b32_e64 v37, v37, 0x6f, vcc_lo
	s_delay_alu instid0(VALU_DEP_4) | instskip(NEXT) | instid1(VALU_DEP_3)
	v_cndmask_b32_e32 v36, v38, v36, vcc_lo
	v_cndmask_b32_e64 v27, v27, 0xffffff92, vcc_lo
	s_delay_alu instid0(VALU_DEP_3) | instskip(NEXT) | instid1(VALU_DEP_3)
	v_lshl_add_u32 v38, 0x200000, v37, -1
	v_lshrrev_b32_e32 v39, v37, v36
	v_lshlrev_b32_e64 v49, v37, 0x100000
	s_delay_alu instid0(VALU_DEP_4) | instskip(NEXT) | instid1(VALU_DEP_4)
	v_add_nc_u32_e32 v37, v37, v27
	v_and_b32_e32 v36, v38, v36
	s_delay_alu instid0(VALU_DEP_4) | instskip(NEXT) | instid1(VALU_DEP_2)
	v_bfe_u32 v48, v39, 21, 1
	v_cmp_eq_u32_e64 s13, v36, v49
	s_delay_alu instid0(VALU_DEP_2) | instskip(NEXT) | instid1(VALU_DEP_1)
	v_add_nc_u32_e32 v38, -1, v48
	v_cndmask_b32_e64 v36, 0, v38, s13
	v_lshrrev_b32_e32 v38, 23, v39
	s_mov_b32 s13, exec_lo
	s_delay_alu instid0(VALU_DEP_2) | instskip(NEXT) | instid1(VALU_DEP_2)
	v_add_nc_u32_e32 v36, v36, v39
	v_xor_b32_e32 v38, 1, v38
	s_delay_alu instid0(VALU_DEP_2) | instskip(NEXT) | instid1(VALU_DEP_1)
	v_and_b32_e32 v27, 0x1fffff, v36
	v_add_nc_u32_e32 v36, v27, v39
                                        ; implicit-def: $vgpr27
	s_delay_alu instid0(VALU_DEP_3)
	v_cmpx_ne_u32_e64 v37, v38
	s_xor_b32 s13, exec_lo, s13
; %bb.11877:                            ;   in Loop: Header=BB6_11312 Depth=3
	s_delay_alu instid0(VALU_DEP_2) | instskip(SKIP_2) | instid1(VALU_DEP_2)
	v_cmp_lt_u32_e32 vcc_lo, 0xffffff, v36
	v_sub_nc_u32_e32 v27, v37, v38
	v_cndmask_b32_e64 v37, 0, 1, vcc_lo
	v_add_co_ci_u32_e32 v27, vcc_lo, 0, v27, vcc_lo
	s_delay_alu instid0(VALU_DEP_2)
	v_lshrrev_b32_e32 v36, v37, v36
; %bb.11878:                            ;   in Loop: Header=BB6_11312 Depth=3
	s_and_not1_saveexec_b32 s13, s13
; %bb.11879:                            ;   in Loop: Header=BB6_11312 Depth=3
	s_delay_alu instid0(VALU_DEP_1)
	v_bfe_u32 v27, v36, 23, 1
; %bb.11880:                            ;   in Loop: Header=BB6_11312 Depth=3
	s_or_b32 exec_lo, exec_lo, s13
	v_lshrrev_b32_e32 v36, 21, v36
	s_delay_alu instid0(VALU_DEP_2) | instskip(SKIP_2) | instid1(VALU_DEP_4)
	v_cmp_gt_i32_e32 vcc_lo, 32, v27
	v_lshrrev_b32_e32 v26, 24, v26
	v_min_i32_e32 v37, 31, v27
	v_cndmask_b32_e32 v36, 3, v36, vcc_lo
	s_delay_alu instid0(VALU_DEP_3) | instskip(NEXT) | instid1(VALU_DEP_3)
	v_and_b32_e32 v26, 0x80, v26
	v_lshlrev_b32_e32 v37, 2, v37
	s_delay_alu instid0(VALU_DEP_3) | instskip(SKIP_1) | instid1(VALU_DEP_2)
	v_and_b32_e32 v38, 3, v36
	v_or_b32_e32 v27, v27, v36
	v_or3_b32 v26, v37, v26, v38
	s_delay_alu instid0(VALU_DEP_2) | instskip(NEXT) | instid1(VALU_DEP_2)
	v_cmp_ne_u32_e32 vcc_lo, 0, v27
	v_cndmask_b32_e32 v98, 0, v26, vcc_lo
.LBB6_11881:                            ;   in Loop: Header=BB6_11312 Depth=3
	s_or_b32 exec_lo, exec_lo, s30
.LBB6_11882:                            ;   in Loop: Header=BB6_11312 Depth=3
	s_delay_alu instid0(SALU_CYCLE_1) | instskip(SKIP_3) | instid1(VALU_DEP_1)
	s_or_b32 exec_lo, exec_lo, s17
	v_and_b32_e32 v27, 0xff, v45
	s_mov_b32 s13, 0
	s_mov_b32 s30, exec_lo
                                        ; implicit-def: $sgpr17
	v_cmpx_lt_i16_e32 0x7f, v27
	s_xor_b32 s30, exec_lo, s30
	s_cbranch_execnz .LBB6_12435
; %bb.11883:                            ;   in Loop: Header=BB6_11312 Depth=3
	s_or_saveexec_b32 s30, s30
	v_mov_b32_e32 v26, s17
	s_xor_b32 exec_lo, exec_lo, s30
	s_cbranch_execnz .LBB6_12438
.LBB6_11884:                            ;   in Loop: Header=BB6_11312 Depth=3
	s_or_b32 exec_lo, exec_lo, s30
	s_and_saveexec_b32 s17, s13
	s_cbranch_execz .LBB6_11886
.LBB6_11885:                            ;   in Loop: Header=BB6_11312 Depth=3
	v_lshrrev_b16 v37, 2, v45
	v_lshlrev_b32_e32 v38, 24, v45
	s_delay_alu instid0(VALU_DEP_2) | instskip(NEXT) | instid1(VALU_DEP_1)
	v_and_b32_e32 v37, 31, v37
	v_cmp_eq_u32_e32 vcc_lo, 0, v37
	v_and_b32_e32 v26, 3, v45
	s_delay_alu instid0(VALU_DEP_1) | instskip(NEXT) | instid1(VALU_DEP_1)
	v_clz_i32_u32_e32 v27, v26
	v_min_u32_e32 v27, 32, v27
	s_delay_alu instid0(VALU_DEP_1) | instskip(SKIP_1) | instid1(VALU_DEP_1)
	v_subrev_nc_u32_e32 v36, 29, v27
	v_sub_nc_u32_e32 v27, 30, v27
	v_dual_cndmask_b32 v27, v37, v27 :: v_dual_lshlrev_b32 v36, v36, v45
	s_delay_alu instid0(VALU_DEP_1) | instskip(NEXT) | instid1(VALU_DEP_2)
	v_and_b32_e32 v36, 3, v36
	v_lshl_add_u32 v27, v27, 23, 0x37800000
	s_delay_alu instid0(VALU_DEP_2) | instskip(SKIP_1) | instid1(VALU_DEP_2)
	v_cndmask_b32_e32 v26, v26, v36, vcc_lo
	v_and_b32_e32 v36, 0x80000000, v38
	v_lshlrev_b32_e32 v26, 21, v26
	s_delay_alu instid0(VALU_DEP_1)
	v_or3_b32 v26, v36, v27, v26
.LBB6_11886:                            ;   in Loop: Header=BB6_11312 Depth=3
	s_or_b32 exec_lo, exec_lo, s17
	s_waitcnt vmcnt(20) lgkmcnt(20)
	v_and_b32_e32 v36, 0xff, v129
	s_mov_b32 s13, 0
	s_mov_b32 s30, exec_lo
                                        ; implicit-def: $sgpr17
	s_delay_alu instid0(VALU_DEP_1)
	v_cmpx_lt_i16_e32 0x7f, v36
	s_xor_b32 s30, exec_lo, s30
	s_cbranch_execnz .LBB6_12439
; %bb.11887:                            ;   in Loop: Header=BB6_11312 Depth=3
	s_or_saveexec_b32 s30, s30
	v_mov_b32_e32 v27, s17
	s_xor_b32 exec_lo, exec_lo, s30
	s_cbranch_execnz .LBB6_12442
.LBB6_11888:                            ;   in Loop: Header=BB6_11312 Depth=3
	s_or_b32 exec_lo, exec_lo, s30
	s_and_saveexec_b32 s17, s13
	s_cbranch_execz .LBB6_11890
.LBB6_11889:                            ;   in Loop: Header=BB6_11312 Depth=3
	v_lshrrev_b16 v38, 2, v129
	v_lshlrev_b32_e32 v39, 24, v129
	s_delay_alu instid0(VALU_DEP_2) | instskip(NEXT) | instid1(VALU_DEP_1)
	v_and_b32_e32 v38, 31, v38
	v_cmp_eq_u32_e32 vcc_lo, 0, v38
	v_and_b32_e32 v27, 3, v129
	s_delay_alu instid0(VALU_DEP_1) | instskip(NEXT) | instid1(VALU_DEP_1)
	v_clz_i32_u32_e32 v36, v27
	v_min_u32_e32 v36, 32, v36
	s_delay_alu instid0(VALU_DEP_1) | instskip(SKIP_1) | instid1(VALU_DEP_1)
	v_subrev_nc_u32_e32 v37, 29, v36
	v_sub_nc_u32_e32 v36, 30, v36
	v_dual_cndmask_b32 v36, v38, v36 :: v_dual_lshlrev_b32 v37, v37, v129
	s_delay_alu instid0(VALU_DEP_1) | instskip(NEXT) | instid1(VALU_DEP_2)
	v_and_b32_e32 v37, 3, v37
	v_lshl_add_u32 v36, v36, 23, 0x37800000
	s_delay_alu instid0(VALU_DEP_2) | instskip(SKIP_1) | instid1(VALU_DEP_2)
	v_cndmask_b32_e32 v27, v27, v37, vcc_lo
	v_and_b32_e32 v37, 0x80000000, v39
	v_lshlrev_b32_e32 v27, 21, v27
	s_delay_alu instid0(VALU_DEP_1)
	v_or3_b32 v27, v37, v36, v27
.LBB6_11890:                            ;   in Loop: Header=BB6_11312 Depth=3
	s_or_b32 exec_lo, exec_lo, s17
	s_delay_alu instid0(VALU_DEP_1) | instskip(SKIP_1) | instid1(VALU_DEP_1)
	v_dual_add_f32 v26, v26, v27 :: v_dual_mov_b32 v45, 0x80
	s_mov_b32 s17, exec_lo
	v_and_b32_e32 v27, 0x7f800000, v26
	s_delay_alu instid0(VALU_DEP_1)
	v_cmpx_ne_u32_e32 0x7f800000, v27
	s_cbranch_execz .LBB6_11898
; %bb.11891:                            ;   in Loop: Header=BB6_11312 Depth=3
	v_mov_b32_e32 v45, 0
	s_mov_b32 s30, exec_lo
	v_cmpx_ne_u32_e32 0, v26
	s_cbranch_execz .LBB6_11897
; %bb.11892:                            ;   in Loop: Header=BB6_11312 Depth=3
	v_bfe_u32 v27, v26, 23, 8
	s_delay_alu instid0(VALU_DEP_1) | instskip(SKIP_1) | instid1(VALU_DEP_2)
	v_sub_nc_u32_e32 v37, 0x70, v27
	v_cmp_gt_u32_e32 vcc_lo, 0x71, v27
	v_dual_cndmask_b32 v37, 0, v37 :: v_dual_and_b32 v36, 0x7fffff, v26
	s_delay_alu instid0(VALU_DEP_1) | instskip(SKIP_2) | instid1(VALU_DEP_4)
	v_or_b32_e32 v38, 0x800000, v36
	v_cmp_eq_u32_e32 vcc_lo, 0, v27
	v_add_nc_u32_e32 v27, 0xffffff91, v27
	v_cndmask_b32_e64 v37, v37, 0x6f, vcc_lo
	s_delay_alu instid0(VALU_DEP_4) | instskip(NEXT) | instid1(VALU_DEP_3)
	v_cndmask_b32_e32 v36, v38, v36, vcc_lo
	v_cndmask_b32_e64 v27, v27, 0xffffff92, vcc_lo
	s_delay_alu instid0(VALU_DEP_3) | instskip(NEXT) | instid1(VALU_DEP_3)
	v_lshl_add_u32 v38, 0x200000, v37, -1
	v_lshrrev_b32_e32 v39, v37, v36
	v_lshlrev_b32_e64 v49, v37, 0x100000
	s_delay_alu instid0(VALU_DEP_4) | instskip(NEXT) | instid1(VALU_DEP_4)
	v_add_nc_u32_e32 v37, v37, v27
	v_and_b32_e32 v36, v38, v36
	s_delay_alu instid0(VALU_DEP_4) | instskip(NEXT) | instid1(VALU_DEP_2)
	v_bfe_u32 v48, v39, 21, 1
	v_cmp_eq_u32_e64 s13, v36, v49
	s_delay_alu instid0(VALU_DEP_2) | instskip(NEXT) | instid1(VALU_DEP_1)
	v_add_nc_u32_e32 v38, -1, v48
	v_cndmask_b32_e64 v36, 0, v38, s13
	v_lshrrev_b32_e32 v38, 23, v39
	s_mov_b32 s13, exec_lo
	s_delay_alu instid0(VALU_DEP_2) | instskip(NEXT) | instid1(VALU_DEP_2)
	v_add_nc_u32_e32 v36, v36, v39
	v_xor_b32_e32 v38, 1, v38
	s_delay_alu instid0(VALU_DEP_2) | instskip(NEXT) | instid1(VALU_DEP_1)
	v_and_b32_e32 v27, 0x1fffff, v36
	v_add_nc_u32_e32 v36, v27, v39
                                        ; implicit-def: $vgpr27
	s_delay_alu instid0(VALU_DEP_3)
	v_cmpx_ne_u32_e64 v37, v38
	s_xor_b32 s13, exec_lo, s13
; %bb.11893:                            ;   in Loop: Header=BB6_11312 Depth=3
	s_delay_alu instid0(VALU_DEP_2) | instskip(SKIP_2) | instid1(VALU_DEP_2)
	v_cmp_lt_u32_e32 vcc_lo, 0xffffff, v36
	v_sub_nc_u32_e32 v27, v37, v38
	v_cndmask_b32_e64 v37, 0, 1, vcc_lo
	v_add_co_ci_u32_e32 v27, vcc_lo, 0, v27, vcc_lo
	s_delay_alu instid0(VALU_DEP_2)
	v_lshrrev_b32_e32 v36, v37, v36
; %bb.11894:                            ;   in Loop: Header=BB6_11312 Depth=3
	s_and_not1_saveexec_b32 s13, s13
; %bb.11895:                            ;   in Loop: Header=BB6_11312 Depth=3
	s_delay_alu instid0(VALU_DEP_1)
	v_bfe_u32 v27, v36, 23, 1
; %bb.11896:                            ;   in Loop: Header=BB6_11312 Depth=3
	s_or_b32 exec_lo, exec_lo, s13
	v_lshrrev_b32_e32 v36, 21, v36
	s_delay_alu instid0(VALU_DEP_2) | instskip(SKIP_2) | instid1(VALU_DEP_2)
	v_cmp_gt_i32_e32 vcc_lo, 32, v27
	v_min_i32_e32 v37, 31, v27
	v_lshrrev_b32_e32 v26, 24, v26
	v_dual_cndmask_b32 v36, 3, v36 :: v_dual_lshlrev_b32 v37, 2, v37
	s_delay_alu instid0(VALU_DEP_2) | instskip(NEXT) | instid1(VALU_DEP_2)
	v_and_b32_e32 v26, 0x80, v26
	v_or_b32_e32 v27, v27, v36
	s_delay_alu instid0(VALU_DEP_1) | instskip(SKIP_1) | instid1(VALU_DEP_1)
	v_cmp_ne_u32_e32 vcc_lo, 0, v27
	v_and_b32_e32 v38, 3, v36
	v_or3_b32 v26, v37, v26, v38
	s_delay_alu instid0(VALU_DEP_1)
	v_cndmask_b32_e32 v45, 0, v26, vcc_lo
.LBB6_11897:                            ;   in Loop: Header=BB6_11312 Depth=3
	s_or_b32 exec_lo, exec_lo, s30
.LBB6_11898:                            ;   in Loop: Header=BB6_11312 Depth=3
	s_delay_alu instid0(SALU_CYCLE_1) | instskip(SKIP_3) | instid1(VALU_DEP_1)
	s_or_b32 exec_lo, exec_lo, s17
	v_and_b32_e32 v27, 0xff, v112
	s_mov_b32 s13, 0
	s_mov_b32 s30, exec_lo
                                        ; implicit-def: $sgpr17
	v_cmpx_lt_i16_e32 0x7f, v27
	s_xor_b32 s30, exec_lo, s30
	s_cbranch_execnz .LBB6_12443
; %bb.11899:                            ;   in Loop: Header=BB6_11312 Depth=3
	s_or_saveexec_b32 s30, s30
	v_mov_b32_e32 v26, s17
	s_xor_b32 exec_lo, exec_lo, s30
	s_cbranch_execnz .LBB6_12446
.LBB6_11900:                            ;   in Loop: Header=BB6_11312 Depth=3
	s_or_b32 exec_lo, exec_lo, s30
	s_and_saveexec_b32 s17, s13
	s_cbranch_execz .LBB6_11902
.LBB6_11901:                            ;   in Loop: Header=BB6_11312 Depth=3
	v_lshrrev_b16 v37, 2, v112
	v_lshlrev_b32_e32 v38, 24, v112
	s_delay_alu instid0(VALU_DEP_2) | instskip(NEXT) | instid1(VALU_DEP_1)
	v_and_b32_e32 v37, 31, v37
	v_cmp_eq_u32_e32 vcc_lo, 0, v37
	v_and_b32_e32 v26, 3, v112
	s_delay_alu instid0(VALU_DEP_1) | instskip(NEXT) | instid1(VALU_DEP_1)
	v_clz_i32_u32_e32 v27, v26
	v_min_u32_e32 v27, 32, v27
	s_delay_alu instid0(VALU_DEP_1) | instskip(SKIP_1) | instid1(VALU_DEP_1)
	v_subrev_nc_u32_e32 v36, 29, v27
	v_sub_nc_u32_e32 v27, 30, v27
	v_dual_cndmask_b32 v27, v37, v27 :: v_dual_lshlrev_b32 v36, v36, v112
	s_delay_alu instid0(VALU_DEP_1) | instskip(NEXT) | instid1(VALU_DEP_2)
	v_and_b32_e32 v36, 3, v36
	v_lshl_add_u32 v27, v27, 23, 0x37800000
	s_delay_alu instid0(VALU_DEP_2) | instskip(SKIP_1) | instid1(VALU_DEP_2)
	v_cndmask_b32_e32 v26, v26, v36, vcc_lo
	v_and_b32_e32 v36, 0x80000000, v38
	v_lshlrev_b32_e32 v26, 21, v26
	s_delay_alu instid0(VALU_DEP_1)
	v_or3_b32 v26, v36, v27, v26
.LBB6_11902:                            ;   in Loop: Header=BB6_11312 Depth=3
	s_or_b32 exec_lo, exec_lo, s17
	s_waitcnt vmcnt(19) lgkmcnt(19)
	v_and_b32_e32 v36, 0xff, v96
	s_mov_b32 s13, 0
	s_mov_b32 s30, exec_lo
                                        ; implicit-def: $sgpr17
	s_delay_alu instid0(VALU_DEP_1)
	v_cmpx_lt_i16_e32 0x7f, v36
	s_xor_b32 s30, exec_lo, s30
	s_cbranch_execnz .LBB6_12447
; %bb.11903:                            ;   in Loop: Header=BB6_11312 Depth=3
	s_or_saveexec_b32 s30, s30
	v_mov_b32_e32 v27, s17
	s_xor_b32 exec_lo, exec_lo, s30
	s_cbranch_execnz .LBB6_12450
.LBB6_11904:                            ;   in Loop: Header=BB6_11312 Depth=3
	s_or_b32 exec_lo, exec_lo, s30
	s_and_saveexec_b32 s17, s13
	s_cbranch_execz .LBB6_11906
.LBB6_11905:                            ;   in Loop: Header=BB6_11312 Depth=3
	v_and_b32_e32 v27, 3, v96
	v_lshrrev_b16 v38, 2, v96
	v_lshlrev_b32_e32 v39, 24, v96
	s_delay_alu instid0(VALU_DEP_3) | instskip(NEXT) | instid1(VALU_DEP_1)
	v_clz_i32_u32_e32 v36, v27
	v_min_u32_e32 v36, 32, v36
	s_delay_alu instid0(VALU_DEP_1) | instskip(SKIP_1) | instid1(VALU_DEP_2)
	v_subrev_nc_u32_e32 v37, 29, v36
	v_sub_nc_u32_e32 v36, 30, v36
	v_lshlrev_b32_e32 v37, v37, v96
	s_delay_alu instid0(VALU_DEP_1) | instskip(SKIP_1) | instid1(VALU_DEP_1)
	v_and_b32_e32 v37, 3, v37
	v_and_b32_e32 v38, 31, v38
	v_cmp_eq_u32_e32 vcc_lo, 0, v38
	s_delay_alu instid0(VALU_DEP_3) | instskip(SKIP_1) | instid1(VALU_DEP_2)
	v_dual_cndmask_b32 v27, v27, v37 :: v_dual_cndmask_b32 v36, v38, v36
	v_and_b32_e32 v37, 0x80000000, v39
	v_lshlrev_b32_e32 v27, 21, v27
	s_delay_alu instid0(VALU_DEP_3) | instskip(NEXT) | instid1(VALU_DEP_1)
	v_lshl_add_u32 v36, v36, 23, 0x37800000
	v_or3_b32 v27, v37, v36, v27
.LBB6_11906:                            ;   in Loop: Header=BB6_11312 Depth=3
	s_or_b32 exec_lo, exec_lo, s17
	s_delay_alu instid0(VALU_DEP_1) | instskip(SKIP_2) | instid1(VALU_DEP_2)
	v_add_f32_e32 v26, v26, v27
	v_mov_b32_e32 v96, 0x80
	s_mov_b32 s17, exec_lo
	v_and_b32_e32 v27, 0x7f800000, v26
	s_delay_alu instid0(VALU_DEP_1)
	v_cmpx_ne_u32_e32 0x7f800000, v27
	s_cbranch_execz .LBB6_11914
; %bb.11907:                            ;   in Loop: Header=BB6_11312 Depth=3
	v_mov_b32_e32 v96, 0
	s_mov_b32 s30, exec_lo
	v_cmpx_ne_u32_e32 0, v26
	s_cbranch_execz .LBB6_11913
; %bb.11908:                            ;   in Loop: Header=BB6_11312 Depth=3
	v_bfe_u32 v27, v26, 23, 8
	s_delay_alu instid0(VALU_DEP_1) | instskip(SKIP_1) | instid1(VALU_DEP_2)
	v_sub_nc_u32_e32 v37, 0x70, v27
	v_cmp_gt_u32_e32 vcc_lo, 0x71, v27
	v_dual_cndmask_b32 v37, 0, v37 :: v_dual_and_b32 v36, 0x7fffff, v26
	s_delay_alu instid0(VALU_DEP_1) | instskip(SKIP_2) | instid1(VALU_DEP_4)
	v_or_b32_e32 v38, 0x800000, v36
	v_cmp_eq_u32_e32 vcc_lo, 0, v27
	v_add_nc_u32_e32 v27, 0xffffff91, v27
	v_cndmask_b32_e64 v37, v37, 0x6f, vcc_lo
	s_delay_alu instid0(VALU_DEP_4) | instskip(NEXT) | instid1(VALU_DEP_3)
	v_cndmask_b32_e32 v36, v38, v36, vcc_lo
	v_cndmask_b32_e64 v27, v27, 0xffffff92, vcc_lo
	s_delay_alu instid0(VALU_DEP_3) | instskip(NEXT) | instid1(VALU_DEP_3)
	v_lshl_add_u32 v38, 0x200000, v37, -1
	v_lshrrev_b32_e32 v39, v37, v36
	v_lshlrev_b32_e64 v49, v37, 0x100000
	s_delay_alu instid0(VALU_DEP_4) | instskip(NEXT) | instid1(VALU_DEP_4)
	v_add_nc_u32_e32 v37, v37, v27
	v_and_b32_e32 v36, v38, v36
	s_delay_alu instid0(VALU_DEP_4) | instskip(NEXT) | instid1(VALU_DEP_2)
	v_bfe_u32 v48, v39, 21, 1
	v_cmp_eq_u32_e64 s13, v36, v49
	s_delay_alu instid0(VALU_DEP_2) | instskip(NEXT) | instid1(VALU_DEP_1)
	v_add_nc_u32_e32 v38, -1, v48
	v_cndmask_b32_e64 v36, 0, v38, s13
	v_lshrrev_b32_e32 v38, 23, v39
	s_mov_b32 s13, exec_lo
	s_delay_alu instid0(VALU_DEP_2) | instskip(NEXT) | instid1(VALU_DEP_2)
	v_add_nc_u32_e32 v36, v36, v39
	v_xor_b32_e32 v38, 1, v38
	s_delay_alu instid0(VALU_DEP_2) | instskip(NEXT) | instid1(VALU_DEP_1)
	v_and_b32_e32 v27, 0x1fffff, v36
	v_add_nc_u32_e32 v36, v27, v39
                                        ; implicit-def: $vgpr27
	s_delay_alu instid0(VALU_DEP_3)
	v_cmpx_ne_u32_e64 v37, v38
	s_xor_b32 s13, exec_lo, s13
; %bb.11909:                            ;   in Loop: Header=BB6_11312 Depth=3
	s_delay_alu instid0(VALU_DEP_2) | instskip(SKIP_2) | instid1(VALU_DEP_2)
	v_cmp_lt_u32_e32 vcc_lo, 0xffffff, v36
	v_sub_nc_u32_e32 v27, v37, v38
	v_cndmask_b32_e64 v37, 0, 1, vcc_lo
	v_add_co_ci_u32_e32 v27, vcc_lo, 0, v27, vcc_lo
	s_delay_alu instid0(VALU_DEP_2)
	v_lshrrev_b32_e32 v36, v37, v36
; %bb.11910:                            ;   in Loop: Header=BB6_11312 Depth=3
	s_and_not1_saveexec_b32 s13, s13
; %bb.11911:                            ;   in Loop: Header=BB6_11312 Depth=3
	s_delay_alu instid0(VALU_DEP_1)
	v_bfe_u32 v27, v36, 23, 1
; %bb.11912:                            ;   in Loop: Header=BB6_11312 Depth=3
	s_or_b32 exec_lo, exec_lo, s13
	v_lshrrev_b32_e32 v36, 21, v36
	s_delay_alu instid0(VALU_DEP_2) | instskip(SKIP_2) | instid1(VALU_DEP_4)
	v_cmp_gt_i32_e32 vcc_lo, 32, v27
	v_lshrrev_b32_e32 v26, 24, v26
	v_min_i32_e32 v37, 31, v27
	v_cndmask_b32_e32 v36, 3, v36, vcc_lo
	s_delay_alu instid0(VALU_DEP_3) | instskip(NEXT) | instid1(VALU_DEP_3)
	v_and_b32_e32 v26, 0x80, v26
	v_lshlrev_b32_e32 v37, 2, v37
	s_delay_alu instid0(VALU_DEP_3) | instskip(SKIP_1) | instid1(VALU_DEP_2)
	v_and_b32_e32 v38, 3, v36
	v_or_b32_e32 v27, v27, v36
	v_or3_b32 v26, v37, v26, v38
	s_delay_alu instid0(VALU_DEP_2) | instskip(NEXT) | instid1(VALU_DEP_2)
	v_cmp_ne_u32_e32 vcc_lo, 0, v27
	v_cndmask_b32_e32 v96, 0, v26, vcc_lo
.LBB6_11913:                            ;   in Loop: Header=BB6_11312 Depth=3
	s_or_b32 exec_lo, exec_lo, s30
.LBB6_11914:                            ;   in Loop: Header=BB6_11312 Depth=3
	s_delay_alu instid0(SALU_CYCLE_1) | instskip(SKIP_3) | instid1(VALU_DEP_1)
	s_or_b32 exec_lo, exec_lo, s17
	v_and_b32_e32 v27, 0xff, v41
	s_mov_b32 s13, 0
	s_mov_b32 s30, exec_lo
                                        ; implicit-def: $sgpr17
	v_cmpx_lt_i16_e32 0x7f, v27
	s_xor_b32 s30, exec_lo, s30
	s_cbranch_execnz .LBB6_12451
; %bb.11915:                            ;   in Loop: Header=BB6_11312 Depth=3
	s_or_saveexec_b32 s30, s30
	v_mov_b32_e32 v26, s17
	s_xor_b32 exec_lo, exec_lo, s30
	s_cbranch_execnz .LBB6_12454
.LBB6_11916:                            ;   in Loop: Header=BB6_11312 Depth=3
	s_or_b32 exec_lo, exec_lo, s30
	s_and_saveexec_b32 s17, s13
	s_cbranch_execz .LBB6_11918
.LBB6_11917:                            ;   in Loop: Header=BB6_11312 Depth=3
	v_lshrrev_b16 v37, 2, v41
	v_lshlrev_b32_e32 v38, 24, v41
	s_delay_alu instid0(VALU_DEP_2) | instskip(NEXT) | instid1(VALU_DEP_1)
	v_and_b32_e32 v37, 31, v37
	v_cmp_eq_u32_e32 vcc_lo, 0, v37
	v_and_b32_e32 v26, 3, v41
	s_delay_alu instid0(VALU_DEP_1) | instskip(NEXT) | instid1(VALU_DEP_1)
	v_clz_i32_u32_e32 v27, v26
	v_min_u32_e32 v27, 32, v27
	s_delay_alu instid0(VALU_DEP_1) | instskip(SKIP_1) | instid1(VALU_DEP_1)
	v_subrev_nc_u32_e32 v36, 29, v27
	v_sub_nc_u32_e32 v27, 30, v27
	v_dual_cndmask_b32 v27, v37, v27 :: v_dual_lshlrev_b32 v36, v36, v41
	s_delay_alu instid0(VALU_DEP_1) | instskip(NEXT) | instid1(VALU_DEP_2)
	v_and_b32_e32 v36, 3, v36
	v_lshl_add_u32 v27, v27, 23, 0x37800000
	s_delay_alu instid0(VALU_DEP_2) | instskip(SKIP_1) | instid1(VALU_DEP_2)
	v_cndmask_b32_e32 v26, v26, v36, vcc_lo
	v_and_b32_e32 v36, 0x80000000, v38
	v_lshlrev_b32_e32 v26, 21, v26
	s_delay_alu instid0(VALU_DEP_1)
	v_or3_b32 v26, v36, v27, v26
.LBB6_11918:                            ;   in Loop: Header=BB6_11312 Depth=3
	s_or_b32 exec_lo, exec_lo, s17
	s_waitcnt vmcnt(18) lgkmcnt(18)
	v_and_b32_e32 v36, 0xff, v144
	s_mov_b32 s13, 0
	s_mov_b32 s30, exec_lo
                                        ; implicit-def: $sgpr17
	s_delay_alu instid0(VALU_DEP_1)
	v_cmpx_lt_i16_e32 0x7f, v36
	s_xor_b32 s30, exec_lo, s30
	s_cbranch_execnz .LBB6_12455
; %bb.11919:                            ;   in Loop: Header=BB6_11312 Depth=3
	s_or_saveexec_b32 s30, s30
	v_mov_b32_e32 v27, s17
	s_xor_b32 exec_lo, exec_lo, s30
	s_cbranch_execnz .LBB6_12458
.LBB6_11920:                            ;   in Loop: Header=BB6_11312 Depth=3
	s_or_b32 exec_lo, exec_lo, s30
	s_and_saveexec_b32 s17, s13
	s_cbranch_execz .LBB6_11922
.LBB6_11921:                            ;   in Loop: Header=BB6_11312 Depth=3
	v_and_b32_e32 v27, 3, v144
	v_lshrrev_b16 v38, 2, v144
	v_lshlrev_b32_e32 v39, 24, v144
	s_delay_alu instid0(VALU_DEP_3) | instskip(NEXT) | instid1(VALU_DEP_1)
	v_clz_i32_u32_e32 v36, v27
	v_min_u32_e32 v36, 32, v36
	s_delay_alu instid0(VALU_DEP_1) | instskip(SKIP_1) | instid1(VALU_DEP_2)
	v_subrev_nc_u32_e32 v37, 29, v36
	v_sub_nc_u32_e32 v36, 30, v36
	v_lshlrev_b32_e32 v37, v37, v144
	s_delay_alu instid0(VALU_DEP_1) | instskip(SKIP_1) | instid1(VALU_DEP_1)
	v_and_b32_e32 v37, 3, v37
	v_and_b32_e32 v38, 31, v38
	v_cmp_eq_u32_e32 vcc_lo, 0, v38
	s_delay_alu instid0(VALU_DEP_3) | instskip(SKIP_1) | instid1(VALU_DEP_2)
	v_dual_cndmask_b32 v27, v27, v37 :: v_dual_cndmask_b32 v36, v38, v36
	v_and_b32_e32 v37, 0x80000000, v39
	v_lshlrev_b32_e32 v27, 21, v27
	s_delay_alu instid0(VALU_DEP_3) | instskip(NEXT) | instid1(VALU_DEP_1)
	v_lshl_add_u32 v36, v36, 23, 0x37800000
	v_or3_b32 v27, v37, v36, v27
.LBB6_11922:                            ;   in Loop: Header=BB6_11312 Depth=3
	s_or_b32 exec_lo, exec_lo, s17
	s_delay_alu instid0(VALU_DEP_1) | instskip(SKIP_2) | instid1(VALU_DEP_2)
	v_add_f32_e32 v26, v26, v27
	v_mov_b32_e32 v144, 0x80
	s_mov_b32 s17, exec_lo
	v_and_b32_e32 v27, 0x7f800000, v26
	s_delay_alu instid0(VALU_DEP_1)
	v_cmpx_ne_u32_e32 0x7f800000, v27
	s_cbranch_execz .LBB6_11930
; %bb.11923:                            ;   in Loop: Header=BB6_11312 Depth=3
	v_mov_b32_e32 v144, 0
	s_mov_b32 s30, exec_lo
	v_cmpx_ne_u32_e32 0, v26
	s_cbranch_execz .LBB6_11929
; %bb.11924:                            ;   in Loop: Header=BB6_11312 Depth=3
	v_bfe_u32 v27, v26, 23, 8
	s_delay_alu instid0(VALU_DEP_1) | instskip(SKIP_1) | instid1(VALU_DEP_2)
	v_sub_nc_u32_e32 v37, 0x70, v27
	v_cmp_gt_u32_e32 vcc_lo, 0x71, v27
	v_dual_cndmask_b32 v37, 0, v37 :: v_dual_and_b32 v36, 0x7fffff, v26
	s_delay_alu instid0(VALU_DEP_1) | instskip(SKIP_2) | instid1(VALU_DEP_4)
	v_or_b32_e32 v38, 0x800000, v36
	v_cmp_eq_u32_e32 vcc_lo, 0, v27
	v_add_nc_u32_e32 v27, 0xffffff91, v27
	v_cndmask_b32_e64 v37, v37, 0x6f, vcc_lo
	s_delay_alu instid0(VALU_DEP_4) | instskip(NEXT) | instid1(VALU_DEP_3)
	v_cndmask_b32_e32 v36, v38, v36, vcc_lo
	v_cndmask_b32_e64 v27, v27, 0xffffff92, vcc_lo
	s_delay_alu instid0(VALU_DEP_3) | instskip(NEXT) | instid1(VALU_DEP_3)
	v_lshl_add_u32 v38, 0x200000, v37, -1
	v_lshrrev_b32_e32 v39, v37, v36
	v_lshlrev_b32_e64 v49, v37, 0x100000
	s_delay_alu instid0(VALU_DEP_4) | instskip(NEXT) | instid1(VALU_DEP_4)
	v_add_nc_u32_e32 v37, v37, v27
	v_and_b32_e32 v36, v38, v36
	s_delay_alu instid0(VALU_DEP_4) | instskip(NEXT) | instid1(VALU_DEP_2)
	v_bfe_u32 v48, v39, 21, 1
	v_cmp_eq_u32_e64 s13, v36, v49
	s_delay_alu instid0(VALU_DEP_2) | instskip(NEXT) | instid1(VALU_DEP_1)
	v_add_nc_u32_e32 v38, -1, v48
	v_cndmask_b32_e64 v36, 0, v38, s13
	v_lshrrev_b32_e32 v38, 23, v39
	s_mov_b32 s13, exec_lo
	s_delay_alu instid0(VALU_DEP_2) | instskip(NEXT) | instid1(VALU_DEP_2)
	v_add_nc_u32_e32 v36, v36, v39
	v_xor_b32_e32 v38, 1, v38
	s_delay_alu instid0(VALU_DEP_2) | instskip(NEXT) | instid1(VALU_DEP_1)
	v_and_b32_e32 v27, 0x1fffff, v36
	v_add_nc_u32_e32 v36, v27, v39
                                        ; implicit-def: $vgpr27
	s_delay_alu instid0(VALU_DEP_3)
	v_cmpx_ne_u32_e64 v37, v38
	s_xor_b32 s13, exec_lo, s13
; %bb.11925:                            ;   in Loop: Header=BB6_11312 Depth=3
	s_delay_alu instid0(VALU_DEP_2) | instskip(SKIP_2) | instid1(VALU_DEP_2)
	v_cmp_lt_u32_e32 vcc_lo, 0xffffff, v36
	v_sub_nc_u32_e32 v27, v37, v38
	v_cndmask_b32_e64 v37, 0, 1, vcc_lo
	v_add_co_ci_u32_e32 v27, vcc_lo, 0, v27, vcc_lo
	s_delay_alu instid0(VALU_DEP_2)
	v_lshrrev_b32_e32 v36, v37, v36
; %bb.11926:                            ;   in Loop: Header=BB6_11312 Depth=3
	s_and_not1_saveexec_b32 s13, s13
; %bb.11927:                            ;   in Loop: Header=BB6_11312 Depth=3
	s_delay_alu instid0(VALU_DEP_1)
	v_bfe_u32 v27, v36, 23, 1
; %bb.11928:                            ;   in Loop: Header=BB6_11312 Depth=3
	s_or_b32 exec_lo, exec_lo, s13
	v_lshrrev_b32_e32 v36, 21, v36
	s_delay_alu instid0(VALU_DEP_2) | instskip(SKIP_2) | instid1(VALU_DEP_4)
	v_cmp_gt_i32_e32 vcc_lo, 32, v27
	v_lshrrev_b32_e32 v26, 24, v26
	v_min_i32_e32 v37, 31, v27
	v_cndmask_b32_e32 v36, 3, v36, vcc_lo
	s_delay_alu instid0(VALU_DEP_3) | instskip(NEXT) | instid1(VALU_DEP_3)
	v_and_b32_e32 v26, 0x80, v26
	v_lshlrev_b32_e32 v37, 2, v37
	s_delay_alu instid0(VALU_DEP_3) | instskip(SKIP_1) | instid1(VALU_DEP_2)
	v_and_b32_e32 v38, 3, v36
	v_or_b32_e32 v27, v27, v36
	v_or3_b32 v26, v37, v26, v38
	s_delay_alu instid0(VALU_DEP_2) | instskip(NEXT) | instid1(VALU_DEP_2)
	v_cmp_ne_u32_e32 vcc_lo, 0, v27
	v_cndmask_b32_e32 v144, 0, v26, vcc_lo
.LBB6_11929:                            ;   in Loop: Header=BB6_11312 Depth=3
	s_or_b32 exec_lo, exec_lo, s30
.LBB6_11930:                            ;   in Loop: Header=BB6_11312 Depth=3
	s_delay_alu instid0(SALU_CYCLE_1) | instskip(SKIP_3) | instid1(VALU_DEP_1)
	s_or_b32 exec_lo, exec_lo, s17
	v_and_b32_e32 v27, 0xff, v40
	s_mov_b32 s13, 0
	s_mov_b32 s30, exec_lo
                                        ; implicit-def: $sgpr17
	v_cmpx_lt_i16_e32 0x7f, v27
	s_xor_b32 s30, exec_lo, s30
	s_cbranch_execnz .LBB6_12459
; %bb.11931:                            ;   in Loop: Header=BB6_11312 Depth=3
	s_or_saveexec_b32 s30, s30
	v_mov_b32_e32 v26, s17
	s_xor_b32 exec_lo, exec_lo, s30
	s_cbranch_execnz .LBB6_12462
.LBB6_11932:                            ;   in Loop: Header=BB6_11312 Depth=3
	s_or_b32 exec_lo, exec_lo, s30
	s_and_saveexec_b32 s17, s13
	s_cbranch_execz .LBB6_11934
.LBB6_11933:                            ;   in Loop: Header=BB6_11312 Depth=3
	v_lshrrev_b16 v37, 2, v40
	v_lshlrev_b32_e32 v38, 24, v40
	s_delay_alu instid0(VALU_DEP_2) | instskip(NEXT) | instid1(VALU_DEP_1)
	v_and_b32_e32 v37, 31, v37
	v_cmp_eq_u32_e32 vcc_lo, 0, v37
	v_and_b32_e32 v26, 3, v40
	s_delay_alu instid0(VALU_DEP_1) | instskip(NEXT) | instid1(VALU_DEP_1)
	v_clz_i32_u32_e32 v27, v26
	v_min_u32_e32 v27, 32, v27
	s_delay_alu instid0(VALU_DEP_1) | instskip(SKIP_1) | instid1(VALU_DEP_1)
	v_subrev_nc_u32_e32 v36, 29, v27
	v_sub_nc_u32_e32 v27, 30, v27
	v_dual_cndmask_b32 v27, v37, v27 :: v_dual_lshlrev_b32 v36, v36, v40
	s_delay_alu instid0(VALU_DEP_1) | instskip(NEXT) | instid1(VALU_DEP_2)
	v_and_b32_e32 v36, 3, v36
	v_lshl_add_u32 v27, v27, 23, 0x37800000
	s_delay_alu instid0(VALU_DEP_2) | instskip(SKIP_1) | instid1(VALU_DEP_2)
	v_cndmask_b32_e32 v26, v26, v36, vcc_lo
	v_and_b32_e32 v36, 0x80000000, v38
	v_lshlrev_b32_e32 v26, 21, v26
	s_delay_alu instid0(VALU_DEP_1)
	v_or3_b32 v26, v36, v27, v26
.LBB6_11934:                            ;   in Loop: Header=BB6_11312 Depth=3
	s_or_b32 exec_lo, exec_lo, s17
	s_waitcnt vmcnt(17) lgkmcnt(17)
	v_and_b32_e32 v36, 0xff, v103
	s_mov_b32 s13, 0
	s_mov_b32 s30, exec_lo
                                        ; implicit-def: $sgpr17
	s_delay_alu instid0(VALU_DEP_1)
	v_cmpx_lt_i16_e32 0x7f, v36
	s_xor_b32 s30, exec_lo, s30
	s_cbranch_execnz .LBB6_12463
; %bb.11935:                            ;   in Loop: Header=BB6_11312 Depth=3
	s_or_saveexec_b32 s30, s30
	v_mov_b32_e32 v27, s17
	s_xor_b32 exec_lo, exec_lo, s30
	s_cbranch_execnz .LBB6_12466
.LBB6_11936:                            ;   in Loop: Header=BB6_11312 Depth=3
	s_or_b32 exec_lo, exec_lo, s30
	s_and_saveexec_b32 s17, s13
	s_cbranch_execz .LBB6_11938
.LBB6_11937:                            ;   in Loop: Header=BB6_11312 Depth=3
	v_lshrrev_b16 v38, 2, v103
	v_lshlrev_b32_e32 v39, 24, v103
	s_delay_alu instid0(VALU_DEP_2) | instskip(NEXT) | instid1(VALU_DEP_1)
	v_and_b32_e32 v38, 31, v38
	v_cmp_eq_u32_e32 vcc_lo, 0, v38
	v_and_b32_e32 v27, 3, v103
	s_delay_alu instid0(VALU_DEP_1) | instskip(NEXT) | instid1(VALU_DEP_1)
	v_clz_i32_u32_e32 v36, v27
	v_min_u32_e32 v36, 32, v36
	s_delay_alu instid0(VALU_DEP_1) | instskip(SKIP_1) | instid1(VALU_DEP_1)
	v_subrev_nc_u32_e32 v37, 29, v36
	v_sub_nc_u32_e32 v36, 30, v36
	v_dual_cndmask_b32 v36, v38, v36 :: v_dual_lshlrev_b32 v37, v37, v103
	s_delay_alu instid0(VALU_DEP_1) | instskip(NEXT) | instid1(VALU_DEP_2)
	v_and_b32_e32 v37, 3, v37
	v_lshl_add_u32 v36, v36, 23, 0x37800000
	s_delay_alu instid0(VALU_DEP_2) | instskip(SKIP_1) | instid1(VALU_DEP_2)
	v_cndmask_b32_e32 v27, v27, v37, vcc_lo
	v_and_b32_e32 v37, 0x80000000, v39
	v_lshlrev_b32_e32 v27, 21, v27
	s_delay_alu instid0(VALU_DEP_1)
	v_or3_b32 v27, v37, v36, v27
.LBB6_11938:                            ;   in Loop: Header=BB6_11312 Depth=3
	s_or_b32 exec_lo, exec_lo, s17
	s_delay_alu instid0(VALU_DEP_1) | instskip(SKIP_1) | instid1(VALU_DEP_1)
	v_dual_add_f32 v26, v26, v27 :: v_dual_mov_b32 v103, 0x80
	s_mov_b32 s17, exec_lo
	v_and_b32_e32 v27, 0x7f800000, v26
	s_delay_alu instid0(VALU_DEP_1)
	v_cmpx_ne_u32_e32 0x7f800000, v27
	s_cbranch_execz .LBB6_11946
; %bb.11939:                            ;   in Loop: Header=BB6_11312 Depth=3
	v_mov_b32_e32 v103, 0
	s_mov_b32 s30, exec_lo
	v_cmpx_ne_u32_e32 0, v26
	s_cbranch_execz .LBB6_11945
; %bb.11940:                            ;   in Loop: Header=BB6_11312 Depth=3
	v_bfe_u32 v27, v26, 23, 8
	s_delay_alu instid0(VALU_DEP_1) | instskip(SKIP_1) | instid1(VALU_DEP_2)
	v_sub_nc_u32_e32 v37, 0x70, v27
	v_cmp_gt_u32_e32 vcc_lo, 0x71, v27
	v_dual_cndmask_b32 v37, 0, v37 :: v_dual_and_b32 v36, 0x7fffff, v26
	s_delay_alu instid0(VALU_DEP_1) | instskip(SKIP_2) | instid1(VALU_DEP_4)
	v_or_b32_e32 v38, 0x800000, v36
	v_cmp_eq_u32_e32 vcc_lo, 0, v27
	v_add_nc_u32_e32 v27, 0xffffff91, v27
	v_cndmask_b32_e64 v37, v37, 0x6f, vcc_lo
	s_delay_alu instid0(VALU_DEP_4) | instskip(NEXT) | instid1(VALU_DEP_3)
	v_cndmask_b32_e32 v36, v38, v36, vcc_lo
	v_cndmask_b32_e64 v27, v27, 0xffffff92, vcc_lo
	s_delay_alu instid0(VALU_DEP_3) | instskip(NEXT) | instid1(VALU_DEP_3)
	v_lshl_add_u32 v38, 0x200000, v37, -1
	v_lshrrev_b32_e32 v39, v37, v36
	v_lshlrev_b32_e64 v49, v37, 0x100000
	s_delay_alu instid0(VALU_DEP_4) | instskip(NEXT) | instid1(VALU_DEP_4)
	v_add_nc_u32_e32 v37, v37, v27
	v_and_b32_e32 v36, v38, v36
	s_delay_alu instid0(VALU_DEP_4) | instskip(NEXT) | instid1(VALU_DEP_2)
	v_bfe_u32 v48, v39, 21, 1
	v_cmp_eq_u32_e64 s13, v36, v49
	s_delay_alu instid0(VALU_DEP_2) | instskip(NEXT) | instid1(VALU_DEP_1)
	v_add_nc_u32_e32 v38, -1, v48
	v_cndmask_b32_e64 v36, 0, v38, s13
	v_lshrrev_b32_e32 v38, 23, v39
	s_mov_b32 s13, exec_lo
	s_delay_alu instid0(VALU_DEP_2) | instskip(NEXT) | instid1(VALU_DEP_2)
	v_add_nc_u32_e32 v36, v36, v39
	v_xor_b32_e32 v38, 1, v38
	s_delay_alu instid0(VALU_DEP_2) | instskip(NEXT) | instid1(VALU_DEP_1)
	v_and_b32_e32 v27, 0x1fffff, v36
	v_add_nc_u32_e32 v36, v27, v39
                                        ; implicit-def: $vgpr27
	s_delay_alu instid0(VALU_DEP_3)
	v_cmpx_ne_u32_e64 v37, v38
	s_xor_b32 s13, exec_lo, s13
; %bb.11941:                            ;   in Loop: Header=BB6_11312 Depth=3
	s_delay_alu instid0(VALU_DEP_2) | instskip(SKIP_2) | instid1(VALU_DEP_2)
	v_cmp_lt_u32_e32 vcc_lo, 0xffffff, v36
	v_sub_nc_u32_e32 v27, v37, v38
	v_cndmask_b32_e64 v37, 0, 1, vcc_lo
	v_add_co_ci_u32_e32 v27, vcc_lo, 0, v27, vcc_lo
	s_delay_alu instid0(VALU_DEP_2)
	v_lshrrev_b32_e32 v36, v37, v36
; %bb.11942:                            ;   in Loop: Header=BB6_11312 Depth=3
	s_and_not1_saveexec_b32 s13, s13
; %bb.11943:                            ;   in Loop: Header=BB6_11312 Depth=3
	s_delay_alu instid0(VALU_DEP_1)
	v_bfe_u32 v27, v36, 23, 1
; %bb.11944:                            ;   in Loop: Header=BB6_11312 Depth=3
	s_or_b32 exec_lo, exec_lo, s13
	v_lshrrev_b32_e32 v36, 21, v36
	s_delay_alu instid0(VALU_DEP_2) | instskip(SKIP_2) | instid1(VALU_DEP_2)
	v_cmp_gt_i32_e32 vcc_lo, 32, v27
	v_min_i32_e32 v37, 31, v27
	v_lshrrev_b32_e32 v26, 24, v26
	v_dual_cndmask_b32 v36, 3, v36 :: v_dual_lshlrev_b32 v37, 2, v37
	s_delay_alu instid0(VALU_DEP_2) | instskip(NEXT) | instid1(VALU_DEP_2)
	v_and_b32_e32 v26, 0x80, v26
	v_or_b32_e32 v27, v27, v36
	s_delay_alu instid0(VALU_DEP_1) | instskip(SKIP_1) | instid1(VALU_DEP_1)
	v_cmp_ne_u32_e32 vcc_lo, 0, v27
	v_and_b32_e32 v38, 3, v36
	v_or3_b32 v26, v37, v26, v38
	s_delay_alu instid0(VALU_DEP_1)
	v_cndmask_b32_e32 v103, 0, v26, vcc_lo
.LBB6_11945:                            ;   in Loop: Header=BB6_11312 Depth=3
	s_or_b32 exec_lo, exec_lo, s30
.LBB6_11946:                            ;   in Loop: Header=BB6_11312 Depth=3
	s_delay_alu instid0(SALU_CYCLE_1) | instskip(SKIP_3) | instid1(VALU_DEP_1)
	s_or_b32 exec_lo, exec_lo, s17
	v_and_b32_e32 v27, 0xff, v182
	s_mov_b32 s13, 0
	s_mov_b32 s30, exec_lo
                                        ; implicit-def: $sgpr17
	v_cmpx_lt_i16_e32 0x7f, v27
	s_xor_b32 s30, exec_lo, s30
	s_cbranch_execnz .LBB6_12467
; %bb.11947:                            ;   in Loop: Header=BB6_11312 Depth=3
	s_or_saveexec_b32 s30, s30
	v_mov_b32_e32 v26, s17
	s_xor_b32 exec_lo, exec_lo, s30
	s_cbranch_execnz .LBB6_12470
.LBB6_11948:                            ;   in Loop: Header=BB6_11312 Depth=3
	s_or_b32 exec_lo, exec_lo, s30
	s_and_saveexec_b32 s17, s13
	s_cbranch_execz .LBB6_11950
.LBB6_11949:                            ;   in Loop: Header=BB6_11312 Depth=3
	v_lshrrev_b16 v37, 2, v182
	v_lshlrev_b32_e32 v38, 24, v182
	s_delay_alu instid0(VALU_DEP_2) | instskip(NEXT) | instid1(VALU_DEP_1)
	v_and_b32_e32 v37, 31, v37
	v_cmp_eq_u32_e32 vcc_lo, 0, v37
	v_and_b32_e32 v26, 3, v182
	s_delay_alu instid0(VALU_DEP_1) | instskip(NEXT) | instid1(VALU_DEP_1)
	v_clz_i32_u32_e32 v27, v26
	v_min_u32_e32 v27, 32, v27
	s_delay_alu instid0(VALU_DEP_1) | instskip(SKIP_1) | instid1(VALU_DEP_1)
	v_subrev_nc_u32_e32 v36, 29, v27
	v_sub_nc_u32_e32 v27, 30, v27
	v_dual_cndmask_b32 v27, v37, v27 :: v_dual_lshlrev_b32 v36, v36, v182
	s_delay_alu instid0(VALU_DEP_1) | instskip(NEXT) | instid1(VALU_DEP_2)
	v_and_b32_e32 v36, 3, v36
	v_lshl_add_u32 v27, v27, 23, 0x37800000
	s_delay_alu instid0(VALU_DEP_2) | instskip(SKIP_1) | instid1(VALU_DEP_2)
	v_cndmask_b32_e32 v26, v26, v36, vcc_lo
	v_and_b32_e32 v36, 0x80000000, v38
	v_lshlrev_b32_e32 v26, 21, v26
	s_delay_alu instid0(VALU_DEP_1)
	v_or3_b32 v26, v36, v27, v26
.LBB6_11950:                            ;   in Loop: Header=BB6_11312 Depth=3
	s_or_b32 exec_lo, exec_lo, s17
	s_waitcnt vmcnt(16) lgkmcnt(16)
	v_and_b32_e32 v36, 0xff, v74
	s_mov_b32 s13, 0
	s_mov_b32 s30, exec_lo
                                        ; implicit-def: $sgpr17
	s_delay_alu instid0(VALU_DEP_1)
	v_cmpx_lt_i16_e32 0x7f, v36
	s_xor_b32 s30, exec_lo, s30
	s_cbranch_execnz .LBB6_12471
; %bb.11951:                            ;   in Loop: Header=BB6_11312 Depth=3
	s_or_saveexec_b32 s30, s30
	v_mov_b32_e32 v27, s17
	s_xor_b32 exec_lo, exec_lo, s30
	s_cbranch_execnz .LBB6_12474
.LBB6_11952:                            ;   in Loop: Header=BB6_11312 Depth=3
	s_or_b32 exec_lo, exec_lo, s30
	s_and_saveexec_b32 s17, s13
	s_cbranch_execz .LBB6_11954
.LBB6_11953:                            ;   in Loop: Header=BB6_11312 Depth=3
	v_lshrrev_b16 v38, 2, v74
	v_lshlrev_b32_e32 v39, 24, v74
	s_delay_alu instid0(VALU_DEP_2) | instskip(NEXT) | instid1(VALU_DEP_1)
	v_and_b32_e32 v38, 31, v38
	v_cmp_eq_u32_e32 vcc_lo, 0, v38
	v_and_b32_e32 v27, 3, v74
	s_delay_alu instid0(VALU_DEP_1) | instskip(NEXT) | instid1(VALU_DEP_1)
	v_clz_i32_u32_e32 v36, v27
	v_min_u32_e32 v36, 32, v36
	s_delay_alu instid0(VALU_DEP_1) | instskip(SKIP_1) | instid1(VALU_DEP_1)
	v_subrev_nc_u32_e32 v37, 29, v36
	v_sub_nc_u32_e32 v36, 30, v36
	v_dual_cndmask_b32 v36, v38, v36 :: v_dual_lshlrev_b32 v37, v37, v74
	s_delay_alu instid0(VALU_DEP_1) | instskip(NEXT) | instid1(VALU_DEP_2)
	v_and_b32_e32 v37, 3, v37
	v_lshl_add_u32 v36, v36, 23, 0x37800000
	s_delay_alu instid0(VALU_DEP_2) | instskip(SKIP_1) | instid1(VALU_DEP_2)
	v_cndmask_b32_e32 v27, v27, v37, vcc_lo
	v_and_b32_e32 v37, 0x80000000, v39
	v_lshlrev_b32_e32 v27, 21, v27
	s_delay_alu instid0(VALU_DEP_1)
	v_or3_b32 v27, v37, v36, v27
.LBB6_11954:                            ;   in Loop: Header=BB6_11312 Depth=3
	s_or_b32 exec_lo, exec_lo, s17
	s_delay_alu instid0(VALU_DEP_1) | instskip(SKIP_2) | instid1(VALU_DEP_2)
	v_add_f32_e32 v26, v26, v27
	v_mov_b32_e32 v182, 0x80
	s_mov_b32 s17, exec_lo
	v_and_b32_e32 v27, 0x7f800000, v26
	s_delay_alu instid0(VALU_DEP_1)
	v_cmpx_ne_u32_e32 0x7f800000, v27
	s_cbranch_execz .LBB6_11962
; %bb.11955:                            ;   in Loop: Header=BB6_11312 Depth=3
	v_mov_b32_e32 v182, 0
	s_mov_b32 s30, exec_lo
	v_cmpx_ne_u32_e32 0, v26
	s_cbranch_execz .LBB6_11961
; %bb.11956:                            ;   in Loop: Header=BB6_11312 Depth=3
	v_bfe_u32 v27, v26, 23, 8
	s_delay_alu instid0(VALU_DEP_1) | instskip(SKIP_1) | instid1(VALU_DEP_2)
	v_sub_nc_u32_e32 v37, 0x70, v27
	v_cmp_gt_u32_e32 vcc_lo, 0x71, v27
	v_dual_cndmask_b32 v37, 0, v37 :: v_dual_and_b32 v36, 0x7fffff, v26
	s_delay_alu instid0(VALU_DEP_1) | instskip(SKIP_2) | instid1(VALU_DEP_4)
	v_or_b32_e32 v38, 0x800000, v36
	v_cmp_eq_u32_e32 vcc_lo, 0, v27
	v_add_nc_u32_e32 v27, 0xffffff91, v27
	v_cndmask_b32_e64 v37, v37, 0x6f, vcc_lo
	s_delay_alu instid0(VALU_DEP_4) | instskip(NEXT) | instid1(VALU_DEP_3)
	v_cndmask_b32_e32 v36, v38, v36, vcc_lo
	v_cndmask_b32_e64 v27, v27, 0xffffff92, vcc_lo
	s_delay_alu instid0(VALU_DEP_3) | instskip(NEXT) | instid1(VALU_DEP_3)
	v_lshl_add_u32 v38, 0x200000, v37, -1
	v_lshrrev_b32_e32 v39, v37, v36
	v_lshlrev_b32_e64 v49, v37, 0x100000
	s_delay_alu instid0(VALU_DEP_4) | instskip(NEXT) | instid1(VALU_DEP_4)
	v_add_nc_u32_e32 v37, v37, v27
	v_and_b32_e32 v36, v38, v36
	s_delay_alu instid0(VALU_DEP_4) | instskip(NEXT) | instid1(VALU_DEP_2)
	v_bfe_u32 v48, v39, 21, 1
	v_cmp_eq_u32_e64 s13, v36, v49
	s_delay_alu instid0(VALU_DEP_2) | instskip(NEXT) | instid1(VALU_DEP_1)
	v_add_nc_u32_e32 v38, -1, v48
	v_cndmask_b32_e64 v36, 0, v38, s13
	v_lshrrev_b32_e32 v38, 23, v39
	s_mov_b32 s13, exec_lo
	s_delay_alu instid0(VALU_DEP_2) | instskip(NEXT) | instid1(VALU_DEP_2)
	v_add_nc_u32_e32 v36, v36, v39
	v_xor_b32_e32 v38, 1, v38
	s_delay_alu instid0(VALU_DEP_2) | instskip(NEXT) | instid1(VALU_DEP_1)
	v_and_b32_e32 v27, 0x1fffff, v36
	v_add_nc_u32_e32 v36, v27, v39
                                        ; implicit-def: $vgpr27
	s_delay_alu instid0(VALU_DEP_3)
	v_cmpx_ne_u32_e64 v37, v38
	s_xor_b32 s13, exec_lo, s13
; %bb.11957:                            ;   in Loop: Header=BB6_11312 Depth=3
	s_delay_alu instid0(VALU_DEP_2) | instskip(SKIP_2) | instid1(VALU_DEP_2)
	v_cmp_lt_u32_e32 vcc_lo, 0xffffff, v36
	v_sub_nc_u32_e32 v27, v37, v38
	v_cndmask_b32_e64 v37, 0, 1, vcc_lo
	v_add_co_ci_u32_e32 v27, vcc_lo, 0, v27, vcc_lo
	s_delay_alu instid0(VALU_DEP_2)
	v_lshrrev_b32_e32 v36, v37, v36
; %bb.11958:                            ;   in Loop: Header=BB6_11312 Depth=3
	s_and_not1_saveexec_b32 s13, s13
; %bb.11959:                            ;   in Loop: Header=BB6_11312 Depth=3
	s_delay_alu instid0(VALU_DEP_1)
	v_bfe_u32 v27, v36, 23, 1
; %bb.11960:                            ;   in Loop: Header=BB6_11312 Depth=3
	s_or_b32 exec_lo, exec_lo, s13
	v_lshrrev_b32_e32 v36, 21, v36
	s_delay_alu instid0(VALU_DEP_2) | instskip(SKIP_2) | instid1(VALU_DEP_4)
	v_cmp_gt_i32_e32 vcc_lo, 32, v27
	v_lshrrev_b32_e32 v26, 24, v26
	v_min_i32_e32 v37, 31, v27
	v_cndmask_b32_e32 v36, 3, v36, vcc_lo
	s_delay_alu instid0(VALU_DEP_3) | instskip(NEXT) | instid1(VALU_DEP_3)
	v_and_b32_e32 v26, 0x80, v26
	v_lshlrev_b32_e32 v37, 2, v37
	s_delay_alu instid0(VALU_DEP_3) | instskip(SKIP_1) | instid1(VALU_DEP_2)
	v_and_b32_e32 v38, 3, v36
	v_or_b32_e32 v27, v27, v36
	v_or3_b32 v26, v37, v26, v38
	s_delay_alu instid0(VALU_DEP_2) | instskip(NEXT) | instid1(VALU_DEP_2)
	v_cmp_ne_u32_e32 vcc_lo, 0, v27
	v_cndmask_b32_e32 v182, 0, v26, vcc_lo
.LBB6_11961:                            ;   in Loop: Header=BB6_11312 Depth=3
	s_or_b32 exec_lo, exec_lo, s30
.LBB6_11962:                            ;   in Loop: Header=BB6_11312 Depth=3
	s_delay_alu instid0(SALU_CYCLE_1) | instskip(SKIP_3) | instid1(VALU_DEP_1)
	s_or_b32 exec_lo, exec_lo, s17
	v_and_b32_e32 v27, 0xff, v55
	s_mov_b32 s13, 0
	s_mov_b32 s30, exec_lo
                                        ; implicit-def: $sgpr17
	v_cmpx_lt_i16_e32 0x7f, v27
	s_xor_b32 s30, exec_lo, s30
	s_cbranch_execnz .LBB6_12475
; %bb.11963:                            ;   in Loop: Header=BB6_11312 Depth=3
	s_or_saveexec_b32 s30, s30
	v_mov_b32_e32 v26, s17
	s_xor_b32 exec_lo, exec_lo, s30
	s_cbranch_execnz .LBB6_12478
.LBB6_11964:                            ;   in Loop: Header=BB6_11312 Depth=3
	s_or_b32 exec_lo, exec_lo, s30
	s_and_saveexec_b32 s17, s13
	s_cbranch_execz .LBB6_11966
.LBB6_11965:                            ;   in Loop: Header=BB6_11312 Depth=3
	v_and_b32_e32 v26, 3, v55
	v_lshrrev_b16 v37, 2, v55
	v_lshlrev_b32_e32 v38, 24, v55
	s_delay_alu instid0(VALU_DEP_3) | instskip(NEXT) | instid1(VALU_DEP_1)
	v_clz_i32_u32_e32 v27, v26
	v_min_u32_e32 v27, 32, v27
	s_delay_alu instid0(VALU_DEP_1) | instskip(SKIP_1) | instid1(VALU_DEP_2)
	v_subrev_nc_u32_e32 v36, 29, v27
	v_sub_nc_u32_e32 v27, 30, v27
	v_lshlrev_b32_e32 v36, v36, v55
	s_delay_alu instid0(VALU_DEP_1) | instskip(SKIP_1) | instid1(VALU_DEP_1)
	v_and_b32_e32 v36, 3, v36
	v_and_b32_e32 v37, 31, v37
	v_cmp_eq_u32_e32 vcc_lo, 0, v37
	s_delay_alu instid0(VALU_DEP_3) | instskip(SKIP_1) | instid1(VALU_DEP_2)
	v_dual_cndmask_b32 v26, v26, v36 :: v_dual_cndmask_b32 v27, v37, v27
	v_and_b32_e32 v36, 0x80000000, v38
	v_lshlrev_b32_e32 v26, 21, v26
	s_delay_alu instid0(VALU_DEP_3) | instskip(NEXT) | instid1(VALU_DEP_1)
	v_lshl_add_u32 v27, v27, 23, 0x37800000
	v_or3_b32 v26, v36, v27, v26
.LBB6_11966:                            ;   in Loop: Header=BB6_11312 Depth=3
	s_or_b32 exec_lo, exec_lo, s17
	s_waitcnt vmcnt(15) lgkmcnt(15)
	v_and_b32_e32 v36, 0xff, v73
	s_mov_b32 s13, 0
	s_mov_b32 s30, exec_lo
                                        ; implicit-def: $sgpr17
	s_delay_alu instid0(VALU_DEP_1)
	v_cmpx_lt_i16_e32 0x7f, v36
	s_xor_b32 s30, exec_lo, s30
	s_cbranch_execnz .LBB6_12479
; %bb.11967:                            ;   in Loop: Header=BB6_11312 Depth=3
	s_or_saveexec_b32 s30, s30
	v_mov_b32_e32 v27, s17
	s_xor_b32 exec_lo, exec_lo, s30
	s_cbranch_execnz .LBB6_12482
.LBB6_11968:                            ;   in Loop: Header=BB6_11312 Depth=3
	s_or_b32 exec_lo, exec_lo, s30
	s_and_saveexec_b32 s17, s13
	s_cbranch_execz .LBB6_11970
.LBB6_11969:                            ;   in Loop: Header=BB6_11312 Depth=3
	v_lshrrev_b16 v38, 2, v73
	v_lshlrev_b32_e32 v39, 24, v73
	s_delay_alu instid0(VALU_DEP_2) | instskip(NEXT) | instid1(VALU_DEP_1)
	v_and_b32_e32 v38, 31, v38
	v_cmp_eq_u32_e32 vcc_lo, 0, v38
	v_and_b32_e32 v27, 3, v73
	s_delay_alu instid0(VALU_DEP_1) | instskip(NEXT) | instid1(VALU_DEP_1)
	v_clz_i32_u32_e32 v36, v27
	v_min_u32_e32 v36, 32, v36
	s_delay_alu instid0(VALU_DEP_1) | instskip(SKIP_1) | instid1(VALU_DEP_1)
	v_subrev_nc_u32_e32 v37, 29, v36
	v_sub_nc_u32_e32 v36, 30, v36
	v_dual_cndmask_b32 v36, v38, v36 :: v_dual_lshlrev_b32 v37, v37, v73
	s_delay_alu instid0(VALU_DEP_1) | instskip(NEXT) | instid1(VALU_DEP_2)
	v_and_b32_e32 v37, 3, v37
	v_lshl_add_u32 v36, v36, 23, 0x37800000
	s_delay_alu instid0(VALU_DEP_2) | instskip(SKIP_1) | instid1(VALU_DEP_2)
	v_cndmask_b32_e32 v27, v27, v37, vcc_lo
	v_and_b32_e32 v37, 0x80000000, v39
	v_lshlrev_b32_e32 v27, 21, v27
	s_delay_alu instid0(VALU_DEP_1)
	v_or3_b32 v27, v37, v36, v27
.LBB6_11970:                            ;   in Loop: Header=BB6_11312 Depth=3
	s_or_b32 exec_lo, exec_lo, s17
	s_delay_alu instid0(VALU_DEP_1) | instskip(SKIP_1) | instid1(VALU_DEP_1)
	v_dual_add_f32 v26, v26, v27 :: v_dual_mov_b32 v55, 0x80
	s_mov_b32 s17, exec_lo
	v_and_b32_e32 v27, 0x7f800000, v26
	s_delay_alu instid0(VALU_DEP_1)
	v_cmpx_ne_u32_e32 0x7f800000, v27
	s_cbranch_execz .LBB6_11978
; %bb.11971:                            ;   in Loop: Header=BB6_11312 Depth=3
	v_mov_b32_e32 v55, 0
	s_mov_b32 s30, exec_lo
	v_cmpx_ne_u32_e32 0, v26
	s_cbranch_execz .LBB6_11977
; %bb.11972:                            ;   in Loop: Header=BB6_11312 Depth=3
	v_bfe_u32 v27, v26, 23, 8
	s_delay_alu instid0(VALU_DEP_1) | instskip(SKIP_1) | instid1(VALU_DEP_2)
	v_sub_nc_u32_e32 v37, 0x70, v27
	v_cmp_gt_u32_e32 vcc_lo, 0x71, v27
	v_dual_cndmask_b32 v37, 0, v37 :: v_dual_and_b32 v36, 0x7fffff, v26
	s_delay_alu instid0(VALU_DEP_1) | instskip(SKIP_2) | instid1(VALU_DEP_4)
	v_or_b32_e32 v38, 0x800000, v36
	v_cmp_eq_u32_e32 vcc_lo, 0, v27
	v_add_nc_u32_e32 v27, 0xffffff91, v27
	v_cndmask_b32_e64 v37, v37, 0x6f, vcc_lo
	s_delay_alu instid0(VALU_DEP_4) | instskip(NEXT) | instid1(VALU_DEP_3)
	v_cndmask_b32_e32 v36, v38, v36, vcc_lo
	v_cndmask_b32_e64 v27, v27, 0xffffff92, vcc_lo
	s_delay_alu instid0(VALU_DEP_3) | instskip(NEXT) | instid1(VALU_DEP_3)
	v_lshl_add_u32 v38, 0x200000, v37, -1
	v_lshrrev_b32_e32 v39, v37, v36
	v_lshlrev_b32_e64 v49, v37, 0x100000
	s_delay_alu instid0(VALU_DEP_4) | instskip(NEXT) | instid1(VALU_DEP_4)
	v_add_nc_u32_e32 v37, v37, v27
	v_and_b32_e32 v36, v38, v36
	s_delay_alu instid0(VALU_DEP_4) | instskip(NEXT) | instid1(VALU_DEP_2)
	v_bfe_u32 v48, v39, 21, 1
	v_cmp_eq_u32_e64 s13, v36, v49
	s_delay_alu instid0(VALU_DEP_2) | instskip(NEXT) | instid1(VALU_DEP_1)
	v_add_nc_u32_e32 v38, -1, v48
	v_cndmask_b32_e64 v36, 0, v38, s13
	v_lshrrev_b32_e32 v38, 23, v39
	s_mov_b32 s13, exec_lo
	s_delay_alu instid0(VALU_DEP_2) | instskip(NEXT) | instid1(VALU_DEP_2)
	v_add_nc_u32_e32 v36, v36, v39
	v_xor_b32_e32 v38, 1, v38
	s_delay_alu instid0(VALU_DEP_2) | instskip(NEXT) | instid1(VALU_DEP_1)
	v_and_b32_e32 v27, 0x1fffff, v36
	v_add_nc_u32_e32 v36, v27, v39
                                        ; implicit-def: $vgpr27
	s_delay_alu instid0(VALU_DEP_3)
	v_cmpx_ne_u32_e64 v37, v38
	s_xor_b32 s13, exec_lo, s13
; %bb.11973:                            ;   in Loop: Header=BB6_11312 Depth=3
	s_delay_alu instid0(VALU_DEP_2) | instskip(SKIP_2) | instid1(VALU_DEP_2)
	v_cmp_lt_u32_e32 vcc_lo, 0xffffff, v36
	v_sub_nc_u32_e32 v27, v37, v38
	v_cndmask_b32_e64 v37, 0, 1, vcc_lo
	v_add_co_ci_u32_e32 v27, vcc_lo, 0, v27, vcc_lo
	s_delay_alu instid0(VALU_DEP_2)
	v_lshrrev_b32_e32 v36, v37, v36
; %bb.11974:                            ;   in Loop: Header=BB6_11312 Depth=3
	s_and_not1_saveexec_b32 s13, s13
; %bb.11975:                            ;   in Loop: Header=BB6_11312 Depth=3
	s_delay_alu instid0(VALU_DEP_1)
	v_bfe_u32 v27, v36, 23, 1
; %bb.11976:                            ;   in Loop: Header=BB6_11312 Depth=3
	s_or_b32 exec_lo, exec_lo, s13
	v_lshrrev_b32_e32 v36, 21, v36
	s_delay_alu instid0(VALU_DEP_2) | instskip(SKIP_2) | instid1(VALU_DEP_2)
	v_cmp_gt_i32_e32 vcc_lo, 32, v27
	v_min_i32_e32 v37, 31, v27
	v_lshrrev_b32_e32 v26, 24, v26
	v_dual_cndmask_b32 v36, 3, v36 :: v_dual_lshlrev_b32 v37, 2, v37
	s_delay_alu instid0(VALU_DEP_2) | instskip(NEXT) | instid1(VALU_DEP_2)
	v_and_b32_e32 v26, 0x80, v26
	v_or_b32_e32 v27, v27, v36
	s_delay_alu instid0(VALU_DEP_1) | instskip(SKIP_1) | instid1(VALU_DEP_1)
	v_cmp_ne_u32_e32 vcc_lo, 0, v27
	v_and_b32_e32 v38, 3, v36
	v_or3_b32 v26, v37, v26, v38
	s_delay_alu instid0(VALU_DEP_1)
	v_cndmask_b32_e32 v55, 0, v26, vcc_lo
.LBB6_11977:                            ;   in Loop: Header=BB6_11312 Depth=3
	s_or_b32 exec_lo, exec_lo, s30
.LBB6_11978:                            ;   in Loop: Header=BB6_11312 Depth=3
	s_delay_alu instid0(SALU_CYCLE_1) | instskip(SKIP_3) | instid1(VALU_DEP_1)
	s_or_b32 exec_lo, exec_lo, s17
	v_and_b32_e32 v27, 0xff, v179
	s_mov_b32 s13, 0
	s_mov_b32 s30, exec_lo
                                        ; implicit-def: $sgpr17
	v_cmpx_lt_i16_e32 0x7f, v27
	s_xor_b32 s30, exec_lo, s30
	s_cbranch_execnz .LBB6_12483
; %bb.11979:                            ;   in Loop: Header=BB6_11312 Depth=3
	s_or_saveexec_b32 s30, s30
	v_mov_b32_e32 v26, s17
	s_xor_b32 exec_lo, exec_lo, s30
	s_cbranch_execnz .LBB6_12486
.LBB6_11980:                            ;   in Loop: Header=BB6_11312 Depth=3
	s_or_b32 exec_lo, exec_lo, s30
	s_and_saveexec_b32 s17, s13
	s_cbranch_execz .LBB6_11982
.LBB6_11981:                            ;   in Loop: Header=BB6_11312 Depth=3
	v_and_b32_e32 v26, 3, v179
	v_lshrrev_b16 v37, 2, v179
	v_lshlrev_b32_e32 v38, 24, v179
	s_delay_alu instid0(VALU_DEP_3) | instskip(NEXT) | instid1(VALU_DEP_1)
	v_clz_i32_u32_e32 v27, v26
	v_min_u32_e32 v27, 32, v27
	s_delay_alu instid0(VALU_DEP_1) | instskip(SKIP_1) | instid1(VALU_DEP_2)
	v_subrev_nc_u32_e32 v36, 29, v27
	v_sub_nc_u32_e32 v27, 30, v27
	v_lshlrev_b32_e32 v36, v36, v179
	s_delay_alu instid0(VALU_DEP_1) | instskip(SKIP_1) | instid1(VALU_DEP_1)
	v_and_b32_e32 v36, 3, v36
	v_and_b32_e32 v37, 31, v37
	v_cmp_eq_u32_e32 vcc_lo, 0, v37
	s_delay_alu instid0(VALU_DEP_3) | instskip(SKIP_1) | instid1(VALU_DEP_2)
	v_dual_cndmask_b32 v26, v26, v36 :: v_dual_cndmask_b32 v27, v37, v27
	v_and_b32_e32 v36, 0x80000000, v38
	v_lshlrev_b32_e32 v26, 21, v26
	s_delay_alu instid0(VALU_DEP_3) | instskip(NEXT) | instid1(VALU_DEP_1)
	v_lshl_add_u32 v27, v27, 23, 0x37800000
	v_or3_b32 v26, v36, v27, v26
.LBB6_11982:                            ;   in Loop: Header=BB6_11312 Depth=3
	s_or_b32 exec_lo, exec_lo, s17
	s_waitcnt vmcnt(14) lgkmcnt(14)
	v_and_b32_e32 v36, 0xff, v72
	s_mov_b32 s13, 0
	s_mov_b32 s30, exec_lo
                                        ; implicit-def: $sgpr17
	s_delay_alu instid0(VALU_DEP_1)
	v_cmpx_lt_i16_e32 0x7f, v36
	s_xor_b32 s30, exec_lo, s30
	s_cbranch_execnz .LBB6_12487
; %bb.11983:                            ;   in Loop: Header=BB6_11312 Depth=3
	s_or_saveexec_b32 s30, s30
	v_mov_b32_e32 v27, s17
	s_xor_b32 exec_lo, exec_lo, s30
	s_cbranch_execnz .LBB6_12490
.LBB6_11984:                            ;   in Loop: Header=BB6_11312 Depth=3
	s_or_b32 exec_lo, exec_lo, s30
	s_and_saveexec_b32 s17, s13
	s_cbranch_execz .LBB6_11986
.LBB6_11985:                            ;   in Loop: Header=BB6_11312 Depth=3
	v_and_b32_e32 v27, 3, v72
	v_lshrrev_b16 v38, 2, v72
	v_lshlrev_b32_e32 v39, 24, v72
	s_delay_alu instid0(VALU_DEP_3) | instskip(NEXT) | instid1(VALU_DEP_1)
	v_clz_i32_u32_e32 v36, v27
	v_min_u32_e32 v36, 32, v36
	s_delay_alu instid0(VALU_DEP_1) | instskip(SKIP_1) | instid1(VALU_DEP_2)
	v_subrev_nc_u32_e32 v37, 29, v36
	v_sub_nc_u32_e32 v36, 30, v36
	v_lshlrev_b32_e32 v37, v37, v72
	s_delay_alu instid0(VALU_DEP_1) | instskip(SKIP_1) | instid1(VALU_DEP_1)
	v_and_b32_e32 v37, 3, v37
	v_and_b32_e32 v38, 31, v38
	v_cmp_eq_u32_e32 vcc_lo, 0, v38
	s_delay_alu instid0(VALU_DEP_3) | instskip(SKIP_1) | instid1(VALU_DEP_2)
	v_dual_cndmask_b32 v27, v27, v37 :: v_dual_cndmask_b32 v36, v38, v36
	v_and_b32_e32 v37, 0x80000000, v39
	v_lshlrev_b32_e32 v27, 21, v27
	s_delay_alu instid0(VALU_DEP_3) | instskip(NEXT) | instid1(VALU_DEP_1)
	v_lshl_add_u32 v36, v36, 23, 0x37800000
	v_or3_b32 v27, v37, v36, v27
.LBB6_11986:                            ;   in Loop: Header=BB6_11312 Depth=3
	s_or_b32 exec_lo, exec_lo, s17
	s_delay_alu instid0(VALU_DEP_1) | instskip(SKIP_1) | instid1(VALU_DEP_1)
	v_dual_add_f32 v26, v26, v27 :: v_dual_mov_b32 v179, 0x80
	s_mov_b32 s17, exec_lo
	v_and_b32_e32 v27, 0x7f800000, v26
	s_delay_alu instid0(VALU_DEP_1)
	v_cmpx_ne_u32_e32 0x7f800000, v27
	s_cbranch_execz .LBB6_11994
; %bb.11987:                            ;   in Loop: Header=BB6_11312 Depth=3
	v_mov_b32_e32 v179, 0
	s_mov_b32 s30, exec_lo
	v_cmpx_ne_u32_e32 0, v26
	s_cbranch_execz .LBB6_11993
; %bb.11988:                            ;   in Loop: Header=BB6_11312 Depth=3
	v_bfe_u32 v27, v26, 23, 8
	s_delay_alu instid0(VALU_DEP_1) | instskip(SKIP_1) | instid1(VALU_DEP_2)
	v_sub_nc_u32_e32 v37, 0x70, v27
	v_cmp_gt_u32_e32 vcc_lo, 0x71, v27
	v_dual_cndmask_b32 v37, 0, v37 :: v_dual_and_b32 v36, 0x7fffff, v26
	s_delay_alu instid0(VALU_DEP_1) | instskip(SKIP_2) | instid1(VALU_DEP_4)
	v_or_b32_e32 v38, 0x800000, v36
	v_cmp_eq_u32_e32 vcc_lo, 0, v27
	v_add_nc_u32_e32 v27, 0xffffff91, v27
	v_cndmask_b32_e64 v37, v37, 0x6f, vcc_lo
	s_delay_alu instid0(VALU_DEP_4) | instskip(NEXT) | instid1(VALU_DEP_3)
	v_cndmask_b32_e32 v36, v38, v36, vcc_lo
	v_cndmask_b32_e64 v27, v27, 0xffffff92, vcc_lo
	s_delay_alu instid0(VALU_DEP_3) | instskip(NEXT) | instid1(VALU_DEP_3)
	v_lshl_add_u32 v38, 0x200000, v37, -1
	v_lshrrev_b32_e32 v39, v37, v36
	v_lshlrev_b32_e64 v49, v37, 0x100000
	s_delay_alu instid0(VALU_DEP_4) | instskip(NEXT) | instid1(VALU_DEP_4)
	v_add_nc_u32_e32 v37, v37, v27
	v_and_b32_e32 v36, v38, v36
	s_delay_alu instid0(VALU_DEP_4) | instskip(NEXT) | instid1(VALU_DEP_2)
	v_bfe_u32 v48, v39, 21, 1
	v_cmp_eq_u32_e64 s13, v36, v49
	s_delay_alu instid0(VALU_DEP_2) | instskip(NEXT) | instid1(VALU_DEP_1)
	v_add_nc_u32_e32 v38, -1, v48
	v_cndmask_b32_e64 v36, 0, v38, s13
	v_lshrrev_b32_e32 v38, 23, v39
	s_mov_b32 s13, exec_lo
	s_delay_alu instid0(VALU_DEP_2) | instskip(NEXT) | instid1(VALU_DEP_2)
	v_add_nc_u32_e32 v36, v36, v39
	v_xor_b32_e32 v38, 1, v38
	s_delay_alu instid0(VALU_DEP_2) | instskip(NEXT) | instid1(VALU_DEP_1)
	v_and_b32_e32 v27, 0x1fffff, v36
	v_add_nc_u32_e32 v36, v27, v39
                                        ; implicit-def: $vgpr27
	s_delay_alu instid0(VALU_DEP_3)
	v_cmpx_ne_u32_e64 v37, v38
	s_xor_b32 s13, exec_lo, s13
; %bb.11989:                            ;   in Loop: Header=BB6_11312 Depth=3
	s_delay_alu instid0(VALU_DEP_2) | instskip(SKIP_2) | instid1(VALU_DEP_2)
	v_cmp_lt_u32_e32 vcc_lo, 0xffffff, v36
	v_sub_nc_u32_e32 v27, v37, v38
	v_cndmask_b32_e64 v37, 0, 1, vcc_lo
	v_add_co_ci_u32_e32 v27, vcc_lo, 0, v27, vcc_lo
	s_delay_alu instid0(VALU_DEP_2)
	v_lshrrev_b32_e32 v36, v37, v36
; %bb.11990:                            ;   in Loop: Header=BB6_11312 Depth=3
	s_and_not1_saveexec_b32 s13, s13
; %bb.11991:                            ;   in Loop: Header=BB6_11312 Depth=3
	s_delay_alu instid0(VALU_DEP_1)
	v_bfe_u32 v27, v36, 23, 1
; %bb.11992:                            ;   in Loop: Header=BB6_11312 Depth=3
	s_or_b32 exec_lo, exec_lo, s13
	v_lshrrev_b32_e32 v36, 21, v36
	s_delay_alu instid0(VALU_DEP_2) | instskip(SKIP_2) | instid1(VALU_DEP_2)
	v_cmp_gt_i32_e32 vcc_lo, 32, v27
	v_min_i32_e32 v37, 31, v27
	v_lshrrev_b32_e32 v26, 24, v26
	v_dual_cndmask_b32 v36, 3, v36 :: v_dual_lshlrev_b32 v37, 2, v37
	s_delay_alu instid0(VALU_DEP_2) | instskip(NEXT) | instid1(VALU_DEP_2)
	v_and_b32_e32 v26, 0x80, v26
	v_or_b32_e32 v27, v27, v36
	s_delay_alu instid0(VALU_DEP_1) | instskip(SKIP_1) | instid1(VALU_DEP_1)
	v_cmp_ne_u32_e32 vcc_lo, 0, v27
	v_and_b32_e32 v38, 3, v36
	v_or3_b32 v26, v37, v26, v38
	s_delay_alu instid0(VALU_DEP_1)
	v_cndmask_b32_e32 v179, 0, v26, vcc_lo
.LBB6_11993:                            ;   in Loop: Header=BB6_11312 Depth=3
	s_or_b32 exec_lo, exec_lo, s30
.LBB6_11994:                            ;   in Loop: Header=BB6_11312 Depth=3
	s_delay_alu instid0(SALU_CYCLE_1) | instskip(SKIP_3) | instid1(VALU_DEP_1)
	s_or_b32 exec_lo, exec_lo, s17
	v_and_b32_e32 v27, 0xff, v177
	s_mov_b32 s13, 0
	s_mov_b32 s30, exec_lo
                                        ; implicit-def: $sgpr17
	v_cmpx_lt_i16_e32 0x7f, v27
	s_xor_b32 s30, exec_lo, s30
	s_cbranch_execnz .LBB6_12491
; %bb.11995:                            ;   in Loop: Header=BB6_11312 Depth=3
	s_or_saveexec_b32 s30, s30
	v_mov_b32_e32 v26, s17
	s_xor_b32 exec_lo, exec_lo, s30
	s_cbranch_execnz .LBB6_12494
.LBB6_11996:                            ;   in Loop: Header=BB6_11312 Depth=3
	s_or_b32 exec_lo, exec_lo, s30
	s_and_saveexec_b32 s17, s13
	s_cbranch_execz .LBB6_11998
.LBB6_11997:                            ;   in Loop: Header=BB6_11312 Depth=3
	v_lshrrev_b16 v37, 2, v177
	v_lshlrev_b32_e32 v38, 24, v177
	s_delay_alu instid0(VALU_DEP_2) | instskip(NEXT) | instid1(VALU_DEP_1)
	v_and_b32_e32 v37, 31, v37
	v_cmp_eq_u32_e32 vcc_lo, 0, v37
	v_and_b32_e32 v26, 3, v177
	s_delay_alu instid0(VALU_DEP_1) | instskip(NEXT) | instid1(VALU_DEP_1)
	v_clz_i32_u32_e32 v27, v26
	v_min_u32_e32 v27, 32, v27
	s_delay_alu instid0(VALU_DEP_1) | instskip(SKIP_1) | instid1(VALU_DEP_1)
	v_subrev_nc_u32_e32 v36, 29, v27
	v_sub_nc_u32_e32 v27, 30, v27
	v_dual_cndmask_b32 v27, v37, v27 :: v_dual_lshlrev_b32 v36, v36, v177
	s_delay_alu instid0(VALU_DEP_1) | instskip(NEXT) | instid1(VALU_DEP_2)
	v_and_b32_e32 v36, 3, v36
	v_lshl_add_u32 v27, v27, 23, 0x37800000
	s_delay_alu instid0(VALU_DEP_2) | instskip(SKIP_1) | instid1(VALU_DEP_2)
	v_cndmask_b32_e32 v26, v26, v36, vcc_lo
	v_and_b32_e32 v36, 0x80000000, v38
	v_lshlrev_b32_e32 v26, 21, v26
	s_delay_alu instid0(VALU_DEP_1)
	v_or3_b32 v26, v36, v27, v26
.LBB6_11998:                            ;   in Loop: Header=BB6_11312 Depth=3
	s_or_b32 exec_lo, exec_lo, s17
	s_waitcnt vmcnt(13) lgkmcnt(13)
	v_and_b32_e32 v36, 0xff, v63
	s_mov_b32 s13, 0
	s_mov_b32 s30, exec_lo
                                        ; implicit-def: $sgpr17
	s_delay_alu instid0(VALU_DEP_1)
	v_cmpx_lt_i16_e32 0x7f, v36
	s_xor_b32 s30, exec_lo, s30
	s_cbranch_execnz .LBB6_12495
; %bb.11999:                            ;   in Loop: Header=BB6_11312 Depth=3
	s_or_saveexec_b32 s30, s30
	v_mov_b32_e32 v27, s17
	s_xor_b32 exec_lo, exec_lo, s30
	s_cbranch_execnz .LBB6_12498
.LBB6_12000:                            ;   in Loop: Header=BB6_11312 Depth=3
	s_or_b32 exec_lo, exec_lo, s30
	s_and_saveexec_b32 s17, s13
	s_cbranch_execz .LBB6_12002
.LBB6_12001:                            ;   in Loop: Header=BB6_11312 Depth=3
	v_lshrrev_b16 v38, 2, v63
	v_lshlrev_b32_e32 v39, 24, v63
	s_delay_alu instid0(VALU_DEP_2) | instskip(NEXT) | instid1(VALU_DEP_1)
	v_and_b32_e32 v38, 31, v38
	v_cmp_eq_u32_e32 vcc_lo, 0, v38
	v_and_b32_e32 v27, 3, v63
	s_delay_alu instid0(VALU_DEP_1) | instskip(NEXT) | instid1(VALU_DEP_1)
	v_clz_i32_u32_e32 v36, v27
	v_min_u32_e32 v36, 32, v36
	s_delay_alu instid0(VALU_DEP_1) | instskip(SKIP_1) | instid1(VALU_DEP_1)
	v_subrev_nc_u32_e32 v37, 29, v36
	v_sub_nc_u32_e32 v36, 30, v36
	v_dual_cndmask_b32 v36, v38, v36 :: v_dual_lshlrev_b32 v37, v37, v63
	s_delay_alu instid0(VALU_DEP_1) | instskip(NEXT) | instid1(VALU_DEP_2)
	v_and_b32_e32 v37, 3, v37
	v_lshl_add_u32 v36, v36, 23, 0x37800000
	s_delay_alu instid0(VALU_DEP_2) | instskip(SKIP_1) | instid1(VALU_DEP_2)
	v_cndmask_b32_e32 v27, v27, v37, vcc_lo
	v_and_b32_e32 v37, 0x80000000, v39
	v_lshlrev_b32_e32 v27, 21, v27
	s_delay_alu instid0(VALU_DEP_1)
	v_or3_b32 v27, v37, v36, v27
.LBB6_12002:                            ;   in Loop: Header=BB6_11312 Depth=3
	s_or_b32 exec_lo, exec_lo, s17
	s_delay_alu instid0(VALU_DEP_1) | instskip(SKIP_1) | instid1(VALU_DEP_1)
	v_dual_add_f32 v26, v26, v27 :: v_dual_mov_b32 v177, 0x80
	s_mov_b32 s17, exec_lo
	v_and_b32_e32 v27, 0x7f800000, v26
	s_delay_alu instid0(VALU_DEP_1)
	v_cmpx_ne_u32_e32 0x7f800000, v27
	s_cbranch_execz .LBB6_12010
; %bb.12003:                            ;   in Loop: Header=BB6_11312 Depth=3
	v_mov_b32_e32 v177, 0
	s_mov_b32 s30, exec_lo
	v_cmpx_ne_u32_e32 0, v26
	s_cbranch_execz .LBB6_12009
; %bb.12004:                            ;   in Loop: Header=BB6_11312 Depth=3
	v_bfe_u32 v27, v26, 23, 8
	s_delay_alu instid0(VALU_DEP_1) | instskip(SKIP_1) | instid1(VALU_DEP_2)
	v_sub_nc_u32_e32 v37, 0x70, v27
	v_cmp_gt_u32_e32 vcc_lo, 0x71, v27
	v_dual_cndmask_b32 v37, 0, v37 :: v_dual_and_b32 v36, 0x7fffff, v26
	s_delay_alu instid0(VALU_DEP_1) | instskip(SKIP_2) | instid1(VALU_DEP_4)
	v_or_b32_e32 v38, 0x800000, v36
	v_cmp_eq_u32_e32 vcc_lo, 0, v27
	v_add_nc_u32_e32 v27, 0xffffff91, v27
	v_cndmask_b32_e64 v37, v37, 0x6f, vcc_lo
	s_delay_alu instid0(VALU_DEP_4) | instskip(NEXT) | instid1(VALU_DEP_3)
	v_cndmask_b32_e32 v36, v38, v36, vcc_lo
	v_cndmask_b32_e64 v27, v27, 0xffffff92, vcc_lo
	s_delay_alu instid0(VALU_DEP_3) | instskip(NEXT) | instid1(VALU_DEP_3)
	v_lshl_add_u32 v38, 0x200000, v37, -1
	v_lshrrev_b32_e32 v39, v37, v36
	v_lshlrev_b32_e64 v49, v37, 0x100000
	s_delay_alu instid0(VALU_DEP_4) | instskip(NEXT) | instid1(VALU_DEP_4)
	v_add_nc_u32_e32 v37, v37, v27
	v_and_b32_e32 v36, v38, v36
	s_delay_alu instid0(VALU_DEP_4) | instskip(NEXT) | instid1(VALU_DEP_2)
	v_bfe_u32 v48, v39, 21, 1
	v_cmp_eq_u32_e64 s13, v36, v49
	s_delay_alu instid0(VALU_DEP_2) | instskip(NEXT) | instid1(VALU_DEP_1)
	v_add_nc_u32_e32 v38, -1, v48
	v_cndmask_b32_e64 v36, 0, v38, s13
	v_lshrrev_b32_e32 v38, 23, v39
	s_mov_b32 s13, exec_lo
	s_delay_alu instid0(VALU_DEP_2) | instskip(NEXT) | instid1(VALU_DEP_2)
	v_add_nc_u32_e32 v36, v36, v39
	v_xor_b32_e32 v38, 1, v38
	s_delay_alu instid0(VALU_DEP_2) | instskip(NEXT) | instid1(VALU_DEP_1)
	v_and_b32_e32 v27, 0x1fffff, v36
	v_add_nc_u32_e32 v36, v27, v39
                                        ; implicit-def: $vgpr27
	s_delay_alu instid0(VALU_DEP_3)
	v_cmpx_ne_u32_e64 v37, v38
	s_xor_b32 s13, exec_lo, s13
; %bb.12005:                            ;   in Loop: Header=BB6_11312 Depth=3
	s_delay_alu instid0(VALU_DEP_2) | instskip(SKIP_2) | instid1(VALU_DEP_2)
	v_cmp_lt_u32_e32 vcc_lo, 0xffffff, v36
	v_sub_nc_u32_e32 v27, v37, v38
	v_cndmask_b32_e64 v37, 0, 1, vcc_lo
	v_add_co_ci_u32_e32 v27, vcc_lo, 0, v27, vcc_lo
	s_delay_alu instid0(VALU_DEP_2)
	v_lshrrev_b32_e32 v36, v37, v36
; %bb.12006:                            ;   in Loop: Header=BB6_11312 Depth=3
	s_and_not1_saveexec_b32 s13, s13
; %bb.12007:                            ;   in Loop: Header=BB6_11312 Depth=3
	s_delay_alu instid0(VALU_DEP_1)
	v_bfe_u32 v27, v36, 23, 1
; %bb.12008:                            ;   in Loop: Header=BB6_11312 Depth=3
	s_or_b32 exec_lo, exec_lo, s13
	v_lshrrev_b32_e32 v36, 21, v36
	s_delay_alu instid0(VALU_DEP_2) | instskip(SKIP_2) | instid1(VALU_DEP_2)
	v_cmp_gt_i32_e32 vcc_lo, 32, v27
	v_min_i32_e32 v37, 31, v27
	v_lshrrev_b32_e32 v26, 24, v26
	v_dual_cndmask_b32 v36, 3, v36 :: v_dual_lshlrev_b32 v37, 2, v37
	s_delay_alu instid0(VALU_DEP_2) | instskip(NEXT) | instid1(VALU_DEP_2)
	v_and_b32_e32 v26, 0x80, v26
	v_or_b32_e32 v27, v27, v36
	s_delay_alu instid0(VALU_DEP_1) | instskip(SKIP_1) | instid1(VALU_DEP_1)
	v_cmp_ne_u32_e32 vcc_lo, 0, v27
	v_and_b32_e32 v38, 3, v36
	v_or3_b32 v26, v37, v26, v38
	s_delay_alu instid0(VALU_DEP_1)
	v_cndmask_b32_e32 v177, 0, v26, vcc_lo
.LBB6_12009:                            ;   in Loop: Header=BB6_11312 Depth=3
	s_or_b32 exec_lo, exec_lo, s30
.LBB6_12010:                            ;   in Loop: Header=BB6_11312 Depth=3
	s_delay_alu instid0(SALU_CYCLE_1) | instskip(SKIP_3) | instid1(VALU_DEP_1)
	s_or_b32 exec_lo, exec_lo, s17
	v_and_b32_e32 v27, 0xff, v167
	s_mov_b32 s13, 0
	s_mov_b32 s30, exec_lo
                                        ; implicit-def: $sgpr17
	v_cmpx_lt_i16_e32 0x7f, v27
	s_xor_b32 s30, exec_lo, s30
	s_cbranch_execnz .LBB6_12499
; %bb.12011:                            ;   in Loop: Header=BB6_11312 Depth=3
	s_or_saveexec_b32 s30, s30
	v_mov_b32_e32 v26, s17
	s_xor_b32 exec_lo, exec_lo, s30
	s_cbranch_execnz .LBB6_12502
.LBB6_12012:                            ;   in Loop: Header=BB6_11312 Depth=3
	s_or_b32 exec_lo, exec_lo, s30
	s_and_saveexec_b32 s17, s13
	s_cbranch_execz .LBB6_12014
.LBB6_12013:                            ;   in Loop: Header=BB6_11312 Depth=3
	v_and_b32_e32 v26, 3, v167
	v_lshrrev_b16 v37, 2, v167
	v_lshlrev_b32_e32 v38, 24, v167
	s_delay_alu instid0(VALU_DEP_3) | instskip(NEXT) | instid1(VALU_DEP_1)
	v_clz_i32_u32_e32 v27, v26
	v_min_u32_e32 v27, 32, v27
	s_delay_alu instid0(VALU_DEP_1) | instskip(SKIP_1) | instid1(VALU_DEP_2)
	v_subrev_nc_u32_e32 v36, 29, v27
	v_sub_nc_u32_e32 v27, 30, v27
	v_lshlrev_b32_e32 v36, v36, v167
	s_delay_alu instid0(VALU_DEP_1) | instskip(SKIP_1) | instid1(VALU_DEP_1)
	v_and_b32_e32 v36, 3, v36
	v_and_b32_e32 v37, 31, v37
	v_cmp_eq_u32_e32 vcc_lo, 0, v37
	s_delay_alu instid0(VALU_DEP_3) | instskip(SKIP_1) | instid1(VALU_DEP_2)
	v_dual_cndmask_b32 v26, v26, v36 :: v_dual_cndmask_b32 v27, v37, v27
	v_and_b32_e32 v36, 0x80000000, v38
	v_lshlrev_b32_e32 v26, 21, v26
	s_delay_alu instid0(VALU_DEP_3) | instskip(NEXT) | instid1(VALU_DEP_1)
	v_lshl_add_u32 v27, v27, 23, 0x37800000
	v_or3_b32 v26, v36, v27, v26
.LBB6_12014:                            ;   in Loop: Header=BB6_11312 Depth=3
	s_or_b32 exec_lo, exec_lo, s17
	s_waitcnt vmcnt(12) lgkmcnt(12)
	v_and_b32_e32 v36, 0xff, v133
	s_mov_b32 s13, 0
	s_mov_b32 s30, exec_lo
                                        ; implicit-def: $sgpr17
	s_delay_alu instid0(VALU_DEP_1)
	v_cmpx_lt_i16_e32 0x7f, v36
	s_xor_b32 s30, exec_lo, s30
	s_cbranch_execnz .LBB6_12503
; %bb.12015:                            ;   in Loop: Header=BB6_11312 Depth=3
	s_or_saveexec_b32 s30, s30
	v_mov_b32_e32 v27, s17
	s_xor_b32 exec_lo, exec_lo, s30
	s_cbranch_execnz .LBB6_12506
.LBB6_12016:                            ;   in Loop: Header=BB6_11312 Depth=3
	s_or_b32 exec_lo, exec_lo, s30
	s_and_saveexec_b32 s17, s13
	s_cbranch_execz .LBB6_12018
.LBB6_12017:                            ;   in Loop: Header=BB6_11312 Depth=3
	v_lshrrev_b16 v38, 2, v133
	v_lshlrev_b32_e32 v39, 24, v133
	s_delay_alu instid0(VALU_DEP_2) | instskip(NEXT) | instid1(VALU_DEP_1)
	v_and_b32_e32 v38, 31, v38
	v_cmp_eq_u32_e32 vcc_lo, 0, v38
	v_and_b32_e32 v27, 3, v133
	s_delay_alu instid0(VALU_DEP_1) | instskip(NEXT) | instid1(VALU_DEP_1)
	v_clz_i32_u32_e32 v36, v27
	v_min_u32_e32 v36, 32, v36
	s_delay_alu instid0(VALU_DEP_1) | instskip(SKIP_1) | instid1(VALU_DEP_1)
	v_subrev_nc_u32_e32 v37, 29, v36
	v_sub_nc_u32_e32 v36, 30, v36
	v_dual_cndmask_b32 v36, v38, v36 :: v_dual_lshlrev_b32 v37, v37, v133
	s_delay_alu instid0(VALU_DEP_1) | instskip(NEXT) | instid1(VALU_DEP_2)
	v_and_b32_e32 v37, 3, v37
	v_lshl_add_u32 v36, v36, 23, 0x37800000
	s_delay_alu instid0(VALU_DEP_2) | instskip(SKIP_1) | instid1(VALU_DEP_2)
	v_cndmask_b32_e32 v27, v27, v37, vcc_lo
	v_and_b32_e32 v37, 0x80000000, v39
	v_lshlrev_b32_e32 v27, 21, v27
	s_delay_alu instid0(VALU_DEP_1)
	v_or3_b32 v27, v37, v36, v27
.LBB6_12018:                            ;   in Loop: Header=BB6_11312 Depth=3
	s_or_b32 exec_lo, exec_lo, s17
	s_delay_alu instid0(VALU_DEP_1) | instskip(SKIP_1) | instid1(VALU_DEP_1)
	v_dual_add_f32 v26, v26, v27 :: v_dual_mov_b32 v129, 0x80
	s_mov_b32 s17, exec_lo
	v_and_b32_e32 v27, 0x7f800000, v26
	s_delay_alu instid0(VALU_DEP_1)
	v_cmpx_ne_u32_e32 0x7f800000, v27
	s_cbranch_execz .LBB6_12026
; %bb.12019:                            ;   in Loop: Header=BB6_11312 Depth=3
	v_mov_b32_e32 v129, 0
	s_mov_b32 s30, exec_lo
	v_cmpx_ne_u32_e32 0, v26
	s_cbranch_execz .LBB6_12025
; %bb.12020:                            ;   in Loop: Header=BB6_11312 Depth=3
	v_bfe_u32 v27, v26, 23, 8
	s_delay_alu instid0(VALU_DEP_1) | instskip(SKIP_1) | instid1(VALU_DEP_2)
	v_sub_nc_u32_e32 v37, 0x70, v27
	v_cmp_gt_u32_e32 vcc_lo, 0x71, v27
	v_dual_cndmask_b32 v37, 0, v37 :: v_dual_and_b32 v36, 0x7fffff, v26
	s_delay_alu instid0(VALU_DEP_1) | instskip(SKIP_2) | instid1(VALU_DEP_4)
	v_or_b32_e32 v38, 0x800000, v36
	v_cmp_eq_u32_e32 vcc_lo, 0, v27
	v_add_nc_u32_e32 v27, 0xffffff91, v27
	v_cndmask_b32_e64 v37, v37, 0x6f, vcc_lo
	s_delay_alu instid0(VALU_DEP_4) | instskip(NEXT) | instid1(VALU_DEP_3)
	v_cndmask_b32_e32 v36, v38, v36, vcc_lo
	v_cndmask_b32_e64 v27, v27, 0xffffff92, vcc_lo
	s_delay_alu instid0(VALU_DEP_3) | instskip(NEXT) | instid1(VALU_DEP_3)
	v_lshl_add_u32 v38, 0x200000, v37, -1
	v_lshrrev_b32_e32 v39, v37, v36
	v_lshlrev_b32_e64 v49, v37, 0x100000
	s_delay_alu instid0(VALU_DEP_4) | instskip(NEXT) | instid1(VALU_DEP_4)
	v_add_nc_u32_e32 v37, v37, v27
	v_and_b32_e32 v36, v38, v36
	s_delay_alu instid0(VALU_DEP_4) | instskip(NEXT) | instid1(VALU_DEP_2)
	v_bfe_u32 v48, v39, 21, 1
	v_cmp_eq_u32_e64 s13, v36, v49
	s_delay_alu instid0(VALU_DEP_2) | instskip(NEXT) | instid1(VALU_DEP_1)
	v_add_nc_u32_e32 v38, -1, v48
	v_cndmask_b32_e64 v36, 0, v38, s13
	v_lshrrev_b32_e32 v38, 23, v39
	s_mov_b32 s13, exec_lo
	s_delay_alu instid0(VALU_DEP_2) | instskip(NEXT) | instid1(VALU_DEP_2)
	v_add_nc_u32_e32 v36, v36, v39
	v_xor_b32_e32 v38, 1, v38
	s_delay_alu instid0(VALU_DEP_2) | instskip(NEXT) | instid1(VALU_DEP_1)
	v_and_b32_e32 v27, 0x1fffff, v36
	v_add_nc_u32_e32 v36, v27, v39
                                        ; implicit-def: $vgpr27
	s_delay_alu instid0(VALU_DEP_3)
	v_cmpx_ne_u32_e64 v37, v38
	s_xor_b32 s13, exec_lo, s13
; %bb.12021:                            ;   in Loop: Header=BB6_11312 Depth=3
	s_delay_alu instid0(VALU_DEP_2) | instskip(SKIP_2) | instid1(VALU_DEP_2)
	v_cmp_lt_u32_e32 vcc_lo, 0xffffff, v36
	v_sub_nc_u32_e32 v27, v37, v38
	v_cndmask_b32_e64 v37, 0, 1, vcc_lo
	v_add_co_ci_u32_e32 v27, vcc_lo, 0, v27, vcc_lo
	s_delay_alu instid0(VALU_DEP_2)
	v_lshrrev_b32_e32 v36, v37, v36
; %bb.12022:                            ;   in Loop: Header=BB6_11312 Depth=3
	s_and_not1_saveexec_b32 s13, s13
; %bb.12023:                            ;   in Loop: Header=BB6_11312 Depth=3
	s_delay_alu instid0(VALU_DEP_1)
	v_bfe_u32 v27, v36, 23, 1
; %bb.12024:                            ;   in Loop: Header=BB6_11312 Depth=3
	s_or_b32 exec_lo, exec_lo, s13
	v_lshrrev_b32_e32 v36, 21, v36
	s_delay_alu instid0(VALU_DEP_2) | instskip(SKIP_2) | instid1(VALU_DEP_2)
	v_cmp_gt_i32_e32 vcc_lo, 32, v27
	v_min_i32_e32 v37, 31, v27
	v_lshrrev_b32_e32 v26, 24, v26
	v_dual_cndmask_b32 v36, 3, v36 :: v_dual_lshlrev_b32 v37, 2, v37
	s_delay_alu instid0(VALU_DEP_2) | instskip(NEXT) | instid1(VALU_DEP_2)
	v_and_b32_e32 v26, 0x80, v26
	v_or_b32_e32 v27, v27, v36
	s_delay_alu instid0(VALU_DEP_1) | instskip(SKIP_1) | instid1(VALU_DEP_1)
	v_cmp_ne_u32_e32 vcc_lo, 0, v27
	v_and_b32_e32 v38, 3, v36
	v_or3_b32 v26, v37, v26, v38
	s_delay_alu instid0(VALU_DEP_1)
	v_cndmask_b32_e32 v129, 0, v26, vcc_lo
.LBB6_12025:                            ;   in Loop: Header=BB6_11312 Depth=3
	s_or_b32 exec_lo, exec_lo, s30
.LBB6_12026:                            ;   in Loop: Header=BB6_11312 Depth=3
	s_delay_alu instid0(SALU_CYCLE_1) | instskip(SKIP_3) | instid1(VALU_DEP_1)
	s_or_b32 exec_lo, exec_lo, s17
	v_and_b32_e32 v27, 0xff, v166
	s_mov_b32 s13, 0
	s_mov_b32 s30, exec_lo
                                        ; implicit-def: $sgpr17
	v_cmpx_lt_i16_e32 0x7f, v27
	s_xor_b32 s30, exec_lo, s30
	s_cbranch_execnz .LBB6_12507
; %bb.12027:                            ;   in Loop: Header=BB6_11312 Depth=3
	s_or_saveexec_b32 s30, s30
	v_mov_b32_e32 v26, s17
	s_xor_b32 exec_lo, exec_lo, s30
	s_cbranch_execnz .LBB6_12510
.LBB6_12028:                            ;   in Loop: Header=BB6_11312 Depth=3
	s_or_b32 exec_lo, exec_lo, s30
	s_and_saveexec_b32 s17, s13
	s_cbranch_execz .LBB6_12030
.LBB6_12029:                            ;   in Loop: Header=BB6_11312 Depth=3
	v_lshrrev_b16 v37, 2, v166
	v_lshlrev_b32_e32 v38, 24, v166
	s_delay_alu instid0(VALU_DEP_2) | instskip(NEXT) | instid1(VALU_DEP_1)
	v_and_b32_e32 v37, 31, v37
	v_cmp_eq_u32_e32 vcc_lo, 0, v37
	v_and_b32_e32 v26, 3, v166
	s_delay_alu instid0(VALU_DEP_1) | instskip(NEXT) | instid1(VALU_DEP_1)
	v_clz_i32_u32_e32 v27, v26
	v_min_u32_e32 v27, 32, v27
	s_delay_alu instid0(VALU_DEP_1) | instskip(SKIP_1) | instid1(VALU_DEP_1)
	v_subrev_nc_u32_e32 v36, 29, v27
	v_sub_nc_u32_e32 v27, 30, v27
	v_dual_cndmask_b32 v27, v37, v27 :: v_dual_lshlrev_b32 v36, v36, v166
	s_delay_alu instid0(VALU_DEP_1) | instskip(NEXT) | instid1(VALU_DEP_2)
	v_and_b32_e32 v36, 3, v36
	v_lshl_add_u32 v27, v27, 23, 0x37800000
	s_delay_alu instid0(VALU_DEP_2) | instskip(SKIP_1) | instid1(VALU_DEP_2)
	v_cndmask_b32_e32 v26, v26, v36, vcc_lo
	v_and_b32_e32 v36, 0x80000000, v38
	v_lshlrev_b32_e32 v26, 21, v26
	s_delay_alu instid0(VALU_DEP_1)
	v_or3_b32 v26, v36, v27, v26
.LBB6_12030:                            ;   in Loop: Header=BB6_11312 Depth=3
	s_or_b32 exec_lo, exec_lo, s17
	s_waitcnt vmcnt(11) lgkmcnt(11)
	v_and_b32_e32 v36, 0xff, v62
	s_mov_b32 s13, 0
	s_mov_b32 s30, exec_lo
                                        ; implicit-def: $sgpr17
	s_delay_alu instid0(VALU_DEP_1)
	v_cmpx_lt_i16_e32 0x7f, v36
	s_xor_b32 s30, exec_lo, s30
	s_cbranch_execnz .LBB6_12511
; %bb.12031:                            ;   in Loop: Header=BB6_11312 Depth=3
	s_or_saveexec_b32 s30, s30
	v_mov_b32_e32 v27, s17
	s_xor_b32 exec_lo, exec_lo, s30
	s_cbranch_execnz .LBB6_12514
.LBB6_12032:                            ;   in Loop: Header=BB6_11312 Depth=3
	s_or_b32 exec_lo, exec_lo, s30
	s_and_saveexec_b32 s17, s13
	s_cbranch_execz .LBB6_12034
.LBB6_12033:                            ;   in Loop: Header=BB6_11312 Depth=3
	v_lshrrev_b16 v38, 2, v62
	v_lshlrev_b32_e32 v39, 24, v62
	s_delay_alu instid0(VALU_DEP_2) | instskip(NEXT) | instid1(VALU_DEP_1)
	v_and_b32_e32 v38, 31, v38
	v_cmp_eq_u32_e32 vcc_lo, 0, v38
	v_and_b32_e32 v27, 3, v62
	s_delay_alu instid0(VALU_DEP_1) | instskip(NEXT) | instid1(VALU_DEP_1)
	v_clz_i32_u32_e32 v36, v27
	v_min_u32_e32 v36, 32, v36
	s_delay_alu instid0(VALU_DEP_1) | instskip(SKIP_1) | instid1(VALU_DEP_1)
	v_subrev_nc_u32_e32 v37, 29, v36
	v_sub_nc_u32_e32 v36, 30, v36
	v_dual_cndmask_b32 v36, v38, v36 :: v_dual_lshlrev_b32 v37, v37, v62
	s_delay_alu instid0(VALU_DEP_1) | instskip(NEXT) | instid1(VALU_DEP_2)
	v_and_b32_e32 v37, 3, v37
	v_lshl_add_u32 v36, v36, 23, 0x37800000
	s_delay_alu instid0(VALU_DEP_2) | instskip(SKIP_1) | instid1(VALU_DEP_2)
	v_cndmask_b32_e32 v27, v27, v37, vcc_lo
	v_and_b32_e32 v37, 0x80000000, v39
	v_lshlrev_b32_e32 v27, 21, v27
	s_delay_alu instid0(VALU_DEP_1)
	v_or3_b32 v27, v37, v36, v27
.LBB6_12034:                            ;   in Loop: Header=BB6_11312 Depth=3
	s_or_b32 exec_lo, exec_lo, s17
	s_delay_alu instid0(VALU_DEP_1) | instskip(SKIP_2) | instid1(VALU_DEP_2)
	v_add_f32_e32 v26, v26, v27
	v_mov_b32_e32 v132, 0x80
	s_mov_b32 s17, exec_lo
	v_and_b32_e32 v27, 0x7f800000, v26
	s_delay_alu instid0(VALU_DEP_1)
	v_cmpx_ne_u32_e32 0x7f800000, v27
	s_cbranch_execz .LBB6_12042
; %bb.12035:                            ;   in Loop: Header=BB6_11312 Depth=3
	v_mov_b32_e32 v132, 0
	s_mov_b32 s30, exec_lo
	v_cmpx_ne_u32_e32 0, v26
	s_cbranch_execz .LBB6_12041
; %bb.12036:                            ;   in Loop: Header=BB6_11312 Depth=3
	v_bfe_u32 v27, v26, 23, 8
	s_delay_alu instid0(VALU_DEP_1) | instskip(SKIP_1) | instid1(VALU_DEP_2)
	v_sub_nc_u32_e32 v37, 0x70, v27
	v_cmp_gt_u32_e32 vcc_lo, 0x71, v27
	v_dual_cndmask_b32 v37, 0, v37 :: v_dual_and_b32 v36, 0x7fffff, v26
	s_delay_alu instid0(VALU_DEP_1) | instskip(SKIP_2) | instid1(VALU_DEP_4)
	v_or_b32_e32 v38, 0x800000, v36
	v_cmp_eq_u32_e32 vcc_lo, 0, v27
	v_add_nc_u32_e32 v27, 0xffffff91, v27
	v_cndmask_b32_e64 v37, v37, 0x6f, vcc_lo
	s_delay_alu instid0(VALU_DEP_4) | instskip(NEXT) | instid1(VALU_DEP_3)
	v_cndmask_b32_e32 v36, v38, v36, vcc_lo
	v_cndmask_b32_e64 v27, v27, 0xffffff92, vcc_lo
	s_delay_alu instid0(VALU_DEP_3) | instskip(NEXT) | instid1(VALU_DEP_3)
	v_lshl_add_u32 v38, 0x200000, v37, -1
	v_lshrrev_b32_e32 v39, v37, v36
	v_lshlrev_b32_e64 v49, v37, 0x100000
	s_delay_alu instid0(VALU_DEP_4) | instskip(NEXT) | instid1(VALU_DEP_4)
	v_add_nc_u32_e32 v37, v37, v27
	v_and_b32_e32 v36, v38, v36
	s_delay_alu instid0(VALU_DEP_4) | instskip(NEXT) | instid1(VALU_DEP_2)
	v_bfe_u32 v48, v39, 21, 1
	v_cmp_eq_u32_e64 s13, v36, v49
	s_delay_alu instid0(VALU_DEP_2) | instskip(NEXT) | instid1(VALU_DEP_1)
	v_add_nc_u32_e32 v38, -1, v48
	v_cndmask_b32_e64 v36, 0, v38, s13
	v_lshrrev_b32_e32 v38, 23, v39
	s_mov_b32 s13, exec_lo
	s_delay_alu instid0(VALU_DEP_2) | instskip(NEXT) | instid1(VALU_DEP_2)
	v_add_nc_u32_e32 v36, v36, v39
	v_xor_b32_e32 v38, 1, v38
	s_delay_alu instid0(VALU_DEP_2) | instskip(NEXT) | instid1(VALU_DEP_1)
	v_and_b32_e32 v27, 0x1fffff, v36
	v_add_nc_u32_e32 v36, v27, v39
                                        ; implicit-def: $vgpr27
	s_delay_alu instid0(VALU_DEP_3)
	v_cmpx_ne_u32_e64 v37, v38
	s_xor_b32 s13, exec_lo, s13
; %bb.12037:                            ;   in Loop: Header=BB6_11312 Depth=3
	s_delay_alu instid0(VALU_DEP_2) | instskip(SKIP_2) | instid1(VALU_DEP_2)
	v_cmp_lt_u32_e32 vcc_lo, 0xffffff, v36
	v_sub_nc_u32_e32 v27, v37, v38
	v_cndmask_b32_e64 v37, 0, 1, vcc_lo
	v_add_co_ci_u32_e32 v27, vcc_lo, 0, v27, vcc_lo
	s_delay_alu instid0(VALU_DEP_2)
	v_lshrrev_b32_e32 v36, v37, v36
; %bb.12038:                            ;   in Loop: Header=BB6_11312 Depth=3
	s_and_not1_saveexec_b32 s13, s13
; %bb.12039:                            ;   in Loop: Header=BB6_11312 Depth=3
	s_delay_alu instid0(VALU_DEP_1)
	v_bfe_u32 v27, v36, 23, 1
; %bb.12040:                            ;   in Loop: Header=BB6_11312 Depth=3
	s_or_b32 exec_lo, exec_lo, s13
	v_lshrrev_b32_e32 v36, 21, v36
	s_delay_alu instid0(VALU_DEP_2) | instskip(SKIP_2) | instid1(VALU_DEP_4)
	v_cmp_gt_i32_e32 vcc_lo, 32, v27
	v_lshrrev_b32_e32 v26, 24, v26
	v_min_i32_e32 v37, 31, v27
	v_cndmask_b32_e32 v36, 3, v36, vcc_lo
	s_delay_alu instid0(VALU_DEP_3) | instskip(NEXT) | instid1(VALU_DEP_3)
	v_and_b32_e32 v26, 0x80, v26
	v_lshlrev_b32_e32 v37, 2, v37
	s_delay_alu instid0(VALU_DEP_3) | instskip(SKIP_1) | instid1(VALU_DEP_2)
	v_and_b32_e32 v38, 3, v36
	v_or_b32_e32 v27, v27, v36
	v_or3_b32 v26, v37, v26, v38
	s_delay_alu instid0(VALU_DEP_2) | instskip(NEXT) | instid1(VALU_DEP_2)
	v_cmp_ne_u32_e32 vcc_lo, 0, v27
	v_cndmask_b32_e32 v132, 0, v26, vcc_lo
.LBB6_12041:                            ;   in Loop: Header=BB6_11312 Depth=3
	s_or_b32 exec_lo, exec_lo, s30
.LBB6_12042:                            ;   in Loop: Header=BB6_11312 Depth=3
	s_delay_alu instid0(SALU_CYCLE_1) | instskip(SKIP_3) | instid1(VALU_DEP_1)
	s_or_b32 exec_lo, exec_lo, s17
	v_and_b32_e32 v27, 0xff, v164
	s_mov_b32 s13, 0
	s_mov_b32 s30, exec_lo
                                        ; implicit-def: $sgpr17
	v_cmpx_lt_i16_e32 0x7f, v27
	s_xor_b32 s30, exec_lo, s30
	s_cbranch_execnz .LBB6_12515
; %bb.12043:                            ;   in Loop: Header=BB6_11312 Depth=3
	s_or_saveexec_b32 s30, s30
	v_mov_b32_e32 v26, s17
	s_xor_b32 exec_lo, exec_lo, s30
	s_cbranch_execnz .LBB6_12518
.LBB6_12044:                            ;   in Loop: Header=BB6_11312 Depth=3
	s_or_b32 exec_lo, exec_lo, s30
	s_and_saveexec_b32 s17, s13
	s_cbranch_execz .LBB6_12046
.LBB6_12045:                            ;   in Loop: Header=BB6_11312 Depth=3
	v_lshrrev_b16 v37, 2, v164
	v_lshlrev_b32_e32 v38, 24, v164
	s_delay_alu instid0(VALU_DEP_2) | instskip(NEXT) | instid1(VALU_DEP_1)
	v_and_b32_e32 v37, 31, v37
	v_cmp_eq_u32_e32 vcc_lo, 0, v37
	v_and_b32_e32 v26, 3, v164
	s_delay_alu instid0(VALU_DEP_1) | instskip(NEXT) | instid1(VALU_DEP_1)
	v_clz_i32_u32_e32 v27, v26
	v_min_u32_e32 v27, 32, v27
	s_delay_alu instid0(VALU_DEP_1) | instskip(SKIP_1) | instid1(VALU_DEP_1)
	v_subrev_nc_u32_e32 v36, 29, v27
	v_sub_nc_u32_e32 v27, 30, v27
	v_dual_cndmask_b32 v27, v37, v27 :: v_dual_lshlrev_b32 v36, v36, v164
	s_delay_alu instid0(VALU_DEP_1) | instskip(NEXT) | instid1(VALU_DEP_2)
	v_and_b32_e32 v36, 3, v36
	v_lshl_add_u32 v27, v27, 23, 0x37800000
	s_delay_alu instid0(VALU_DEP_2) | instskip(SKIP_1) | instid1(VALU_DEP_2)
	v_cndmask_b32_e32 v26, v26, v36, vcc_lo
	v_and_b32_e32 v36, 0x80000000, v38
	v_lshlrev_b32_e32 v26, 21, v26
	s_delay_alu instid0(VALU_DEP_1)
	v_or3_b32 v26, v36, v27, v26
.LBB6_12046:                            ;   in Loop: Header=BB6_11312 Depth=3
	s_or_b32 exec_lo, exec_lo, s17
	s_waitcnt vmcnt(10) lgkmcnt(10)
	v_and_b32_e32 v36, 0xff, v61
	s_mov_b32 s13, 0
	s_mov_b32 s30, exec_lo
                                        ; implicit-def: $sgpr17
	s_delay_alu instid0(VALU_DEP_1)
	v_cmpx_lt_i16_e32 0x7f, v36
	s_xor_b32 s30, exec_lo, s30
	s_cbranch_execnz .LBB6_12519
; %bb.12047:                            ;   in Loop: Header=BB6_11312 Depth=3
	s_or_saveexec_b32 s30, s30
	v_mov_b32_e32 v27, s17
	s_xor_b32 exec_lo, exec_lo, s30
	s_cbranch_execnz .LBB6_12522
.LBB6_12048:                            ;   in Loop: Header=BB6_11312 Depth=3
	s_or_b32 exec_lo, exec_lo, s30
	s_and_saveexec_b32 s17, s13
	s_cbranch_execz .LBB6_12050
.LBB6_12049:                            ;   in Loop: Header=BB6_11312 Depth=3
	v_lshrrev_b16 v38, 2, v61
	v_lshlrev_b32_e32 v39, 24, v61
	s_delay_alu instid0(VALU_DEP_2) | instskip(NEXT) | instid1(VALU_DEP_1)
	v_and_b32_e32 v38, 31, v38
	v_cmp_eq_u32_e32 vcc_lo, 0, v38
	v_and_b32_e32 v27, 3, v61
	s_delay_alu instid0(VALU_DEP_1) | instskip(NEXT) | instid1(VALU_DEP_1)
	v_clz_i32_u32_e32 v36, v27
	v_min_u32_e32 v36, 32, v36
	s_delay_alu instid0(VALU_DEP_1) | instskip(SKIP_1) | instid1(VALU_DEP_1)
	v_subrev_nc_u32_e32 v37, 29, v36
	v_sub_nc_u32_e32 v36, 30, v36
	v_dual_cndmask_b32 v36, v38, v36 :: v_dual_lshlrev_b32 v37, v37, v61
	s_delay_alu instid0(VALU_DEP_1) | instskip(NEXT) | instid1(VALU_DEP_2)
	v_and_b32_e32 v37, 3, v37
	v_lshl_add_u32 v36, v36, 23, 0x37800000
	s_delay_alu instid0(VALU_DEP_2) | instskip(SKIP_1) | instid1(VALU_DEP_2)
	v_cndmask_b32_e32 v27, v27, v37, vcc_lo
	v_and_b32_e32 v37, 0x80000000, v39
	v_lshlrev_b32_e32 v27, 21, v27
	s_delay_alu instid0(VALU_DEP_1)
	v_or3_b32 v27, v37, v36, v27
.LBB6_12050:                            ;   in Loop: Header=BB6_11312 Depth=3
	s_or_b32 exec_lo, exec_lo, s17
	s_delay_alu instid0(VALU_DEP_1) | instskip(SKIP_1) | instid1(VALU_DEP_1)
	v_dual_add_f32 v26, v26, v27 :: v_dual_mov_b32 v115, 0x80
	s_mov_b32 s17, exec_lo
	v_and_b32_e32 v27, 0x7f800000, v26
	s_delay_alu instid0(VALU_DEP_1)
	v_cmpx_ne_u32_e32 0x7f800000, v27
	s_cbranch_execz .LBB6_12058
; %bb.12051:                            ;   in Loop: Header=BB6_11312 Depth=3
	v_mov_b32_e32 v115, 0
	s_mov_b32 s30, exec_lo
	v_cmpx_ne_u32_e32 0, v26
	s_cbranch_execz .LBB6_12057
; %bb.12052:                            ;   in Loop: Header=BB6_11312 Depth=3
	v_bfe_u32 v27, v26, 23, 8
	s_delay_alu instid0(VALU_DEP_1) | instskip(SKIP_1) | instid1(VALU_DEP_2)
	v_sub_nc_u32_e32 v37, 0x70, v27
	v_cmp_gt_u32_e32 vcc_lo, 0x71, v27
	v_dual_cndmask_b32 v37, 0, v37 :: v_dual_and_b32 v36, 0x7fffff, v26
	s_delay_alu instid0(VALU_DEP_1) | instskip(SKIP_2) | instid1(VALU_DEP_4)
	v_or_b32_e32 v38, 0x800000, v36
	v_cmp_eq_u32_e32 vcc_lo, 0, v27
	v_add_nc_u32_e32 v27, 0xffffff91, v27
	v_cndmask_b32_e64 v37, v37, 0x6f, vcc_lo
	s_delay_alu instid0(VALU_DEP_4) | instskip(NEXT) | instid1(VALU_DEP_3)
	v_cndmask_b32_e32 v36, v38, v36, vcc_lo
	v_cndmask_b32_e64 v27, v27, 0xffffff92, vcc_lo
	s_delay_alu instid0(VALU_DEP_3) | instskip(NEXT) | instid1(VALU_DEP_3)
	v_lshl_add_u32 v38, 0x200000, v37, -1
	v_lshrrev_b32_e32 v39, v37, v36
	v_lshlrev_b32_e64 v49, v37, 0x100000
	s_delay_alu instid0(VALU_DEP_4) | instskip(NEXT) | instid1(VALU_DEP_4)
	v_add_nc_u32_e32 v37, v37, v27
	v_and_b32_e32 v36, v38, v36
	s_delay_alu instid0(VALU_DEP_4) | instskip(NEXT) | instid1(VALU_DEP_2)
	v_bfe_u32 v48, v39, 21, 1
	v_cmp_eq_u32_e64 s13, v36, v49
	s_delay_alu instid0(VALU_DEP_2) | instskip(NEXT) | instid1(VALU_DEP_1)
	v_add_nc_u32_e32 v38, -1, v48
	v_cndmask_b32_e64 v36, 0, v38, s13
	v_lshrrev_b32_e32 v38, 23, v39
	s_mov_b32 s13, exec_lo
	s_delay_alu instid0(VALU_DEP_2) | instskip(NEXT) | instid1(VALU_DEP_2)
	v_add_nc_u32_e32 v36, v36, v39
	v_xor_b32_e32 v38, 1, v38
	s_delay_alu instid0(VALU_DEP_2) | instskip(NEXT) | instid1(VALU_DEP_1)
	v_and_b32_e32 v27, 0x1fffff, v36
	v_add_nc_u32_e32 v36, v27, v39
                                        ; implicit-def: $vgpr27
	s_delay_alu instid0(VALU_DEP_3)
	v_cmpx_ne_u32_e64 v37, v38
	s_xor_b32 s13, exec_lo, s13
; %bb.12053:                            ;   in Loop: Header=BB6_11312 Depth=3
	s_delay_alu instid0(VALU_DEP_2) | instskip(SKIP_2) | instid1(VALU_DEP_2)
	v_cmp_lt_u32_e32 vcc_lo, 0xffffff, v36
	v_sub_nc_u32_e32 v27, v37, v38
	v_cndmask_b32_e64 v37, 0, 1, vcc_lo
	v_add_co_ci_u32_e32 v27, vcc_lo, 0, v27, vcc_lo
	s_delay_alu instid0(VALU_DEP_2)
	v_lshrrev_b32_e32 v36, v37, v36
; %bb.12054:                            ;   in Loop: Header=BB6_11312 Depth=3
	s_and_not1_saveexec_b32 s13, s13
; %bb.12055:                            ;   in Loop: Header=BB6_11312 Depth=3
	s_delay_alu instid0(VALU_DEP_1)
	v_bfe_u32 v27, v36, 23, 1
; %bb.12056:                            ;   in Loop: Header=BB6_11312 Depth=3
	s_or_b32 exec_lo, exec_lo, s13
	v_lshrrev_b32_e32 v36, 21, v36
	s_delay_alu instid0(VALU_DEP_2) | instskip(SKIP_2) | instid1(VALU_DEP_2)
	v_cmp_gt_i32_e32 vcc_lo, 32, v27
	v_min_i32_e32 v37, 31, v27
	v_lshrrev_b32_e32 v26, 24, v26
	v_dual_cndmask_b32 v36, 3, v36 :: v_dual_lshlrev_b32 v37, 2, v37
	s_delay_alu instid0(VALU_DEP_2) | instskip(NEXT) | instid1(VALU_DEP_2)
	v_and_b32_e32 v26, 0x80, v26
	v_or_b32_e32 v27, v27, v36
	s_delay_alu instid0(VALU_DEP_1) | instskip(SKIP_1) | instid1(VALU_DEP_1)
	v_cmp_ne_u32_e32 vcc_lo, 0, v27
	v_and_b32_e32 v38, 3, v36
	v_or3_b32 v26, v37, v26, v38
	s_delay_alu instid0(VALU_DEP_1)
	v_cndmask_b32_e32 v115, 0, v26, vcc_lo
.LBB6_12057:                            ;   in Loop: Header=BB6_11312 Depth=3
	s_or_b32 exec_lo, exec_lo, s30
.LBB6_12058:                            ;   in Loop: Header=BB6_11312 Depth=3
	s_delay_alu instid0(SALU_CYCLE_1) | instskip(SKIP_3) | instid1(VALU_DEP_1)
	s_or_b32 exec_lo, exec_lo, s17
	v_and_b32_e32 v27, 0xff, v163
	s_mov_b32 s13, 0
	s_mov_b32 s30, exec_lo
                                        ; implicit-def: $sgpr17
	v_cmpx_lt_i16_e32 0x7f, v27
	s_xor_b32 s30, exec_lo, s30
	s_cbranch_execnz .LBB6_12523
; %bb.12059:                            ;   in Loop: Header=BB6_11312 Depth=3
	s_or_saveexec_b32 s30, s30
	v_mov_b32_e32 v26, s17
	s_xor_b32 exec_lo, exec_lo, s30
	s_cbranch_execnz .LBB6_12526
.LBB6_12060:                            ;   in Loop: Header=BB6_11312 Depth=3
	s_or_b32 exec_lo, exec_lo, s30
	s_and_saveexec_b32 s17, s13
	s_cbranch_execz .LBB6_12062
.LBB6_12061:                            ;   in Loop: Header=BB6_11312 Depth=3
	v_and_b32_e32 v26, 3, v163
	v_lshrrev_b16 v37, 2, v163
	v_lshlrev_b32_e32 v38, 24, v163
	s_delay_alu instid0(VALU_DEP_3) | instskip(NEXT) | instid1(VALU_DEP_1)
	v_clz_i32_u32_e32 v27, v26
	v_min_u32_e32 v27, 32, v27
	s_delay_alu instid0(VALU_DEP_1) | instskip(SKIP_1) | instid1(VALU_DEP_2)
	v_subrev_nc_u32_e32 v36, 29, v27
	v_sub_nc_u32_e32 v27, 30, v27
	v_lshlrev_b32_e32 v36, v36, v163
	s_delay_alu instid0(VALU_DEP_1) | instskip(SKIP_1) | instid1(VALU_DEP_1)
	v_and_b32_e32 v36, 3, v36
	v_and_b32_e32 v37, 31, v37
	v_cmp_eq_u32_e32 vcc_lo, 0, v37
	s_delay_alu instid0(VALU_DEP_3) | instskip(SKIP_1) | instid1(VALU_DEP_2)
	v_dual_cndmask_b32 v26, v26, v36 :: v_dual_cndmask_b32 v27, v37, v27
	v_and_b32_e32 v36, 0x80000000, v38
	v_lshlrev_b32_e32 v26, 21, v26
	s_delay_alu instid0(VALU_DEP_3) | instskip(NEXT) | instid1(VALU_DEP_1)
	v_lshl_add_u32 v27, v27, 23, 0x37800000
	v_or3_b32 v26, v36, v27, v26
.LBB6_12062:                            ;   in Loop: Header=BB6_11312 Depth=3
	s_or_b32 exec_lo, exec_lo, s17
	s_waitcnt vmcnt(9) lgkmcnt(9)
	v_and_b32_e32 v36, 0xff, v60
	s_mov_b32 s13, 0
	s_mov_b32 s30, exec_lo
                                        ; implicit-def: $sgpr17
	s_delay_alu instid0(VALU_DEP_1)
	v_cmpx_lt_i16_e32 0x7f, v36
	s_xor_b32 s30, exec_lo, s30
	s_cbranch_execnz .LBB6_12527
; %bb.12063:                            ;   in Loop: Header=BB6_11312 Depth=3
	s_or_saveexec_b32 s30, s30
	v_mov_b32_e32 v27, s17
	s_xor_b32 exec_lo, exec_lo, s30
	s_cbranch_execnz .LBB6_12530
.LBB6_12064:                            ;   in Loop: Header=BB6_11312 Depth=3
	s_or_b32 exec_lo, exec_lo, s30
	s_and_saveexec_b32 s17, s13
	s_cbranch_execz .LBB6_12066
.LBB6_12065:                            ;   in Loop: Header=BB6_11312 Depth=3
	v_and_b32_e32 v27, 3, v60
	v_lshrrev_b16 v38, 2, v60
	v_lshlrev_b32_e32 v39, 24, v60
	s_delay_alu instid0(VALU_DEP_3) | instskip(NEXT) | instid1(VALU_DEP_1)
	v_clz_i32_u32_e32 v36, v27
	v_min_u32_e32 v36, 32, v36
	s_delay_alu instid0(VALU_DEP_1) | instskip(SKIP_1) | instid1(VALU_DEP_2)
	v_subrev_nc_u32_e32 v37, 29, v36
	v_sub_nc_u32_e32 v36, 30, v36
	v_lshlrev_b32_e32 v37, v37, v60
	s_delay_alu instid0(VALU_DEP_1) | instskip(SKIP_1) | instid1(VALU_DEP_1)
	v_and_b32_e32 v37, 3, v37
	v_and_b32_e32 v38, 31, v38
	v_cmp_eq_u32_e32 vcc_lo, 0, v38
	s_delay_alu instid0(VALU_DEP_3) | instskip(SKIP_1) | instid1(VALU_DEP_2)
	v_dual_cndmask_b32 v27, v27, v37 :: v_dual_cndmask_b32 v36, v38, v36
	v_and_b32_e32 v37, 0x80000000, v39
	v_lshlrev_b32_e32 v27, 21, v27
	s_delay_alu instid0(VALU_DEP_3) | instskip(NEXT) | instid1(VALU_DEP_1)
	v_lshl_add_u32 v36, v36, 23, 0x37800000
	v_or3_b32 v27, v37, v36, v27
.LBB6_12066:                            ;   in Loop: Header=BB6_11312 Depth=3
	s_or_b32 exec_lo, exec_lo, s17
	s_delay_alu instid0(VALU_DEP_1) | instskip(SKIP_1) | instid1(VALU_DEP_1)
	v_dual_add_f32 v26, v26, v27 :: v_dual_mov_b32 v133, 0x80
	s_mov_b32 s17, exec_lo
	v_and_b32_e32 v27, 0x7f800000, v26
	s_delay_alu instid0(VALU_DEP_1)
	v_cmpx_ne_u32_e32 0x7f800000, v27
	s_cbranch_execz .LBB6_12074
; %bb.12067:                            ;   in Loop: Header=BB6_11312 Depth=3
	v_mov_b32_e32 v133, 0
	s_mov_b32 s30, exec_lo
	v_cmpx_ne_u32_e32 0, v26
	s_cbranch_execz .LBB6_12073
; %bb.12068:                            ;   in Loop: Header=BB6_11312 Depth=3
	v_bfe_u32 v27, v26, 23, 8
	s_delay_alu instid0(VALU_DEP_1) | instskip(SKIP_1) | instid1(VALU_DEP_2)
	v_sub_nc_u32_e32 v37, 0x70, v27
	v_cmp_gt_u32_e32 vcc_lo, 0x71, v27
	v_dual_cndmask_b32 v37, 0, v37 :: v_dual_and_b32 v36, 0x7fffff, v26
	s_delay_alu instid0(VALU_DEP_1) | instskip(SKIP_2) | instid1(VALU_DEP_4)
	v_or_b32_e32 v38, 0x800000, v36
	v_cmp_eq_u32_e32 vcc_lo, 0, v27
	v_add_nc_u32_e32 v27, 0xffffff91, v27
	v_cndmask_b32_e64 v37, v37, 0x6f, vcc_lo
	s_delay_alu instid0(VALU_DEP_4) | instskip(NEXT) | instid1(VALU_DEP_3)
	v_cndmask_b32_e32 v36, v38, v36, vcc_lo
	v_cndmask_b32_e64 v27, v27, 0xffffff92, vcc_lo
	s_delay_alu instid0(VALU_DEP_3) | instskip(NEXT) | instid1(VALU_DEP_3)
	v_lshl_add_u32 v38, 0x200000, v37, -1
	v_lshrrev_b32_e32 v39, v37, v36
	v_lshlrev_b32_e64 v49, v37, 0x100000
	s_delay_alu instid0(VALU_DEP_4) | instskip(NEXT) | instid1(VALU_DEP_4)
	v_add_nc_u32_e32 v37, v37, v27
	v_and_b32_e32 v36, v38, v36
	s_delay_alu instid0(VALU_DEP_4) | instskip(NEXT) | instid1(VALU_DEP_2)
	v_bfe_u32 v48, v39, 21, 1
	v_cmp_eq_u32_e64 s13, v36, v49
	s_delay_alu instid0(VALU_DEP_2) | instskip(NEXT) | instid1(VALU_DEP_1)
	v_add_nc_u32_e32 v38, -1, v48
	v_cndmask_b32_e64 v36, 0, v38, s13
	v_lshrrev_b32_e32 v38, 23, v39
	s_mov_b32 s13, exec_lo
	s_delay_alu instid0(VALU_DEP_2) | instskip(NEXT) | instid1(VALU_DEP_2)
	v_add_nc_u32_e32 v36, v36, v39
	v_xor_b32_e32 v38, 1, v38
	s_delay_alu instid0(VALU_DEP_2) | instskip(NEXT) | instid1(VALU_DEP_1)
	v_and_b32_e32 v27, 0x1fffff, v36
	v_add_nc_u32_e32 v36, v27, v39
                                        ; implicit-def: $vgpr27
	s_delay_alu instid0(VALU_DEP_3)
	v_cmpx_ne_u32_e64 v37, v38
	s_xor_b32 s13, exec_lo, s13
; %bb.12069:                            ;   in Loop: Header=BB6_11312 Depth=3
	s_delay_alu instid0(VALU_DEP_2) | instskip(SKIP_2) | instid1(VALU_DEP_2)
	v_cmp_lt_u32_e32 vcc_lo, 0xffffff, v36
	v_sub_nc_u32_e32 v27, v37, v38
	v_cndmask_b32_e64 v37, 0, 1, vcc_lo
	v_add_co_ci_u32_e32 v27, vcc_lo, 0, v27, vcc_lo
	s_delay_alu instid0(VALU_DEP_2)
	v_lshrrev_b32_e32 v36, v37, v36
; %bb.12070:                            ;   in Loop: Header=BB6_11312 Depth=3
	s_and_not1_saveexec_b32 s13, s13
; %bb.12071:                            ;   in Loop: Header=BB6_11312 Depth=3
	s_delay_alu instid0(VALU_DEP_1)
	v_bfe_u32 v27, v36, 23, 1
; %bb.12072:                            ;   in Loop: Header=BB6_11312 Depth=3
	s_or_b32 exec_lo, exec_lo, s13
	v_lshrrev_b32_e32 v36, 21, v36
	s_delay_alu instid0(VALU_DEP_2) | instskip(SKIP_2) | instid1(VALU_DEP_2)
	v_cmp_gt_i32_e32 vcc_lo, 32, v27
	v_min_i32_e32 v37, 31, v27
	v_lshrrev_b32_e32 v26, 24, v26
	v_dual_cndmask_b32 v36, 3, v36 :: v_dual_lshlrev_b32 v37, 2, v37
	s_delay_alu instid0(VALU_DEP_2) | instskip(NEXT) | instid1(VALU_DEP_2)
	v_and_b32_e32 v26, 0x80, v26
	v_or_b32_e32 v27, v27, v36
	s_delay_alu instid0(VALU_DEP_1) | instskip(SKIP_1) | instid1(VALU_DEP_1)
	v_cmp_ne_u32_e32 vcc_lo, 0, v27
	v_and_b32_e32 v38, 3, v36
	v_or3_b32 v26, v37, v26, v38
	s_delay_alu instid0(VALU_DEP_1)
	v_cndmask_b32_e32 v133, 0, v26, vcc_lo
.LBB6_12073:                            ;   in Loop: Header=BB6_11312 Depth=3
	s_or_b32 exec_lo, exec_lo, s30
.LBB6_12074:                            ;   in Loop: Header=BB6_11312 Depth=3
	s_delay_alu instid0(SALU_CYCLE_1) | instskip(SKIP_3) | instid1(VALU_DEP_1)
	s_or_b32 exec_lo, exec_lo, s17
	v_and_b32_e32 v27, 0xff, v161
	s_mov_b32 s13, 0
	s_mov_b32 s30, exec_lo
                                        ; implicit-def: $sgpr17
	v_cmpx_lt_i16_e32 0x7f, v27
	s_xor_b32 s30, exec_lo, s30
	s_cbranch_execnz .LBB6_12531
; %bb.12075:                            ;   in Loop: Header=BB6_11312 Depth=3
	s_or_saveexec_b32 s30, s30
	v_mov_b32_e32 v26, s17
	s_xor_b32 exec_lo, exec_lo, s30
	s_cbranch_execnz .LBB6_12534
.LBB6_12076:                            ;   in Loop: Header=BB6_11312 Depth=3
	s_or_b32 exec_lo, exec_lo, s30
	s_and_saveexec_b32 s17, s13
	s_cbranch_execz .LBB6_12078
.LBB6_12077:                            ;   in Loop: Header=BB6_11312 Depth=3
	v_lshrrev_b16 v37, 2, v161
	v_lshlrev_b32_e32 v38, 24, v161
	s_delay_alu instid0(VALU_DEP_2) | instskip(NEXT) | instid1(VALU_DEP_1)
	v_and_b32_e32 v37, 31, v37
	v_cmp_eq_u32_e32 vcc_lo, 0, v37
	v_and_b32_e32 v26, 3, v161
	s_delay_alu instid0(VALU_DEP_1) | instskip(NEXT) | instid1(VALU_DEP_1)
	v_clz_i32_u32_e32 v27, v26
	v_min_u32_e32 v27, 32, v27
	s_delay_alu instid0(VALU_DEP_1) | instskip(SKIP_1) | instid1(VALU_DEP_1)
	v_subrev_nc_u32_e32 v36, 29, v27
	v_sub_nc_u32_e32 v27, 30, v27
	v_dual_cndmask_b32 v27, v37, v27 :: v_dual_lshlrev_b32 v36, v36, v161
	s_delay_alu instid0(VALU_DEP_1) | instskip(NEXT) | instid1(VALU_DEP_2)
	v_and_b32_e32 v36, 3, v36
	v_lshl_add_u32 v27, v27, 23, 0x37800000
	s_delay_alu instid0(VALU_DEP_2) | instskip(SKIP_1) | instid1(VALU_DEP_2)
	v_cndmask_b32_e32 v26, v26, v36, vcc_lo
	v_and_b32_e32 v36, 0x80000000, v38
	v_lshlrev_b32_e32 v26, 21, v26
	s_delay_alu instid0(VALU_DEP_1)
	v_or3_b32 v26, v36, v27, v26
.LBB6_12078:                            ;   in Loop: Header=BB6_11312 Depth=3
	s_or_b32 exec_lo, exec_lo, s17
	s_waitcnt vmcnt(8) lgkmcnt(8)
	v_and_b32_e32 v36, 0xff, v59
	s_mov_b32 s13, 0
	s_mov_b32 s30, exec_lo
                                        ; implicit-def: $sgpr17
	s_delay_alu instid0(VALU_DEP_1)
	v_cmpx_lt_i16_e32 0x7f, v36
	s_xor_b32 s30, exec_lo, s30
	s_cbranch_execnz .LBB6_12535
; %bb.12079:                            ;   in Loop: Header=BB6_11312 Depth=3
	s_or_saveexec_b32 s30, s30
	v_mov_b32_e32 v27, s17
	s_xor_b32 exec_lo, exec_lo, s30
	s_cbranch_execnz .LBB6_12538
.LBB6_12080:                            ;   in Loop: Header=BB6_11312 Depth=3
	s_or_b32 exec_lo, exec_lo, s30
	s_and_saveexec_b32 s17, s13
	s_cbranch_execz .LBB6_12082
.LBB6_12081:                            ;   in Loop: Header=BB6_11312 Depth=3
	v_lshrrev_b16 v38, 2, v59
	v_lshlrev_b32_e32 v39, 24, v59
	s_delay_alu instid0(VALU_DEP_2) | instskip(NEXT) | instid1(VALU_DEP_1)
	v_and_b32_e32 v38, 31, v38
	v_cmp_eq_u32_e32 vcc_lo, 0, v38
	v_and_b32_e32 v27, 3, v59
	s_delay_alu instid0(VALU_DEP_1) | instskip(NEXT) | instid1(VALU_DEP_1)
	v_clz_i32_u32_e32 v36, v27
	v_min_u32_e32 v36, 32, v36
	s_delay_alu instid0(VALU_DEP_1) | instskip(SKIP_1) | instid1(VALU_DEP_1)
	v_subrev_nc_u32_e32 v37, 29, v36
	v_sub_nc_u32_e32 v36, 30, v36
	v_dual_cndmask_b32 v36, v38, v36 :: v_dual_lshlrev_b32 v37, v37, v59
	s_delay_alu instid0(VALU_DEP_1) | instskip(NEXT) | instid1(VALU_DEP_2)
	v_and_b32_e32 v37, 3, v37
	v_lshl_add_u32 v36, v36, 23, 0x37800000
	s_delay_alu instid0(VALU_DEP_2) | instskip(SKIP_1) | instid1(VALU_DEP_2)
	v_cndmask_b32_e32 v27, v27, v37, vcc_lo
	v_and_b32_e32 v37, 0x80000000, v39
	v_lshlrev_b32_e32 v27, 21, v27
	s_delay_alu instid0(VALU_DEP_1)
	v_or3_b32 v27, v37, v36, v27
.LBB6_12082:                            ;   in Loop: Header=BB6_11312 Depth=3
	s_or_b32 exec_lo, exec_lo, s17
	s_delay_alu instid0(VALU_DEP_1) | instskip(SKIP_2) | instid1(VALU_DEP_2)
	v_add_f32_e32 v26, v26, v27
	v_mov_b32_e32 v114, 0x80
	s_mov_b32 s17, exec_lo
	v_and_b32_e32 v27, 0x7f800000, v26
	s_delay_alu instid0(VALU_DEP_1)
	v_cmpx_ne_u32_e32 0x7f800000, v27
	s_cbranch_execz .LBB6_12090
; %bb.12083:                            ;   in Loop: Header=BB6_11312 Depth=3
	v_mov_b32_e32 v114, 0
	s_mov_b32 s30, exec_lo
	v_cmpx_ne_u32_e32 0, v26
	s_cbranch_execz .LBB6_12089
; %bb.12084:                            ;   in Loop: Header=BB6_11312 Depth=3
	v_bfe_u32 v27, v26, 23, 8
	s_delay_alu instid0(VALU_DEP_1) | instskip(SKIP_1) | instid1(VALU_DEP_2)
	v_sub_nc_u32_e32 v37, 0x70, v27
	v_cmp_gt_u32_e32 vcc_lo, 0x71, v27
	v_dual_cndmask_b32 v37, 0, v37 :: v_dual_and_b32 v36, 0x7fffff, v26
	s_delay_alu instid0(VALU_DEP_1) | instskip(SKIP_2) | instid1(VALU_DEP_4)
	v_or_b32_e32 v38, 0x800000, v36
	v_cmp_eq_u32_e32 vcc_lo, 0, v27
	v_add_nc_u32_e32 v27, 0xffffff91, v27
	v_cndmask_b32_e64 v37, v37, 0x6f, vcc_lo
	s_delay_alu instid0(VALU_DEP_4) | instskip(NEXT) | instid1(VALU_DEP_3)
	v_cndmask_b32_e32 v36, v38, v36, vcc_lo
	v_cndmask_b32_e64 v27, v27, 0xffffff92, vcc_lo
	s_delay_alu instid0(VALU_DEP_3) | instskip(NEXT) | instid1(VALU_DEP_3)
	v_lshl_add_u32 v38, 0x200000, v37, -1
	v_lshrrev_b32_e32 v39, v37, v36
	v_lshlrev_b32_e64 v49, v37, 0x100000
	s_delay_alu instid0(VALU_DEP_4) | instskip(NEXT) | instid1(VALU_DEP_4)
	v_add_nc_u32_e32 v37, v37, v27
	v_and_b32_e32 v36, v38, v36
	s_delay_alu instid0(VALU_DEP_4) | instskip(NEXT) | instid1(VALU_DEP_2)
	v_bfe_u32 v48, v39, 21, 1
	v_cmp_eq_u32_e64 s13, v36, v49
	s_delay_alu instid0(VALU_DEP_2) | instskip(NEXT) | instid1(VALU_DEP_1)
	v_add_nc_u32_e32 v38, -1, v48
	v_cndmask_b32_e64 v36, 0, v38, s13
	v_lshrrev_b32_e32 v38, 23, v39
	s_mov_b32 s13, exec_lo
	s_delay_alu instid0(VALU_DEP_2) | instskip(NEXT) | instid1(VALU_DEP_2)
	v_add_nc_u32_e32 v36, v36, v39
	v_xor_b32_e32 v38, 1, v38
	s_delay_alu instid0(VALU_DEP_2) | instskip(NEXT) | instid1(VALU_DEP_1)
	v_and_b32_e32 v27, 0x1fffff, v36
	v_add_nc_u32_e32 v36, v27, v39
                                        ; implicit-def: $vgpr27
	s_delay_alu instid0(VALU_DEP_3)
	v_cmpx_ne_u32_e64 v37, v38
	s_xor_b32 s13, exec_lo, s13
; %bb.12085:                            ;   in Loop: Header=BB6_11312 Depth=3
	s_delay_alu instid0(VALU_DEP_2) | instskip(SKIP_2) | instid1(VALU_DEP_2)
	v_cmp_lt_u32_e32 vcc_lo, 0xffffff, v36
	v_sub_nc_u32_e32 v27, v37, v38
	v_cndmask_b32_e64 v37, 0, 1, vcc_lo
	v_add_co_ci_u32_e32 v27, vcc_lo, 0, v27, vcc_lo
	s_delay_alu instid0(VALU_DEP_2)
	v_lshrrev_b32_e32 v36, v37, v36
; %bb.12086:                            ;   in Loop: Header=BB6_11312 Depth=3
	s_and_not1_saveexec_b32 s13, s13
; %bb.12087:                            ;   in Loop: Header=BB6_11312 Depth=3
	s_delay_alu instid0(VALU_DEP_1)
	v_bfe_u32 v27, v36, 23, 1
; %bb.12088:                            ;   in Loop: Header=BB6_11312 Depth=3
	s_or_b32 exec_lo, exec_lo, s13
	v_lshrrev_b32_e32 v36, 21, v36
	s_delay_alu instid0(VALU_DEP_2) | instskip(SKIP_2) | instid1(VALU_DEP_4)
	v_cmp_gt_i32_e32 vcc_lo, 32, v27
	v_lshrrev_b32_e32 v26, 24, v26
	v_min_i32_e32 v37, 31, v27
	v_cndmask_b32_e32 v36, 3, v36, vcc_lo
	s_delay_alu instid0(VALU_DEP_3) | instskip(NEXT) | instid1(VALU_DEP_3)
	v_and_b32_e32 v26, 0x80, v26
	v_lshlrev_b32_e32 v37, 2, v37
	s_delay_alu instid0(VALU_DEP_3) | instskip(SKIP_1) | instid1(VALU_DEP_2)
	v_and_b32_e32 v38, 3, v36
	v_or_b32_e32 v27, v27, v36
	v_or3_b32 v26, v37, v26, v38
	s_delay_alu instid0(VALU_DEP_2) | instskip(NEXT) | instid1(VALU_DEP_2)
	v_cmp_ne_u32_e32 vcc_lo, 0, v27
	v_cndmask_b32_e32 v114, 0, v26, vcc_lo
.LBB6_12089:                            ;   in Loop: Header=BB6_11312 Depth=3
	s_or_b32 exec_lo, exec_lo, s30
.LBB6_12090:                            ;   in Loop: Header=BB6_11312 Depth=3
	s_delay_alu instid0(SALU_CYCLE_1) | instskip(SKIP_3) | instid1(VALU_DEP_1)
	s_or_b32 exec_lo, exec_lo, s17
	v_and_b32_e32 v27, 0xff, v151
	s_mov_b32 s13, 0
	s_mov_b32 s30, exec_lo
                                        ; implicit-def: $sgpr17
	v_cmpx_lt_i16_e32 0x7f, v27
	s_xor_b32 s30, exec_lo, s30
	s_cbranch_execnz .LBB6_12539
; %bb.12091:                            ;   in Loop: Header=BB6_11312 Depth=3
	s_or_saveexec_b32 s30, s30
	v_mov_b32_e32 v26, s17
	s_xor_b32 exec_lo, exec_lo, s30
	s_cbranch_execnz .LBB6_12542
.LBB6_12092:                            ;   in Loop: Header=BB6_11312 Depth=3
	s_or_b32 exec_lo, exec_lo, s30
	s_and_saveexec_b32 s17, s13
	s_cbranch_execz .LBB6_12094
.LBB6_12093:                            ;   in Loop: Header=BB6_11312 Depth=3
	v_and_b32_e32 v26, 3, v151
	v_lshrrev_b16 v37, 2, v151
	v_lshlrev_b32_e32 v38, 24, v151
	s_delay_alu instid0(VALU_DEP_3) | instskip(NEXT) | instid1(VALU_DEP_1)
	v_clz_i32_u32_e32 v27, v26
	v_min_u32_e32 v27, 32, v27
	s_delay_alu instid0(VALU_DEP_1) | instskip(SKIP_1) | instid1(VALU_DEP_2)
	v_subrev_nc_u32_e32 v36, 29, v27
	v_sub_nc_u32_e32 v27, 30, v27
	v_lshlrev_b32_e32 v36, v36, v151
	s_delay_alu instid0(VALU_DEP_1) | instskip(SKIP_1) | instid1(VALU_DEP_1)
	v_and_b32_e32 v36, 3, v36
	v_and_b32_e32 v37, 31, v37
	v_cmp_eq_u32_e32 vcc_lo, 0, v37
	s_delay_alu instid0(VALU_DEP_3) | instskip(SKIP_1) | instid1(VALU_DEP_2)
	v_dual_cndmask_b32 v26, v26, v36 :: v_dual_cndmask_b32 v27, v37, v27
	v_and_b32_e32 v36, 0x80000000, v38
	v_lshlrev_b32_e32 v26, 21, v26
	s_delay_alu instid0(VALU_DEP_3) | instskip(NEXT) | instid1(VALU_DEP_1)
	v_lshl_add_u32 v27, v27, 23, 0x37800000
	v_or3_b32 v26, v36, v27, v26
.LBB6_12094:                            ;   in Loop: Header=BB6_11312 Depth=3
	s_or_b32 exec_lo, exec_lo, s17
	s_waitcnt vmcnt(7) lgkmcnt(7)
	v_and_b32_e32 v36, 0xff, v47
	s_mov_b32 s13, 0
	s_mov_b32 s30, exec_lo
                                        ; implicit-def: $sgpr17
	s_delay_alu instid0(VALU_DEP_1)
	v_cmpx_lt_i16_e32 0x7f, v36
	s_xor_b32 s30, exec_lo, s30
	s_cbranch_execnz .LBB6_12543
; %bb.12095:                            ;   in Loop: Header=BB6_11312 Depth=3
	s_or_saveexec_b32 s30, s30
	v_mov_b32_e32 v27, s17
	s_xor_b32 exec_lo, exec_lo, s30
	s_cbranch_execnz .LBB6_12546
.LBB6_12096:                            ;   in Loop: Header=BB6_11312 Depth=3
	s_or_b32 exec_lo, exec_lo, s30
	s_and_saveexec_b32 s17, s13
	s_cbranch_execz .LBB6_12098
.LBB6_12097:                            ;   in Loop: Header=BB6_11312 Depth=3
	v_lshrrev_b16 v38, 2, v47
	v_lshlrev_b32_e32 v39, 24, v47
	s_delay_alu instid0(VALU_DEP_2) | instskip(NEXT) | instid1(VALU_DEP_1)
	v_and_b32_e32 v38, 31, v38
	v_cmp_eq_u32_e32 vcc_lo, 0, v38
	v_and_b32_e32 v27, 3, v47
	s_delay_alu instid0(VALU_DEP_1) | instskip(NEXT) | instid1(VALU_DEP_1)
	v_clz_i32_u32_e32 v36, v27
	v_min_u32_e32 v36, 32, v36
	s_delay_alu instid0(VALU_DEP_1) | instskip(SKIP_1) | instid1(VALU_DEP_1)
	v_subrev_nc_u32_e32 v37, 29, v36
	v_sub_nc_u32_e32 v36, 30, v36
	v_dual_cndmask_b32 v36, v38, v36 :: v_dual_lshlrev_b32 v37, v37, v47
	s_delay_alu instid0(VALU_DEP_1) | instskip(NEXT) | instid1(VALU_DEP_2)
	v_and_b32_e32 v37, 3, v37
	v_lshl_add_u32 v36, v36, 23, 0x37800000
	s_delay_alu instid0(VALU_DEP_2) | instskip(SKIP_1) | instid1(VALU_DEP_2)
	v_cndmask_b32_e32 v27, v27, v37, vcc_lo
	v_and_b32_e32 v37, 0x80000000, v39
	v_lshlrev_b32_e32 v27, 21, v27
	s_delay_alu instid0(VALU_DEP_1)
	v_or3_b32 v27, v37, v36, v27
.LBB6_12098:                            ;   in Loop: Header=BB6_11312 Depth=3
	s_or_b32 exec_lo, exec_lo, s17
	s_delay_alu instid0(VALU_DEP_1) | instskip(SKIP_2) | instid1(VALU_DEP_2)
	v_add_f32_e32 v26, v26, v27
	v_mov_b32_e32 v52, 0x80
	s_mov_b32 s17, exec_lo
	v_and_b32_e32 v27, 0x7f800000, v26
	s_delay_alu instid0(VALU_DEP_1)
	v_cmpx_ne_u32_e32 0x7f800000, v27
	s_cbranch_execz .LBB6_12106
; %bb.12099:                            ;   in Loop: Header=BB6_11312 Depth=3
	v_mov_b32_e32 v52, 0
	s_mov_b32 s30, exec_lo
	v_cmpx_ne_u32_e32 0, v26
	s_cbranch_execz .LBB6_12105
; %bb.12100:                            ;   in Loop: Header=BB6_11312 Depth=3
	v_bfe_u32 v27, v26, 23, 8
	s_delay_alu instid0(VALU_DEP_1) | instskip(SKIP_1) | instid1(VALU_DEP_2)
	v_sub_nc_u32_e32 v37, 0x70, v27
	v_cmp_gt_u32_e32 vcc_lo, 0x71, v27
	v_dual_cndmask_b32 v37, 0, v37 :: v_dual_and_b32 v36, 0x7fffff, v26
	s_delay_alu instid0(VALU_DEP_1) | instskip(SKIP_2) | instid1(VALU_DEP_4)
	v_or_b32_e32 v38, 0x800000, v36
	v_cmp_eq_u32_e32 vcc_lo, 0, v27
	v_add_nc_u32_e32 v27, 0xffffff91, v27
	v_cndmask_b32_e64 v37, v37, 0x6f, vcc_lo
	s_delay_alu instid0(VALU_DEP_4) | instskip(NEXT) | instid1(VALU_DEP_3)
	v_cndmask_b32_e32 v36, v38, v36, vcc_lo
	v_cndmask_b32_e64 v27, v27, 0xffffff92, vcc_lo
	s_delay_alu instid0(VALU_DEP_3) | instskip(NEXT) | instid1(VALU_DEP_3)
	v_lshl_add_u32 v38, 0x200000, v37, -1
	v_lshrrev_b32_e32 v39, v37, v36
	v_lshlrev_b32_e64 v49, v37, 0x100000
	s_delay_alu instid0(VALU_DEP_4) | instskip(NEXT) | instid1(VALU_DEP_4)
	v_add_nc_u32_e32 v37, v37, v27
	v_and_b32_e32 v36, v38, v36
	s_delay_alu instid0(VALU_DEP_4) | instskip(NEXT) | instid1(VALU_DEP_2)
	v_bfe_u32 v48, v39, 21, 1
	v_cmp_eq_u32_e64 s13, v36, v49
	s_delay_alu instid0(VALU_DEP_2) | instskip(NEXT) | instid1(VALU_DEP_1)
	v_add_nc_u32_e32 v38, -1, v48
	v_cndmask_b32_e64 v36, 0, v38, s13
	v_lshrrev_b32_e32 v38, 23, v39
	s_mov_b32 s13, exec_lo
	s_delay_alu instid0(VALU_DEP_2) | instskip(NEXT) | instid1(VALU_DEP_2)
	v_add_nc_u32_e32 v36, v36, v39
	v_xor_b32_e32 v38, 1, v38
	s_delay_alu instid0(VALU_DEP_2) | instskip(NEXT) | instid1(VALU_DEP_1)
	v_and_b32_e32 v27, 0x1fffff, v36
	v_add_nc_u32_e32 v36, v27, v39
                                        ; implicit-def: $vgpr27
	s_delay_alu instid0(VALU_DEP_3)
	v_cmpx_ne_u32_e64 v37, v38
	s_xor_b32 s13, exec_lo, s13
; %bb.12101:                            ;   in Loop: Header=BB6_11312 Depth=3
	s_delay_alu instid0(VALU_DEP_2) | instskip(SKIP_2) | instid1(VALU_DEP_2)
	v_cmp_lt_u32_e32 vcc_lo, 0xffffff, v36
	v_sub_nc_u32_e32 v27, v37, v38
	v_cndmask_b32_e64 v37, 0, 1, vcc_lo
	v_add_co_ci_u32_e32 v27, vcc_lo, 0, v27, vcc_lo
	s_delay_alu instid0(VALU_DEP_2)
	v_lshrrev_b32_e32 v36, v37, v36
; %bb.12102:                            ;   in Loop: Header=BB6_11312 Depth=3
	s_and_not1_saveexec_b32 s13, s13
; %bb.12103:                            ;   in Loop: Header=BB6_11312 Depth=3
	s_delay_alu instid0(VALU_DEP_1)
	v_bfe_u32 v27, v36, 23, 1
; %bb.12104:                            ;   in Loop: Header=BB6_11312 Depth=3
	s_or_b32 exec_lo, exec_lo, s13
	v_lshrrev_b32_e32 v36, 21, v36
	s_delay_alu instid0(VALU_DEP_2) | instskip(SKIP_2) | instid1(VALU_DEP_4)
	v_cmp_gt_i32_e32 vcc_lo, 32, v27
	v_lshrrev_b32_e32 v26, 24, v26
	v_min_i32_e32 v37, 31, v27
	v_cndmask_b32_e32 v36, 3, v36, vcc_lo
	s_delay_alu instid0(VALU_DEP_3) | instskip(NEXT) | instid1(VALU_DEP_3)
	v_and_b32_e32 v26, 0x80, v26
	v_lshlrev_b32_e32 v37, 2, v37
	s_delay_alu instid0(VALU_DEP_3) | instskip(SKIP_1) | instid1(VALU_DEP_2)
	v_and_b32_e32 v38, 3, v36
	v_or_b32_e32 v27, v27, v36
	v_or3_b32 v26, v37, v26, v38
	s_delay_alu instid0(VALU_DEP_2) | instskip(NEXT) | instid1(VALU_DEP_2)
	v_cmp_ne_u32_e32 vcc_lo, 0, v27
	v_cndmask_b32_e32 v52, 0, v26, vcc_lo
.LBB6_12105:                            ;   in Loop: Header=BB6_11312 Depth=3
	s_or_b32 exec_lo, exec_lo, s30
.LBB6_12106:                            ;   in Loop: Header=BB6_11312 Depth=3
	s_delay_alu instid0(SALU_CYCLE_1) | instskip(SKIP_3) | instid1(VALU_DEP_1)
	s_or_b32 exec_lo, exec_lo, s17
	v_and_b32_e32 v27, 0xff, v85
	s_mov_b32 s13, 0
	s_mov_b32 s30, exec_lo
                                        ; implicit-def: $sgpr17
	v_cmpx_lt_i16_e32 0x7f, v27
	s_xor_b32 s30, exec_lo, s30
	s_cbranch_execnz .LBB6_12547
; %bb.12107:                            ;   in Loop: Header=BB6_11312 Depth=3
	s_or_saveexec_b32 s30, s30
	v_mov_b32_e32 v26, s17
	s_xor_b32 exec_lo, exec_lo, s30
	s_cbranch_execnz .LBB6_12550
.LBB6_12108:                            ;   in Loop: Header=BB6_11312 Depth=3
	s_or_b32 exec_lo, exec_lo, s30
	s_and_saveexec_b32 s17, s13
	s_cbranch_execz .LBB6_12110
.LBB6_12109:                            ;   in Loop: Header=BB6_11312 Depth=3
	v_lshrrev_b16 v37, 2, v85
	v_lshlrev_b32_e32 v38, 24, v85
	s_delay_alu instid0(VALU_DEP_2) | instskip(NEXT) | instid1(VALU_DEP_1)
	v_and_b32_e32 v37, 31, v37
	v_cmp_eq_u32_e32 vcc_lo, 0, v37
	v_and_b32_e32 v26, 3, v85
	s_delay_alu instid0(VALU_DEP_1) | instskip(NEXT) | instid1(VALU_DEP_1)
	v_clz_i32_u32_e32 v27, v26
	v_min_u32_e32 v27, 32, v27
	s_delay_alu instid0(VALU_DEP_1) | instskip(SKIP_1) | instid1(VALU_DEP_1)
	v_subrev_nc_u32_e32 v36, 29, v27
	v_sub_nc_u32_e32 v27, 30, v27
	v_dual_cndmask_b32 v27, v37, v27 :: v_dual_lshlrev_b32 v36, v36, v85
	s_delay_alu instid0(VALU_DEP_1) | instskip(NEXT) | instid1(VALU_DEP_2)
	v_and_b32_e32 v36, 3, v36
	v_lshl_add_u32 v27, v27, 23, 0x37800000
	s_delay_alu instid0(VALU_DEP_2) | instskip(SKIP_1) | instid1(VALU_DEP_2)
	v_cndmask_b32_e32 v26, v26, v36, vcc_lo
	v_and_b32_e32 v36, 0x80000000, v38
	v_lshlrev_b32_e32 v26, 21, v26
	s_delay_alu instid0(VALU_DEP_1)
	v_or3_b32 v26, v36, v27, v26
.LBB6_12110:                            ;   in Loop: Header=BB6_11312 Depth=3
	s_or_b32 exec_lo, exec_lo, s17
	s_waitcnt vmcnt(6) lgkmcnt(6)
	v_and_b32_e32 v36, 0xff, v42
	s_mov_b32 s13, 0
	s_mov_b32 s30, exec_lo
                                        ; implicit-def: $sgpr17
	s_delay_alu instid0(VALU_DEP_1)
	v_cmpx_lt_i16_e32 0x7f, v36
	s_xor_b32 s30, exec_lo, s30
	s_cbranch_execnz .LBB6_12551
; %bb.12111:                            ;   in Loop: Header=BB6_11312 Depth=3
	s_or_saveexec_b32 s30, s30
	v_mov_b32_e32 v27, s17
	s_xor_b32 exec_lo, exec_lo, s30
	s_cbranch_execnz .LBB6_12554
.LBB6_12112:                            ;   in Loop: Header=BB6_11312 Depth=3
	s_or_b32 exec_lo, exec_lo, s30
	s_and_saveexec_b32 s17, s13
	s_cbranch_execz .LBB6_12114
.LBB6_12113:                            ;   in Loop: Header=BB6_11312 Depth=3
	v_lshrrev_b16 v38, 2, v42
	v_lshlrev_b32_e32 v39, 24, v42
	s_delay_alu instid0(VALU_DEP_2) | instskip(NEXT) | instid1(VALU_DEP_1)
	v_and_b32_e32 v38, 31, v38
	v_cmp_eq_u32_e32 vcc_lo, 0, v38
	v_and_b32_e32 v27, 3, v42
	s_delay_alu instid0(VALU_DEP_1) | instskip(NEXT) | instid1(VALU_DEP_1)
	v_clz_i32_u32_e32 v36, v27
	v_min_u32_e32 v36, 32, v36
	s_delay_alu instid0(VALU_DEP_1) | instskip(SKIP_1) | instid1(VALU_DEP_1)
	v_subrev_nc_u32_e32 v37, 29, v36
	v_sub_nc_u32_e32 v36, 30, v36
	v_dual_cndmask_b32 v36, v38, v36 :: v_dual_lshlrev_b32 v37, v37, v42
	s_delay_alu instid0(VALU_DEP_1) | instskip(NEXT) | instid1(VALU_DEP_2)
	v_and_b32_e32 v37, 3, v37
	v_lshl_add_u32 v36, v36, 23, 0x37800000
	s_delay_alu instid0(VALU_DEP_2) | instskip(SKIP_1) | instid1(VALU_DEP_2)
	v_cndmask_b32_e32 v27, v27, v37, vcc_lo
	v_and_b32_e32 v37, 0x80000000, v39
	v_lshlrev_b32_e32 v27, 21, v27
	s_delay_alu instid0(VALU_DEP_1)
	v_or3_b32 v27, v37, v36, v27
.LBB6_12114:                            ;   in Loop: Header=BB6_11312 Depth=3
	s_or_b32 exec_lo, exec_lo, s17
	s_delay_alu instid0(VALU_DEP_1) | instskip(NEXT) | instid1(VALU_DEP_1)
	v_add_f32_e32 v27, v26, v27
	v_and_b32_e32 v26, 0x7f800000, v27
	s_delay_alu instid0(VALU_DEP_1)
	v_cmp_ne_u32_e32 vcc_lo, 0x7f800000, v26
	v_mov_b32_e32 v26, 0x80
	s_and_saveexec_b32 s17, vcc_lo
	s_cbranch_execz .LBB6_12122
; %bb.12115:                            ;   in Loop: Header=BB6_11312 Depth=3
	v_mov_b32_e32 v26, 0
	s_mov_b32 s30, exec_lo
	v_cmpx_ne_u32_e32 0, v27
	s_cbranch_execz .LBB6_12121
; %bb.12116:                            ;   in Loop: Header=BB6_11312 Depth=3
	v_bfe_u32 v26, v27, 23, 8
	s_delay_alu instid0(VALU_DEP_1) | instskip(SKIP_1) | instid1(VALU_DEP_2)
	v_sub_nc_u32_e32 v37, 0x70, v26
	v_cmp_gt_u32_e32 vcc_lo, 0x71, v26
	v_dual_cndmask_b32 v37, 0, v37 :: v_dual_and_b32 v36, 0x7fffff, v27
	s_delay_alu instid0(VALU_DEP_1) | instskip(SKIP_2) | instid1(VALU_DEP_4)
	v_or_b32_e32 v38, 0x800000, v36
	v_cmp_eq_u32_e32 vcc_lo, 0, v26
	v_add_nc_u32_e32 v26, 0xffffff91, v26
	v_cndmask_b32_e64 v37, v37, 0x6f, vcc_lo
	s_delay_alu instid0(VALU_DEP_2) | instskip(SKIP_1) | instid1(VALU_DEP_3)
	v_cndmask_b32_e64 v26, v26, 0xffffff92, vcc_lo
	v_cndmask_b32_e32 v36, v38, v36, vcc_lo
	v_lshl_add_u32 v38, 0x200000, v37, -1
	v_lshlrev_b32_e64 v49, v37, 0x100000
	s_delay_alu instid0(VALU_DEP_3) | instskip(SKIP_1) | instid1(VALU_DEP_4)
	v_lshrrev_b32_e32 v39, v37, v36
	v_add_nc_u32_e32 v37, v37, v26
	v_and_b32_e32 v36, v38, v36
	s_delay_alu instid0(VALU_DEP_3) | instskip(NEXT) | instid1(VALU_DEP_2)
	v_bfe_u32 v48, v39, 21, 1
	v_cmp_eq_u32_e64 s13, v36, v49
	s_delay_alu instid0(VALU_DEP_2) | instskip(NEXT) | instid1(VALU_DEP_1)
	v_add_nc_u32_e32 v38, -1, v48
	v_cndmask_b32_e64 v36, 0, v38, s13
	v_lshrrev_b32_e32 v38, 23, v39
	s_mov_b32 s13, exec_lo
	s_delay_alu instid0(VALU_DEP_2) | instskip(NEXT) | instid1(VALU_DEP_2)
	v_add_nc_u32_e32 v36, v36, v39
	v_xor_b32_e32 v38, 1, v38
	s_delay_alu instid0(VALU_DEP_2) | instskip(NEXT) | instid1(VALU_DEP_1)
	v_and_b32_e32 v26, 0x1fffff, v36
	v_add_nc_u32_e32 v36, v26, v39
                                        ; implicit-def: $vgpr26
	s_delay_alu instid0(VALU_DEP_3)
	v_cmpx_ne_u32_e64 v37, v38
	s_xor_b32 s13, exec_lo, s13
; %bb.12117:                            ;   in Loop: Header=BB6_11312 Depth=3
	s_delay_alu instid0(VALU_DEP_2) | instskip(SKIP_2) | instid1(VALU_DEP_2)
	v_cmp_lt_u32_e32 vcc_lo, 0xffffff, v36
	v_sub_nc_u32_e32 v26, v37, v38
	v_cndmask_b32_e64 v37, 0, 1, vcc_lo
	v_add_co_ci_u32_e32 v26, vcc_lo, 0, v26, vcc_lo
	s_delay_alu instid0(VALU_DEP_2)
	v_lshrrev_b32_e32 v36, v37, v36
; %bb.12118:                            ;   in Loop: Header=BB6_11312 Depth=3
	s_and_not1_saveexec_b32 s13, s13
; %bb.12119:                            ;   in Loop: Header=BB6_11312 Depth=3
	s_delay_alu instid0(VALU_DEP_1)
	v_bfe_u32 v26, v36, 23, 1
; %bb.12120:                            ;   in Loop: Header=BB6_11312 Depth=3
	s_or_b32 exec_lo, exec_lo, s13
	v_lshrrev_b32_e32 v36, 21, v36
	s_delay_alu instid0(VALU_DEP_2) | instskip(SKIP_2) | instid1(VALU_DEP_2)
	v_cmp_gt_i32_e32 vcc_lo, 32, v26
	v_lshrrev_b32_e32 v27, 24, v27
	v_min_i32_e32 v37, 31, v26
	v_dual_cndmask_b32 v36, 3, v36 :: v_dual_and_b32 v27, 0x80, v27
	s_delay_alu instid0(VALU_DEP_1) | instskip(SKIP_1) | instid1(VALU_DEP_2)
	v_or_b32_e32 v26, v26, v36
	v_and_b32_e32 v38, 3, v36
	v_cmp_ne_u32_e32 vcc_lo, 0, v26
	v_lshlrev_b32_e32 v37, 2, v37
	s_delay_alu instid0(VALU_DEP_1) | instskip(NEXT) | instid1(VALU_DEP_1)
	v_or3_b32 v27, v37, v27, v38
	v_cndmask_b32_e32 v26, 0, v27, vcc_lo
.LBB6_12121:                            ;   in Loop: Header=BB6_11312 Depth=3
	s_or_b32 exec_lo, exec_lo, s30
.LBB6_12122:                            ;   in Loop: Header=BB6_11312 Depth=3
	s_delay_alu instid0(SALU_CYCLE_1) | instskip(SKIP_3) | instid1(VALU_DEP_1)
	s_or_b32 exec_lo, exec_lo, s17
	v_and_b32_e32 v36, 0xff, v83
	s_mov_b32 s13, 0
	s_mov_b32 s30, exec_lo
                                        ; implicit-def: $sgpr17
	v_cmpx_lt_i16_e32 0x7f, v36
	s_xor_b32 s30, exec_lo, s30
	s_cbranch_execnz .LBB6_12555
; %bb.12123:                            ;   in Loop: Header=BB6_11312 Depth=3
	s_or_saveexec_b32 s30, s30
	v_mov_b32_e32 v27, s17
	s_xor_b32 exec_lo, exec_lo, s30
	s_cbranch_execnz .LBB6_12558
.LBB6_12124:                            ;   in Loop: Header=BB6_11312 Depth=3
	s_or_b32 exec_lo, exec_lo, s30
	s_and_saveexec_b32 s17, s13
	s_cbranch_execz .LBB6_12126
.LBB6_12125:                            ;   in Loop: Header=BB6_11312 Depth=3
	v_lshrrev_b16 v38, 2, v83
	v_lshlrev_b32_e32 v39, 24, v83
	s_delay_alu instid0(VALU_DEP_2) | instskip(NEXT) | instid1(VALU_DEP_1)
	v_and_b32_e32 v38, 31, v38
	v_cmp_eq_u32_e32 vcc_lo, 0, v38
	v_and_b32_e32 v27, 3, v83
	s_delay_alu instid0(VALU_DEP_1) | instskip(NEXT) | instid1(VALU_DEP_1)
	v_clz_i32_u32_e32 v36, v27
	v_min_u32_e32 v36, 32, v36
	s_delay_alu instid0(VALU_DEP_1) | instskip(SKIP_1) | instid1(VALU_DEP_1)
	v_subrev_nc_u32_e32 v37, 29, v36
	v_sub_nc_u32_e32 v36, 30, v36
	v_dual_cndmask_b32 v36, v38, v36 :: v_dual_lshlrev_b32 v37, v37, v83
	s_delay_alu instid0(VALU_DEP_1) | instskip(NEXT) | instid1(VALU_DEP_2)
	v_and_b32_e32 v37, 3, v37
	v_lshl_add_u32 v36, v36, 23, 0x37800000
	s_delay_alu instid0(VALU_DEP_2) | instskip(SKIP_1) | instid1(VALU_DEP_2)
	v_cndmask_b32_e32 v27, v27, v37, vcc_lo
	v_and_b32_e32 v37, 0x80000000, v39
	v_lshlrev_b32_e32 v27, 21, v27
	s_delay_alu instid0(VALU_DEP_1)
	v_or3_b32 v27, v37, v36, v27
.LBB6_12126:                            ;   in Loop: Header=BB6_11312 Depth=3
	s_or_b32 exec_lo, exec_lo, s17
	s_waitcnt vmcnt(5) lgkmcnt(5)
	v_and_b32_e32 v37, 0xff, v101
	s_mov_b32 s13, 0
	s_mov_b32 s30, exec_lo
                                        ; implicit-def: $sgpr17
	s_delay_alu instid0(VALU_DEP_1)
	v_cmpx_lt_i16_e32 0x7f, v37
	s_xor_b32 s30, exec_lo, s30
	s_cbranch_execnz .LBB6_12559
; %bb.12127:                            ;   in Loop: Header=BB6_11312 Depth=3
	s_or_saveexec_b32 s30, s30
	v_mov_b32_e32 v36, s17
	s_xor_b32 exec_lo, exec_lo, s30
	s_cbranch_execnz .LBB6_12562
.LBB6_12128:                            ;   in Loop: Header=BB6_11312 Depth=3
	s_or_b32 exec_lo, exec_lo, s30
	s_and_saveexec_b32 s17, s13
	s_cbranch_execz .LBB6_12130
.LBB6_12129:                            ;   in Loop: Header=BB6_11312 Depth=3
	v_and_b32_e32 v36, 3, v101
	v_lshrrev_b16 v39, 2, v101
	v_lshlrev_b32_e32 v48, 24, v101
	s_delay_alu instid0(VALU_DEP_3) | instskip(NEXT) | instid1(VALU_DEP_1)
	v_clz_i32_u32_e32 v37, v36
	v_min_u32_e32 v37, 32, v37
	s_delay_alu instid0(VALU_DEP_1) | instskip(SKIP_1) | instid1(VALU_DEP_2)
	v_subrev_nc_u32_e32 v38, 29, v37
	v_sub_nc_u32_e32 v37, 30, v37
	v_lshlrev_b32_e32 v38, v38, v101
	s_delay_alu instid0(VALU_DEP_1) | instskip(SKIP_1) | instid1(VALU_DEP_1)
	v_and_b32_e32 v38, 3, v38
	v_and_b32_e32 v39, 31, v39
	v_cmp_eq_u32_e32 vcc_lo, 0, v39
	s_delay_alu instid0(VALU_DEP_3) | instskip(SKIP_1) | instid1(VALU_DEP_2)
	v_dual_cndmask_b32 v36, v36, v38 :: v_dual_cndmask_b32 v37, v39, v37
	v_and_b32_e32 v38, 0x80000000, v48
	v_lshlrev_b32_e32 v36, 21, v36
	s_delay_alu instid0(VALU_DEP_3) | instskip(NEXT) | instid1(VALU_DEP_1)
	v_lshl_add_u32 v37, v37, 23, 0x37800000
	v_or3_b32 v36, v38, v37, v36
.LBB6_12130:                            ;   in Loop: Header=BB6_11312 Depth=3
	s_or_b32 exec_lo, exec_lo, s17
	s_delay_alu instid0(VALU_DEP_1) | instskip(NEXT) | instid1(VALU_DEP_1)
	v_add_f32_e32 v36, v27, v36
	v_and_b32_e32 v27, 0x7f800000, v36
	s_delay_alu instid0(VALU_DEP_1)
	v_cmp_ne_u32_e32 vcc_lo, 0x7f800000, v27
	v_mov_b32_e32 v27, 0x80
	s_and_saveexec_b32 s17, vcc_lo
	s_cbranch_execz .LBB6_12138
; %bb.12131:                            ;   in Loop: Header=BB6_11312 Depth=3
	v_mov_b32_e32 v27, 0
	s_mov_b32 s30, exec_lo
	v_cmpx_ne_u32_e32 0, v36
	s_cbranch_execz .LBB6_12137
; %bb.12132:                            ;   in Loop: Header=BB6_11312 Depth=3
	v_bfe_u32 v27, v36, 23, 8
	s_delay_alu instid0(VALU_DEP_1) | instskip(SKIP_1) | instid1(VALU_DEP_2)
	v_sub_nc_u32_e32 v38, 0x70, v27
	v_cmp_gt_u32_e32 vcc_lo, 0x71, v27
	v_dual_cndmask_b32 v38, 0, v38 :: v_dual_and_b32 v37, 0x7fffff, v36
	s_delay_alu instid0(VALU_DEP_1) | instskip(SKIP_2) | instid1(VALU_DEP_4)
	v_or_b32_e32 v39, 0x800000, v37
	v_cmp_eq_u32_e32 vcc_lo, 0, v27
	v_add_nc_u32_e32 v27, 0xffffff91, v27
	v_cndmask_b32_e64 v38, v38, 0x6f, vcc_lo
	s_delay_alu instid0(VALU_DEP_2) | instskip(SKIP_1) | instid1(VALU_DEP_3)
	v_cndmask_b32_e64 v27, v27, 0xffffff92, vcc_lo
	v_cndmask_b32_e32 v37, v39, v37, vcc_lo
	v_lshl_add_u32 v39, 0x200000, v38, -1
	v_lshlrev_b32_e64 v50, v38, 0x100000
	s_delay_alu instid0(VALU_DEP_3) | instskip(SKIP_1) | instid1(VALU_DEP_4)
	v_lshrrev_b32_e32 v48, v38, v37
	v_add_nc_u32_e32 v38, v38, v27
	v_and_b32_e32 v37, v39, v37
	s_delay_alu instid0(VALU_DEP_3) | instskip(NEXT) | instid1(VALU_DEP_2)
	v_bfe_u32 v49, v48, 21, 1
	v_cmp_eq_u32_e64 s13, v37, v50
	s_delay_alu instid0(VALU_DEP_2) | instskip(NEXT) | instid1(VALU_DEP_1)
	v_add_nc_u32_e32 v39, -1, v49
	v_cndmask_b32_e64 v37, 0, v39, s13
	v_lshrrev_b32_e32 v39, 23, v48
	s_mov_b32 s13, exec_lo
	s_delay_alu instid0(VALU_DEP_2) | instskip(NEXT) | instid1(VALU_DEP_2)
	v_add_nc_u32_e32 v37, v37, v48
	v_xor_b32_e32 v39, 1, v39
	s_delay_alu instid0(VALU_DEP_2) | instskip(NEXT) | instid1(VALU_DEP_1)
	v_and_b32_e32 v27, 0x1fffff, v37
	v_add_nc_u32_e32 v37, v27, v48
                                        ; implicit-def: $vgpr27
	s_delay_alu instid0(VALU_DEP_3)
	v_cmpx_ne_u32_e64 v38, v39
	s_xor_b32 s13, exec_lo, s13
; %bb.12133:                            ;   in Loop: Header=BB6_11312 Depth=3
	s_delay_alu instid0(VALU_DEP_2) | instskip(SKIP_2) | instid1(VALU_DEP_2)
	v_cmp_lt_u32_e32 vcc_lo, 0xffffff, v37
	v_sub_nc_u32_e32 v27, v38, v39
	v_cndmask_b32_e64 v38, 0, 1, vcc_lo
	v_add_co_ci_u32_e32 v27, vcc_lo, 0, v27, vcc_lo
	s_delay_alu instid0(VALU_DEP_2)
	v_lshrrev_b32_e32 v37, v38, v37
; %bb.12134:                            ;   in Loop: Header=BB6_11312 Depth=3
	s_and_not1_saveexec_b32 s13, s13
; %bb.12135:                            ;   in Loop: Header=BB6_11312 Depth=3
	s_delay_alu instid0(VALU_DEP_1)
	v_bfe_u32 v27, v37, 23, 1
; %bb.12136:                            ;   in Loop: Header=BB6_11312 Depth=3
	s_or_b32 exec_lo, exec_lo, s13
	v_lshrrev_b32_e32 v37, 21, v37
	s_delay_alu instid0(VALU_DEP_2) | instskip(SKIP_2) | instid1(VALU_DEP_2)
	v_cmp_gt_i32_e32 vcc_lo, 32, v27
	v_lshrrev_b32_e32 v36, 24, v36
	v_min_i32_e32 v38, 31, v27
	v_dual_cndmask_b32 v37, 3, v37 :: v_dual_and_b32 v36, 0x80, v36
	s_delay_alu instid0(VALU_DEP_1) | instskip(SKIP_1) | instid1(VALU_DEP_2)
	v_or_b32_e32 v27, v27, v37
	v_and_b32_e32 v39, 3, v37
	v_cmp_ne_u32_e32 vcc_lo, 0, v27
	v_lshlrev_b32_e32 v38, 2, v38
	s_delay_alu instid0(VALU_DEP_1) | instskip(NEXT) | instid1(VALU_DEP_1)
	v_or3_b32 v36, v38, v36, v39
	v_cndmask_b32_e32 v27, 0, v36, vcc_lo
.LBB6_12137:                            ;   in Loop: Header=BB6_11312 Depth=3
	s_or_b32 exec_lo, exec_lo, s30
.LBB6_12138:                            ;   in Loop: Header=BB6_11312 Depth=3
	s_delay_alu instid0(SALU_CYCLE_1) | instskip(SKIP_3) | instid1(VALU_DEP_1)
	s_or_b32 exec_lo, exec_lo, s17
	v_and_b32_e32 v37, 0xff, v82
	s_mov_b32 s13, 0
	s_mov_b32 s30, exec_lo
                                        ; implicit-def: $sgpr17
	v_cmpx_lt_i16_e32 0x7f, v37
	s_xor_b32 s30, exec_lo, s30
	s_cbranch_execnz .LBB6_12563
; %bb.12139:                            ;   in Loop: Header=BB6_11312 Depth=3
	s_or_saveexec_b32 s30, s30
	v_mov_b32_e32 v36, s17
	s_xor_b32 exec_lo, exec_lo, s30
	s_cbranch_execnz .LBB6_12566
.LBB6_12140:                            ;   in Loop: Header=BB6_11312 Depth=3
	s_or_b32 exec_lo, exec_lo, s30
	s_and_saveexec_b32 s17, s13
	s_cbranch_execz .LBB6_12142
.LBB6_12141:                            ;   in Loop: Header=BB6_11312 Depth=3
	v_lshrrev_b16 v39, 2, v82
	v_lshlrev_b32_e32 v48, 24, v82
	s_delay_alu instid0(VALU_DEP_2) | instskip(NEXT) | instid1(VALU_DEP_1)
	v_and_b32_e32 v39, 31, v39
	v_cmp_eq_u32_e32 vcc_lo, 0, v39
	v_and_b32_e32 v36, 3, v82
	s_delay_alu instid0(VALU_DEP_1) | instskip(NEXT) | instid1(VALU_DEP_1)
	v_clz_i32_u32_e32 v37, v36
	v_min_u32_e32 v37, 32, v37
	s_delay_alu instid0(VALU_DEP_1) | instskip(SKIP_1) | instid1(VALU_DEP_1)
	v_subrev_nc_u32_e32 v38, 29, v37
	v_sub_nc_u32_e32 v37, 30, v37
	v_dual_cndmask_b32 v37, v39, v37 :: v_dual_lshlrev_b32 v38, v38, v82
	s_delay_alu instid0(VALU_DEP_1) | instskip(NEXT) | instid1(VALU_DEP_2)
	v_and_b32_e32 v38, 3, v38
	v_lshl_add_u32 v37, v37, 23, 0x37800000
	s_delay_alu instid0(VALU_DEP_2) | instskip(SKIP_1) | instid1(VALU_DEP_2)
	v_cndmask_b32_e32 v36, v36, v38, vcc_lo
	v_and_b32_e32 v38, 0x80000000, v48
	v_lshlrev_b32_e32 v36, 21, v36
	s_delay_alu instid0(VALU_DEP_1)
	v_or3_b32 v36, v38, v37, v36
.LBB6_12142:                            ;   in Loop: Header=BB6_11312 Depth=3
	s_or_b32 exec_lo, exec_lo, s17
	s_waitcnt vmcnt(4) lgkmcnt(4)
	v_and_b32_e32 v38, 0xff, v176
	s_mov_b32 s13, 0
	s_mov_b32 s30, exec_lo
                                        ; implicit-def: $sgpr17
	s_delay_alu instid0(VALU_DEP_1)
	v_cmpx_lt_i16_e32 0x7f, v38
	s_xor_b32 s30, exec_lo, s30
	s_cbranch_execnz .LBB6_12567
; %bb.12143:                            ;   in Loop: Header=BB6_11312 Depth=3
	s_or_saveexec_b32 s30, s30
	v_mov_b32_e32 v37, s17
	s_xor_b32 exec_lo, exec_lo, s30
	s_cbranch_execnz .LBB6_12570
.LBB6_12144:                            ;   in Loop: Header=BB6_11312 Depth=3
	s_or_b32 exec_lo, exec_lo, s30
	s_and_saveexec_b32 s17, s13
	s_cbranch_execz .LBB6_12146
.LBB6_12145:                            ;   in Loop: Header=BB6_11312 Depth=3
	v_lshrrev_b16 v48, 2, v176
	v_lshlrev_b32_e32 v49, 24, v176
	s_delay_alu instid0(VALU_DEP_2) | instskip(NEXT) | instid1(VALU_DEP_1)
	v_and_b32_e32 v48, 31, v48
	v_cmp_eq_u32_e32 vcc_lo, 0, v48
	v_and_b32_e32 v37, 3, v176
	s_delay_alu instid0(VALU_DEP_1) | instskip(NEXT) | instid1(VALU_DEP_1)
	v_clz_i32_u32_e32 v38, v37
	v_min_u32_e32 v38, 32, v38
	s_delay_alu instid0(VALU_DEP_1) | instskip(SKIP_1) | instid1(VALU_DEP_1)
	v_subrev_nc_u32_e32 v39, 29, v38
	v_sub_nc_u32_e32 v38, 30, v38
	v_dual_cndmask_b32 v38, v48, v38 :: v_dual_lshlrev_b32 v39, v39, v176
	s_delay_alu instid0(VALU_DEP_1) | instskip(NEXT) | instid1(VALU_DEP_2)
	v_and_b32_e32 v39, 3, v39
	v_lshl_add_u32 v38, v38, 23, 0x37800000
	s_delay_alu instid0(VALU_DEP_2) | instskip(SKIP_1) | instid1(VALU_DEP_2)
	v_cndmask_b32_e32 v37, v37, v39, vcc_lo
	v_and_b32_e32 v39, 0x80000000, v49
	v_lshlrev_b32_e32 v37, 21, v37
	s_delay_alu instid0(VALU_DEP_1)
	v_or3_b32 v37, v39, v38, v37
.LBB6_12146:                            ;   in Loop: Header=BB6_11312 Depth=3
	s_or_b32 exec_lo, exec_lo, s17
	s_delay_alu instid0(VALU_DEP_1) | instskip(NEXT) | instid1(VALU_DEP_1)
	v_add_f32_e32 v37, v36, v37
	v_and_b32_e32 v36, 0x7f800000, v37
	s_delay_alu instid0(VALU_DEP_1)
	v_cmp_ne_u32_e32 vcc_lo, 0x7f800000, v36
	v_mov_b32_e32 v36, 0x80
	s_and_saveexec_b32 s17, vcc_lo
	s_cbranch_execz .LBB6_12154
; %bb.12147:                            ;   in Loop: Header=BB6_11312 Depth=3
	v_mov_b32_e32 v36, 0
	s_mov_b32 s30, exec_lo
	v_cmpx_ne_u32_e32 0, v37
	s_cbranch_execz .LBB6_12153
; %bb.12148:                            ;   in Loop: Header=BB6_11312 Depth=3
	v_bfe_u32 v36, v37, 23, 8
	s_delay_alu instid0(VALU_DEP_1) | instskip(SKIP_1) | instid1(VALU_DEP_2)
	v_sub_nc_u32_e32 v39, 0x70, v36
	v_cmp_gt_u32_e32 vcc_lo, 0x71, v36
	v_dual_cndmask_b32 v39, 0, v39 :: v_dual_and_b32 v38, 0x7fffff, v37
	s_delay_alu instid0(VALU_DEP_1) | instskip(SKIP_2) | instid1(VALU_DEP_4)
	v_or_b32_e32 v48, 0x800000, v38
	v_cmp_eq_u32_e32 vcc_lo, 0, v36
	v_add_nc_u32_e32 v36, 0xffffff91, v36
	v_cndmask_b32_e64 v39, v39, 0x6f, vcc_lo
	s_delay_alu instid0(VALU_DEP_2) | instskip(SKIP_1) | instid1(VALU_DEP_3)
	v_cndmask_b32_e64 v36, v36, 0xffffff92, vcc_lo
	v_cndmask_b32_e32 v38, v48, v38, vcc_lo
	v_lshl_add_u32 v48, 0x200000, v39, -1
	v_lshlrev_b32_e64 v51, v39, 0x100000
	s_delay_alu instid0(VALU_DEP_3) | instskip(SKIP_1) | instid1(VALU_DEP_4)
	v_lshrrev_b32_e32 v49, v39, v38
	v_add_nc_u32_e32 v39, v39, v36
	v_and_b32_e32 v38, v48, v38
	s_delay_alu instid0(VALU_DEP_3) | instskip(NEXT) | instid1(VALU_DEP_2)
	v_bfe_u32 v50, v49, 21, 1
	v_cmp_eq_u32_e64 s13, v38, v51
	s_delay_alu instid0(VALU_DEP_2) | instskip(NEXT) | instid1(VALU_DEP_1)
	v_add_nc_u32_e32 v48, -1, v50
	v_cndmask_b32_e64 v38, 0, v48, s13
	v_lshrrev_b32_e32 v48, 23, v49
	s_mov_b32 s13, exec_lo
	s_delay_alu instid0(VALU_DEP_2) | instskip(NEXT) | instid1(VALU_DEP_2)
	v_add_nc_u32_e32 v38, v38, v49
	v_xor_b32_e32 v48, 1, v48
	s_delay_alu instid0(VALU_DEP_2) | instskip(NEXT) | instid1(VALU_DEP_1)
	v_and_b32_e32 v36, 0x1fffff, v38
	v_add_nc_u32_e32 v38, v36, v49
                                        ; implicit-def: $vgpr36
	s_delay_alu instid0(VALU_DEP_3)
	v_cmpx_ne_u32_e64 v39, v48
	s_xor_b32 s13, exec_lo, s13
; %bb.12149:                            ;   in Loop: Header=BB6_11312 Depth=3
	s_delay_alu instid0(VALU_DEP_2) | instskip(SKIP_2) | instid1(VALU_DEP_2)
	v_cmp_lt_u32_e32 vcc_lo, 0xffffff, v38
	v_sub_nc_u32_e32 v36, v39, v48
	v_cndmask_b32_e64 v39, 0, 1, vcc_lo
	v_add_co_ci_u32_e32 v36, vcc_lo, 0, v36, vcc_lo
	s_delay_alu instid0(VALU_DEP_2)
	v_lshrrev_b32_e32 v38, v39, v38
; %bb.12150:                            ;   in Loop: Header=BB6_11312 Depth=3
	s_and_not1_saveexec_b32 s13, s13
; %bb.12151:                            ;   in Loop: Header=BB6_11312 Depth=3
	s_delay_alu instid0(VALU_DEP_1)
	v_bfe_u32 v36, v38, 23, 1
; %bb.12152:                            ;   in Loop: Header=BB6_11312 Depth=3
	s_or_b32 exec_lo, exec_lo, s13
	v_lshrrev_b32_e32 v38, 21, v38
	s_delay_alu instid0(VALU_DEP_2) | instskip(SKIP_2) | instid1(VALU_DEP_2)
	v_cmp_gt_i32_e32 vcc_lo, 32, v36
	v_lshrrev_b32_e32 v37, 24, v37
	v_min_i32_e32 v39, 31, v36
	v_dual_cndmask_b32 v38, 3, v38 :: v_dual_and_b32 v37, 0x80, v37
	s_delay_alu instid0(VALU_DEP_1) | instskip(SKIP_1) | instid1(VALU_DEP_2)
	v_or_b32_e32 v36, v36, v38
	v_and_b32_e32 v48, 3, v38
	v_cmp_ne_u32_e32 vcc_lo, 0, v36
	v_lshlrev_b32_e32 v39, 2, v39
	s_delay_alu instid0(VALU_DEP_1) | instskip(NEXT) | instid1(VALU_DEP_1)
	v_or3_b32 v37, v39, v37, v48
	v_cndmask_b32_e32 v36, 0, v37, vcc_lo
.LBB6_12153:                            ;   in Loop: Header=BB6_11312 Depth=3
	s_or_b32 exec_lo, exec_lo, s30
.LBB6_12154:                            ;   in Loop: Header=BB6_11312 Depth=3
	s_delay_alu instid0(SALU_CYCLE_1) | instskip(SKIP_3) | instid1(VALU_DEP_1)
	s_or_b32 exec_lo, exec_lo, s17
	v_and_b32_e32 v38, 0xff, v80
	s_mov_b32 s13, 0
	s_mov_b32 s30, exec_lo
                                        ; implicit-def: $sgpr17
	v_cmpx_lt_i16_e32 0x7f, v38
	s_xor_b32 s30, exec_lo, s30
	s_cbranch_execnz .LBB6_12571
; %bb.12155:                            ;   in Loop: Header=BB6_11312 Depth=3
	s_or_saveexec_b32 s30, s30
	v_mov_b32_e32 v37, s17
	s_xor_b32 exec_lo, exec_lo, s30
	s_cbranch_execnz .LBB6_12574
.LBB6_12156:                            ;   in Loop: Header=BB6_11312 Depth=3
	s_or_b32 exec_lo, exec_lo, s30
	s_and_saveexec_b32 s17, s13
	s_cbranch_execz .LBB6_12158
.LBB6_12157:                            ;   in Loop: Header=BB6_11312 Depth=3
	v_lshrrev_b16 v48, 2, v80
	v_lshlrev_b32_e32 v49, 24, v80
	s_delay_alu instid0(VALU_DEP_2) | instskip(NEXT) | instid1(VALU_DEP_1)
	v_and_b32_e32 v48, 31, v48
	v_cmp_eq_u32_e32 vcc_lo, 0, v48
	v_and_b32_e32 v37, 3, v80
	s_delay_alu instid0(VALU_DEP_1) | instskip(NEXT) | instid1(VALU_DEP_1)
	v_clz_i32_u32_e32 v38, v37
	v_min_u32_e32 v38, 32, v38
	s_delay_alu instid0(VALU_DEP_1) | instskip(SKIP_1) | instid1(VALU_DEP_1)
	v_subrev_nc_u32_e32 v39, 29, v38
	v_sub_nc_u32_e32 v38, 30, v38
	v_dual_cndmask_b32 v38, v48, v38 :: v_dual_lshlrev_b32 v39, v39, v80
	s_delay_alu instid0(VALU_DEP_1) | instskip(NEXT) | instid1(VALU_DEP_2)
	v_and_b32_e32 v39, 3, v39
	v_lshl_add_u32 v38, v38, 23, 0x37800000
	s_delay_alu instid0(VALU_DEP_2) | instskip(SKIP_1) | instid1(VALU_DEP_2)
	v_cndmask_b32_e32 v37, v37, v39, vcc_lo
	v_and_b32_e32 v39, 0x80000000, v49
	v_lshlrev_b32_e32 v37, 21, v37
	s_delay_alu instid0(VALU_DEP_1)
	v_or3_b32 v37, v39, v38, v37
.LBB6_12158:                            ;   in Loop: Header=BB6_11312 Depth=3
	s_or_b32 exec_lo, exec_lo, s17
	s_waitcnt vmcnt(3) lgkmcnt(3)
	v_and_b32_e32 v39, 0xff, v162
	s_mov_b32 s13, 0
	s_mov_b32 s30, exec_lo
                                        ; implicit-def: $sgpr17
	s_delay_alu instid0(VALU_DEP_1)
	v_cmpx_lt_i16_e32 0x7f, v39
	s_xor_b32 s30, exec_lo, s30
	s_cbranch_execnz .LBB6_12575
; %bb.12159:                            ;   in Loop: Header=BB6_11312 Depth=3
	s_or_saveexec_b32 s30, s30
	v_mov_b32_e32 v38, s17
	s_xor_b32 exec_lo, exec_lo, s30
	s_cbranch_execnz .LBB6_12578
.LBB6_12160:                            ;   in Loop: Header=BB6_11312 Depth=3
	s_or_b32 exec_lo, exec_lo, s30
	s_and_saveexec_b32 s17, s13
	s_cbranch_execz .LBB6_12162
.LBB6_12161:                            ;   in Loop: Header=BB6_11312 Depth=3
	v_lshrrev_b16 v49, 2, v162
	v_lshlrev_b32_e32 v50, 24, v162
	s_delay_alu instid0(VALU_DEP_2) | instskip(NEXT) | instid1(VALU_DEP_1)
	v_and_b32_e32 v49, 31, v49
	v_cmp_eq_u32_e32 vcc_lo, 0, v49
	v_and_b32_e32 v38, 3, v162
	s_delay_alu instid0(VALU_DEP_1) | instskip(NEXT) | instid1(VALU_DEP_1)
	v_clz_i32_u32_e32 v39, v38
	v_min_u32_e32 v39, 32, v39
	s_delay_alu instid0(VALU_DEP_1) | instskip(SKIP_1) | instid1(VALU_DEP_1)
	v_subrev_nc_u32_e32 v48, 29, v39
	v_sub_nc_u32_e32 v39, 30, v39
	v_dual_cndmask_b32 v39, v49, v39 :: v_dual_lshlrev_b32 v48, v48, v162
	s_delay_alu instid0(VALU_DEP_1) | instskip(NEXT) | instid1(VALU_DEP_2)
	v_and_b32_e32 v48, 3, v48
	v_lshl_add_u32 v39, v39, 23, 0x37800000
	s_delay_alu instid0(VALU_DEP_2) | instskip(SKIP_1) | instid1(VALU_DEP_2)
	v_cndmask_b32_e32 v38, v38, v48, vcc_lo
	v_and_b32_e32 v48, 0x80000000, v50
	v_lshlrev_b32_e32 v38, 21, v38
	s_delay_alu instid0(VALU_DEP_1)
	v_or3_b32 v38, v48, v39, v38
.LBB6_12162:                            ;   in Loop: Header=BB6_11312 Depth=3
	s_or_b32 exec_lo, exec_lo, s17
	s_delay_alu instid0(VALU_DEP_1) | instskip(NEXT) | instid1(VALU_DEP_1)
	v_add_f32_e32 v38, v37, v38
	v_and_b32_e32 v37, 0x7f800000, v38
	s_delay_alu instid0(VALU_DEP_1)
	v_cmp_ne_u32_e32 vcc_lo, 0x7f800000, v37
	v_mov_b32_e32 v37, 0x80
	s_and_saveexec_b32 s17, vcc_lo
	s_cbranch_execz .LBB6_12170
; %bb.12163:                            ;   in Loop: Header=BB6_11312 Depth=3
	v_mov_b32_e32 v37, 0
	s_mov_b32 s30, exec_lo
	v_cmpx_ne_u32_e32 0, v38
	s_cbranch_execz .LBB6_12169
; %bb.12164:                            ;   in Loop: Header=BB6_11312 Depth=3
	v_bfe_u32 v37, v38, 23, 8
	s_delay_alu instid0(VALU_DEP_1) | instskip(SKIP_1) | instid1(VALU_DEP_2)
	v_sub_nc_u32_e32 v48, 0x70, v37
	v_cmp_gt_u32_e32 vcc_lo, 0x71, v37
	v_dual_cndmask_b32 v48, 0, v48 :: v_dual_and_b32 v39, 0x7fffff, v38
	s_delay_alu instid0(VALU_DEP_1) | instskip(SKIP_2) | instid1(VALU_DEP_4)
	v_or_b32_e32 v49, 0x800000, v39
	v_cmp_eq_u32_e32 vcc_lo, 0, v37
	v_add_nc_u32_e32 v37, 0xffffff91, v37
	v_cndmask_b32_e64 v48, v48, 0x6f, vcc_lo
	s_delay_alu instid0(VALU_DEP_2) | instskip(SKIP_1) | instid1(VALU_DEP_3)
	v_cndmask_b32_e64 v37, v37, 0xffffff92, vcc_lo
	v_cndmask_b32_e32 v39, v49, v39, vcc_lo
	v_lshl_add_u32 v49, 0x200000, v48, -1
	v_lshlrev_b32_e64 v53, v48, 0x100000
	s_delay_alu instid0(VALU_DEP_3) | instskip(SKIP_1) | instid1(VALU_DEP_4)
	v_lshrrev_b32_e32 v50, v48, v39
	v_add_nc_u32_e32 v48, v48, v37
	v_and_b32_e32 v39, v49, v39
	s_delay_alu instid0(VALU_DEP_3) | instskip(NEXT) | instid1(VALU_DEP_2)
	v_bfe_u32 v51, v50, 21, 1
	v_cmp_eq_u32_e64 s13, v39, v53
	s_delay_alu instid0(VALU_DEP_2) | instskip(NEXT) | instid1(VALU_DEP_1)
	v_add_nc_u32_e32 v49, -1, v51
	v_cndmask_b32_e64 v39, 0, v49, s13
	v_lshrrev_b32_e32 v49, 23, v50
	s_mov_b32 s13, exec_lo
	s_delay_alu instid0(VALU_DEP_2) | instskip(NEXT) | instid1(VALU_DEP_2)
	v_add_nc_u32_e32 v39, v39, v50
	v_xor_b32_e32 v49, 1, v49
	s_delay_alu instid0(VALU_DEP_2) | instskip(NEXT) | instid1(VALU_DEP_1)
	v_and_b32_e32 v37, 0x1fffff, v39
	v_add_nc_u32_e32 v39, v37, v50
                                        ; implicit-def: $vgpr37
	s_delay_alu instid0(VALU_DEP_3)
	v_cmpx_ne_u32_e64 v48, v49
	s_xor_b32 s13, exec_lo, s13
; %bb.12165:                            ;   in Loop: Header=BB6_11312 Depth=3
	s_delay_alu instid0(VALU_DEP_2) | instskip(SKIP_2) | instid1(VALU_DEP_2)
	v_cmp_lt_u32_e32 vcc_lo, 0xffffff, v39
	v_sub_nc_u32_e32 v37, v48, v49
	v_cndmask_b32_e64 v48, 0, 1, vcc_lo
	v_add_co_ci_u32_e32 v37, vcc_lo, 0, v37, vcc_lo
	s_delay_alu instid0(VALU_DEP_2)
	v_lshrrev_b32_e32 v39, v48, v39
; %bb.12166:                            ;   in Loop: Header=BB6_11312 Depth=3
	s_and_not1_saveexec_b32 s13, s13
; %bb.12167:                            ;   in Loop: Header=BB6_11312 Depth=3
	s_delay_alu instid0(VALU_DEP_1)
	v_bfe_u32 v37, v39, 23, 1
; %bb.12168:                            ;   in Loop: Header=BB6_11312 Depth=3
	s_or_b32 exec_lo, exec_lo, s13
	v_lshrrev_b32_e32 v39, 21, v39
	s_delay_alu instid0(VALU_DEP_2) | instskip(SKIP_2) | instid1(VALU_DEP_2)
	v_cmp_gt_i32_e32 vcc_lo, 32, v37
	v_lshrrev_b32_e32 v38, 24, v38
	v_min_i32_e32 v48, 31, v37
	v_dual_cndmask_b32 v39, 3, v39 :: v_dual_and_b32 v38, 0x80, v38
	s_delay_alu instid0(VALU_DEP_1) | instskip(SKIP_1) | instid1(VALU_DEP_2)
	v_or_b32_e32 v37, v37, v39
	v_and_b32_e32 v49, 3, v39
	v_cmp_ne_u32_e32 vcc_lo, 0, v37
	v_lshlrev_b32_e32 v48, 2, v48
	s_delay_alu instid0(VALU_DEP_1) | instskip(NEXT) | instid1(VALU_DEP_1)
	v_or3_b32 v38, v48, v38, v49
	v_cndmask_b32_e32 v37, 0, v38, vcc_lo
.LBB6_12169:                            ;   in Loop: Header=BB6_11312 Depth=3
	s_or_b32 exec_lo, exec_lo, s30
.LBB6_12170:                            ;   in Loop: Header=BB6_11312 Depth=3
	s_delay_alu instid0(SALU_CYCLE_1) | instskip(SKIP_3) | instid1(VALU_DEP_1)
	s_or_b32 exec_lo, exec_lo, s17
	v_and_b32_e32 v39, 0xff, v69
	s_mov_b32 s13, 0
	s_mov_b32 s30, exec_lo
                                        ; implicit-def: $sgpr17
	v_cmpx_lt_i16_e32 0x7f, v39
	s_xor_b32 s30, exec_lo, s30
	s_cbranch_execnz .LBB6_12579
; %bb.12171:                            ;   in Loop: Header=BB6_11312 Depth=3
	s_or_saveexec_b32 s30, s30
	v_mov_b32_e32 v38, s17
	s_xor_b32 exec_lo, exec_lo, s30
	s_cbranch_execnz .LBB6_12582
.LBB6_12172:                            ;   in Loop: Header=BB6_11312 Depth=3
	s_or_b32 exec_lo, exec_lo, s30
	s_and_saveexec_b32 s17, s13
	s_cbranch_execz .LBB6_12174
.LBB6_12173:                            ;   in Loop: Header=BB6_11312 Depth=3
	v_lshrrev_b16 v49, 2, v69
	v_lshlrev_b32_e32 v50, 24, v69
	s_delay_alu instid0(VALU_DEP_2) | instskip(NEXT) | instid1(VALU_DEP_1)
	v_and_b32_e32 v49, 31, v49
	v_cmp_eq_u32_e32 vcc_lo, 0, v49
	v_and_b32_e32 v38, 3, v69
	s_delay_alu instid0(VALU_DEP_1) | instskip(NEXT) | instid1(VALU_DEP_1)
	v_clz_i32_u32_e32 v39, v38
	v_min_u32_e32 v39, 32, v39
	s_delay_alu instid0(VALU_DEP_1) | instskip(SKIP_1) | instid1(VALU_DEP_1)
	v_subrev_nc_u32_e32 v48, 29, v39
	v_sub_nc_u32_e32 v39, 30, v39
	v_dual_cndmask_b32 v39, v49, v39 :: v_dual_lshlrev_b32 v48, v48, v69
	s_delay_alu instid0(VALU_DEP_1) | instskip(NEXT) | instid1(VALU_DEP_2)
	v_and_b32_e32 v48, 3, v48
	v_lshl_add_u32 v39, v39, 23, 0x37800000
	s_delay_alu instid0(VALU_DEP_2) | instskip(SKIP_1) | instid1(VALU_DEP_2)
	v_cndmask_b32_e32 v38, v38, v48, vcc_lo
	v_and_b32_e32 v48, 0x80000000, v50
	v_lshlrev_b32_e32 v38, 21, v38
	s_delay_alu instid0(VALU_DEP_1)
	v_or3_b32 v38, v48, v39, v38
.LBB6_12174:                            ;   in Loop: Header=BB6_11312 Depth=3
	s_or_b32 exec_lo, exec_lo, s17
	s_waitcnt vmcnt(2) lgkmcnt(2)
	v_and_b32_e32 v48, 0xff, v84
	s_mov_b32 s13, 0
	s_mov_b32 s30, exec_lo
                                        ; implicit-def: $sgpr17
	s_delay_alu instid0(VALU_DEP_1)
	v_cmpx_lt_i16_e32 0x7f, v48
	s_xor_b32 s30, exec_lo, s30
	s_cbranch_execnz .LBB6_12583
; %bb.12175:                            ;   in Loop: Header=BB6_11312 Depth=3
	s_or_saveexec_b32 s30, s30
	v_mov_b32_e32 v39, s17
	s_xor_b32 exec_lo, exec_lo, s30
	s_cbranch_execnz .LBB6_12586
.LBB6_12176:                            ;   in Loop: Header=BB6_11312 Depth=3
	s_or_b32 exec_lo, exec_lo, s30
	s_and_saveexec_b32 s17, s13
	s_cbranch_execz .LBB6_12178
.LBB6_12177:                            ;   in Loop: Header=BB6_11312 Depth=3
	v_and_b32_e32 v39, 3, v84
	v_lshrrev_b16 v50, 2, v84
	v_lshlrev_b32_e32 v51, 24, v84
	s_delay_alu instid0(VALU_DEP_3) | instskip(NEXT) | instid1(VALU_DEP_1)
	v_clz_i32_u32_e32 v48, v39
	v_min_u32_e32 v48, 32, v48
	s_delay_alu instid0(VALU_DEP_1) | instskip(SKIP_1) | instid1(VALU_DEP_2)
	v_subrev_nc_u32_e32 v49, 29, v48
	v_sub_nc_u32_e32 v48, 30, v48
	v_lshlrev_b32_e32 v49, v49, v84
	s_delay_alu instid0(VALU_DEP_1) | instskip(SKIP_1) | instid1(VALU_DEP_1)
	v_and_b32_e32 v49, 3, v49
	v_and_b32_e32 v50, 31, v50
	v_cmp_eq_u32_e32 vcc_lo, 0, v50
	s_delay_alu instid0(VALU_DEP_3) | instskip(SKIP_1) | instid1(VALU_DEP_2)
	v_dual_cndmask_b32 v39, v39, v49 :: v_dual_cndmask_b32 v48, v50, v48
	v_and_b32_e32 v49, 0x80000000, v51
	v_lshlrev_b32_e32 v39, 21, v39
	s_delay_alu instid0(VALU_DEP_3) | instskip(NEXT) | instid1(VALU_DEP_1)
	v_lshl_add_u32 v48, v48, 23, 0x37800000
	v_or3_b32 v39, v49, v48, v39
.LBB6_12178:                            ;   in Loop: Header=BB6_11312 Depth=3
	s_or_b32 exec_lo, exec_lo, s17
	s_delay_alu instid0(VALU_DEP_1) | instskip(NEXT) | instid1(VALU_DEP_1)
	v_add_f32_e32 v39, v38, v39
	v_and_b32_e32 v38, 0x7f800000, v39
	s_delay_alu instid0(VALU_DEP_1)
	v_cmp_ne_u32_e32 vcc_lo, 0x7f800000, v38
	v_mov_b32_e32 v38, 0x80
	s_and_saveexec_b32 s17, vcc_lo
	s_cbranch_execz .LBB6_12186
; %bb.12179:                            ;   in Loop: Header=BB6_11312 Depth=3
	v_mov_b32_e32 v38, 0
	s_mov_b32 s30, exec_lo
	v_cmpx_ne_u32_e32 0, v39
	s_cbranch_execz .LBB6_12185
; %bb.12180:                            ;   in Loop: Header=BB6_11312 Depth=3
	v_bfe_u32 v38, v39, 23, 8
	s_delay_alu instid0(VALU_DEP_1) | instskip(SKIP_1) | instid1(VALU_DEP_2)
	v_sub_nc_u32_e32 v49, 0x70, v38
	v_cmp_gt_u32_e32 vcc_lo, 0x71, v38
	v_dual_cndmask_b32 v49, 0, v49 :: v_dual_and_b32 v48, 0x7fffff, v39
	s_delay_alu instid0(VALU_DEP_1) | instskip(SKIP_2) | instid1(VALU_DEP_4)
	v_or_b32_e32 v50, 0x800000, v48
	v_cmp_eq_u32_e32 vcc_lo, 0, v38
	v_add_nc_u32_e32 v38, 0xffffff91, v38
	v_cndmask_b32_e64 v49, v49, 0x6f, vcc_lo
	s_delay_alu instid0(VALU_DEP_4) | instskip(NEXT) | instid1(VALU_DEP_3)
	v_cndmask_b32_e32 v48, v50, v48, vcc_lo
	v_cndmask_b32_e64 v38, v38, 0xffffff92, vcc_lo
	s_delay_alu instid0(VALU_DEP_3) | instskip(NEXT) | instid1(VALU_DEP_3)
	v_lshl_add_u32 v51, 0x200000, v49, -1
	v_lshrrev_b32_e32 v50, v49, v48
	v_lshlrev_b32_e64 v54, v49, 0x100000
	s_delay_alu instid0(VALU_DEP_4) | instskip(NEXT) | instid1(VALU_DEP_4)
	v_add_nc_u32_e32 v49, v49, v38
	v_and_b32_e32 v48, v51, v48
	s_delay_alu instid0(VALU_DEP_4) | instskip(NEXT) | instid1(VALU_DEP_2)
	v_bfe_u32 v53, v50, 21, 1
	v_cmp_eq_u32_e64 s13, v48, v54
	s_delay_alu instid0(VALU_DEP_2) | instskip(NEXT) | instid1(VALU_DEP_1)
	v_add_nc_u32_e32 v51, -1, v53
	v_cndmask_b32_e64 v48, 0, v51, s13
	v_lshrrev_b32_e32 v51, 23, v50
	s_mov_b32 s13, exec_lo
	s_delay_alu instid0(VALU_DEP_2) | instskip(NEXT) | instid1(VALU_DEP_2)
	v_add_nc_u32_e32 v48, v48, v50
	v_xor_b32_e32 v53, 1, v51
	s_delay_alu instid0(VALU_DEP_2) | instskip(NEXT) | instid1(VALU_DEP_1)
	v_and_b32_e32 v38, 0x1fffff, v48
	v_add_nc_u32_e32 v48, v38, v50
                                        ; implicit-def: $vgpr38
	s_delay_alu instid0(VALU_DEP_3)
	v_cmpx_ne_u32_e64 v49, v53
	s_xor_b32 s13, exec_lo, s13
; %bb.12181:                            ;   in Loop: Header=BB6_11312 Depth=3
	s_delay_alu instid0(VALU_DEP_2) | instskip(SKIP_2) | instid1(VALU_DEP_2)
	v_cmp_lt_u32_e32 vcc_lo, 0xffffff, v48
	v_sub_nc_u32_e32 v38, v49, v53
	v_cndmask_b32_e64 v49, 0, 1, vcc_lo
	v_add_co_ci_u32_e32 v38, vcc_lo, 0, v38, vcc_lo
	s_delay_alu instid0(VALU_DEP_2)
	v_lshrrev_b32_e32 v48, v49, v48
; %bb.12182:                            ;   in Loop: Header=BB6_11312 Depth=3
	s_and_not1_saveexec_b32 s13, s13
; %bb.12183:                            ;   in Loop: Header=BB6_11312 Depth=3
	s_delay_alu instid0(VALU_DEP_1)
	v_bfe_u32 v38, v48, 23, 1
; %bb.12184:                            ;   in Loop: Header=BB6_11312 Depth=3
	s_or_b32 exec_lo, exec_lo, s13
	v_lshrrev_b32_e32 v48, 21, v48
	s_delay_alu instid0(VALU_DEP_2) | instskip(SKIP_2) | instid1(VALU_DEP_2)
	v_cmp_gt_i32_e32 vcc_lo, 32, v38
	v_lshrrev_b32_e32 v39, 24, v39
	v_min_i32_e32 v49, 31, v38
	v_dual_cndmask_b32 v48, 3, v48 :: v_dual_and_b32 v39, 0x80, v39
	s_delay_alu instid0(VALU_DEP_1) | instskip(SKIP_1) | instid1(VALU_DEP_2)
	v_or_b32_e32 v38, v38, v48
	v_and_b32_e32 v50, 3, v48
	v_cmp_ne_u32_e32 vcc_lo, 0, v38
	v_lshlrev_b32_e32 v49, 2, v49
	s_delay_alu instid0(VALU_DEP_1) | instskip(NEXT) | instid1(VALU_DEP_1)
	v_or3_b32 v39, v49, v39, v50
	v_cndmask_b32_e32 v38, 0, v39, vcc_lo
.LBB6_12185:                            ;   in Loop: Header=BB6_11312 Depth=3
	s_or_b32 exec_lo, exec_lo, s30
.LBB6_12186:                            ;   in Loop: Header=BB6_11312 Depth=3
	s_delay_alu instid0(SALU_CYCLE_1) | instskip(SKIP_3) | instid1(VALU_DEP_1)
	s_or_b32 exec_lo, exec_lo, s17
	v_and_b32_e32 v48, 0xff, v23
	s_mov_b32 s13, 0
	s_mov_b32 s30, exec_lo
                                        ; implicit-def: $sgpr17
	v_cmpx_lt_i16_e32 0x7f, v48
	s_xor_b32 s30, exec_lo, s30
	s_cbranch_execnz .LBB6_12587
; %bb.12187:                            ;   in Loop: Header=BB6_11312 Depth=3
	s_or_saveexec_b32 s30, s30
	v_mov_b32_e32 v39, s17
	s_xor_b32 exec_lo, exec_lo, s30
	s_cbranch_execnz .LBB6_12590
.LBB6_12188:                            ;   in Loop: Header=BB6_11312 Depth=3
	s_or_b32 exec_lo, exec_lo, s30
	s_and_saveexec_b32 s17, s13
	s_cbranch_execz .LBB6_12190
.LBB6_12189:                            ;   in Loop: Header=BB6_11312 Depth=3
	v_lshrrev_b16 v50, 2, v23
	s_delay_alu instid0(VALU_DEP_1) | instskip(NEXT) | instid1(VALU_DEP_1)
	v_and_b32_e32 v50, 31, v50
	v_cmp_eq_u32_e32 vcc_lo, 0, v50
	v_and_b32_e32 v39, 3, v23
	s_delay_alu instid0(VALU_DEP_1) | instskip(NEXT) | instid1(VALU_DEP_1)
	v_clz_i32_u32_e32 v48, v39
	v_min_u32_e32 v48, 32, v48
	s_delay_alu instid0(VALU_DEP_1) | instskip(SKIP_1) | instid1(VALU_DEP_1)
	v_subrev_nc_u32_e32 v49, 29, v48
	v_sub_nc_u32_e32 v48, 30, v48
	v_dual_cndmask_b32 v48, v50, v48 :: v_dual_lshlrev_b32 v49, v49, v23
	v_lshlrev_b32_e32 v23, 24, v23
	s_delay_alu instid0(VALU_DEP_2) | instskip(NEXT) | instid1(VALU_DEP_3)
	v_and_b32_e32 v49, 3, v49
	v_lshl_add_u32 v48, v48, 23, 0x37800000
	s_delay_alu instid0(VALU_DEP_3) | instskip(NEXT) | instid1(VALU_DEP_3)
	v_and_b32_e32 v23, 0x80000000, v23
	v_cndmask_b32_e32 v39, v39, v49, vcc_lo
	s_delay_alu instid0(VALU_DEP_1) | instskip(NEXT) | instid1(VALU_DEP_1)
	v_lshlrev_b32_e32 v39, 21, v39
	v_or3_b32 v39, v23, v48, v39
.LBB6_12190:                            ;   in Loop: Header=BB6_11312 Depth=3
	s_or_b32 exec_lo, exec_lo, s17
	s_waitcnt vmcnt(1) lgkmcnt(1)
	v_and_b32_e32 v48, 0xff, v70
	s_mov_b32 s13, 0
	s_mov_b32 s30, exec_lo
                                        ; implicit-def: $sgpr17
	s_delay_alu instid0(VALU_DEP_1)
	v_cmpx_lt_i16_e32 0x7f, v48
	s_xor_b32 s30, exec_lo, s30
	s_cbranch_execnz .LBB6_12591
; %bb.12191:                            ;   in Loop: Header=BB6_11312 Depth=3
	s_or_saveexec_b32 s30, s30
	v_mov_b32_e32 v23, s17
	s_xor_b32 exec_lo, exec_lo, s30
	s_cbranch_execnz .LBB6_12594
.LBB6_12192:                            ;   in Loop: Header=BB6_11312 Depth=3
	s_or_b32 exec_lo, exec_lo, s30
	s_and_saveexec_b32 s17, s13
	s_cbranch_execz .LBB6_12194
.LBB6_12193:                            ;   in Loop: Header=BB6_11312 Depth=3
	v_lshrrev_b16 v50, 2, v70
	v_lshlrev_b32_e32 v51, 24, v70
	s_delay_alu instid0(VALU_DEP_2) | instskip(NEXT) | instid1(VALU_DEP_1)
	v_and_b32_e32 v50, 31, v50
	v_cmp_eq_u32_e32 vcc_lo, 0, v50
	v_and_b32_e32 v23, 3, v70
	s_delay_alu instid0(VALU_DEP_1) | instskip(NEXT) | instid1(VALU_DEP_1)
	v_clz_i32_u32_e32 v48, v23
	v_min_u32_e32 v48, 32, v48
	s_delay_alu instid0(VALU_DEP_1) | instskip(SKIP_1) | instid1(VALU_DEP_1)
	v_subrev_nc_u32_e32 v49, 29, v48
	v_sub_nc_u32_e32 v48, 30, v48
	v_dual_cndmask_b32 v48, v50, v48 :: v_dual_lshlrev_b32 v49, v49, v70
	s_delay_alu instid0(VALU_DEP_1) | instskip(NEXT) | instid1(VALU_DEP_2)
	v_and_b32_e32 v49, 3, v49
	v_lshl_add_u32 v48, v48, 23, 0x37800000
	s_delay_alu instid0(VALU_DEP_2) | instskip(SKIP_1) | instid1(VALU_DEP_2)
	v_cndmask_b32_e32 v23, v23, v49, vcc_lo
	v_and_b32_e32 v49, 0x80000000, v51
	v_lshlrev_b32_e32 v23, 21, v23
	s_delay_alu instid0(VALU_DEP_1)
	v_or3_b32 v23, v49, v48, v23
.LBB6_12194:                            ;   in Loop: Header=BB6_11312 Depth=3
	s_or_b32 exec_lo, exec_lo, s17
	s_delay_alu instid0(VALU_DEP_1) | instskip(NEXT) | instid1(VALU_DEP_1)
	v_add_f32_e32 v39, v39, v23
	v_and_b32_e32 v23, 0x7f800000, v39
	s_delay_alu instid0(VALU_DEP_1)
	v_cmp_ne_u32_e32 vcc_lo, 0x7f800000, v23
	v_mov_b32_e32 v23, 0x80
	s_and_saveexec_b32 s17, vcc_lo
	s_cbranch_execz .LBB6_12202
; %bb.12195:                            ;   in Loop: Header=BB6_11312 Depth=3
	v_mov_b32_e32 v23, 0
	s_mov_b32 s30, exec_lo
	v_cmpx_ne_u32_e32 0, v39
	s_cbranch_execz .LBB6_12201
; %bb.12196:                            ;   in Loop: Header=BB6_11312 Depth=3
	v_bfe_u32 v23, v39, 23, 8
	s_delay_alu instid0(VALU_DEP_1) | instskip(SKIP_1) | instid1(VALU_DEP_2)
	v_sub_nc_u32_e32 v49, 0x70, v23
	v_cmp_gt_u32_e32 vcc_lo, 0x71, v23
	v_dual_cndmask_b32 v49, 0, v49 :: v_dual_and_b32 v48, 0x7fffff, v39
	s_delay_alu instid0(VALU_DEP_1) | instskip(SKIP_2) | instid1(VALU_DEP_4)
	v_or_b32_e32 v50, 0x800000, v48
	v_cmp_eq_u32_e32 vcc_lo, 0, v23
	v_add_nc_u32_e32 v23, 0xffffff91, v23
	v_cndmask_b32_e64 v49, v49, 0x6f, vcc_lo
	s_delay_alu instid0(VALU_DEP_4) | instskip(NEXT) | instid1(VALU_DEP_3)
	v_cndmask_b32_e32 v48, v50, v48, vcc_lo
	v_cndmask_b32_e64 v23, v23, 0xffffff92, vcc_lo
	s_delay_alu instid0(VALU_DEP_3) | instskip(NEXT) | instid1(VALU_DEP_3)
	v_lshl_add_u32 v51, 0x200000, v49, -1
	v_lshrrev_b32_e32 v50, v49, v48
	v_lshlrev_b32_e64 v54, v49, 0x100000
	s_delay_alu instid0(VALU_DEP_4) | instskip(NEXT) | instid1(VALU_DEP_4)
	v_add_nc_u32_e32 v49, v49, v23
	v_and_b32_e32 v48, v51, v48
	s_delay_alu instid0(VALU_DEP_4) | instskip(NEXT) | instid1(VALU_DEP_2)
	v_bfe_u32 v53, v50, 21, 1
	v_cmp_eq_u32_e64 s13, v48, v54
	s_delay_alu instid0(VALU_DEP_2) | instskip(NEXT) | instid1(VALU_DEP_1)
	v_add_nc_u32_e32 v51, -1, v53
	v_cndmask_b32_e64 v48, 0, v51, s13
	v_lshrrev_b32_e32 v51, 23, v50
	s_mov_b32 s13, exec_lo
	s_delay_alu instid0(VALU_DEP_2) | instskip(NEXT) | instid1(VALU_DEP_2)
	v_add_nc_u32_e32 v48, v48, v50
	v_xor_b32_e32 v53, 1, v51
	s_delay_alu instid0(VALU_DEP_2) | instskip(NEXT) | instid1(VALU_DEP_1)
	v_and_b32_e32 v23, 0x1fffff, v48
	v_add_nc_u32_e32 v48, v23, v50
                                        ; implicit-def: $vgpr23
	s_delay_alu instid0(VALU_DEP_3)
	v_cmpx_ne_u32_e64 v49, v53
	s_xor_b32 s13, exec_lo, s13
; %bb.12197:                            ;   in Loop: Header=BB6_11312 Depth=3
	s_delay_alu instid0(VALU_DEP_2) | instskip(SKIP_2) | instid1(VALU_DEP_2)
	v_cmp_lt_u32_e32 vcc_lo, 0xffffff, v48
	v_sub_nc_u32_e32 v23, v49, v53
	v_cndmask_b32_e64 v49, 0, 1, vcc_lo
	v_add_co_ci_u32_e32 v23, vcc_lo, 0, v23, vcc_lo
	s_delay_alu instid0(VALU_DEP_2)
	v_lshrrev_b32_e32 v48, v49, v48
; %bb.12198:                            ;   in Loop: Header=BB6_11312 Depth=3
	s_and_not1_saveexec_b32 s13, s13
; %bb.12199:                            ;   in Loop: Header=BB6_11312 Depth=3
	s_delay_alu instid0(VALU_DEP_1)
	v_bfe_u32 v23, v48, 23, 1
; %bb.12200:                            ;   in Loop: Header=BB6_11312 Depth=3
	s_or_b32 exec_lo, exec_lo, s13
	v_lshrrev_b32_e32 v48, 21, v48
	s_delay_alu instid0(VALU_DEP_2) | instskip(SKIP_2) | instid1(VALU_DEP_2)
	v_cmp_gt_i32_e32 vcc_lo, 32, v23
	v_lshrrev_b32_e32 v39, 24, v39
	v_min_i32_e32 v49, 31, v23
	v_dual_cndmask_b32 v48, 3, v48 :: v_dual_and_b32 v39, 0x80, v39
	s_delay_alu instid0(VALU_DEP_2) | instskip(NEXT) | instid1(VALU_DEP_2)
	v_lshlrev_b32_e32 v49, 2, v49
	v_or_b32_e32 v23, v23, v48
	s_delay_alu instid0(VALU_DEP_1) | instskip(SKIP_1) | instid1(VALU_DEP_1)
	v_cmp_ne_u32_e32 vcc_lo, 0, v23
	v_and_b32_e32 v50, 3, v48
	v_or3_b32 v39, v49, v39, v50
	s_delay_alu instid0(VALU_DEP_1)
	v_cndmask_b32_e32 v23, 0, v39, vcc_lo
.LBB6_12201:                            ;   in Loop: Header=BB6_11312 Depth=3
	s_or_b32 exec_lo, exec_lo, s30
.LBB6_12202:                            ;   in Loop: Header=BB6_11312 Depth=3
	s_delay_alu instid0(SALU_CYCLE_1) | instskip(SKIP_3) | instid1(VALU_DEP_1)
	s_or_b32 exec_lo, exec_lo, s17
	v_and_b32_e32 v48, 0xff, v17
	s_mov_b32 s13, 0
	s_mov_b32 s30, exec_lo
                                        ; implicit-def: $sgpr17
	v_cmpx_lt_i16_e32 0x7f, v48
	s_xor_b32 s30, exec_lo, s30
	s_cbranch_execnz .LBB6_12595
; %bb.12203:                            ;   in Loop: Header=BB6_11312 Depth=3
	s_or_saveexec_b32 s30, s30
	v_mov_b32_e32 v39, s17
	s_xor_b32 exec_lo, exec_lo, s30
	s_cbranch_execnz .LBB6_12598
.LBB6_12204:                            ;   in Loop: Header=BB6_11312 Depth=3
	s_or_b32 exec_lo, exec_lo, s30
	s_and_saveexec_b32 s17, s13
	s_cbranch_execz .LBB6_12206
.LBB6_12205:                            ;   in Loop: Header=BB6_11312 Depth=3
	v_lshrrev_b16 v50, 2, v17
	s_delay_alu instid0(VALU_DEP_1) | instskip(NEXT) | instid1(VALU_DEP_1)
	v_and_b32_e32 v50, 31, v50
	v_cmp_eq_u32_e32 vcc_lo, 0, v50
	v_and_b32_e32 v39, 3, v17
	s_delay_alu instid0(VALU_DEP_1) | instskip(NEXT) | instid1(VALU_DEP_1)
	v_clz_i32_u32_e32 v48, v39
	v_min_u32_e32 v48, 32, v48
	s_delay_alu instid0(VALU_DEP_1) | instskip(SKIP_1) | instid1(VALU_DEP_1)
	v_subrev_nc_u32_e32 v49, 29, v48
	v_sub_nc_u32_e32 v48, 30, v48
	v_dual_cndmask_b32 v48, v50, v48 :: v_dual_lshlrev_b32 v49, v49, v17
	v_lshlrev_b32_e32 v17, 24, v17
	s_delay_alu instid0(VALU_DEP_2) | instskip(NEXT) | instid1(VALU_DEP_3)
	v_and_b32_e32 v49, 3, v49
	v_lshl_add_u32 v48, v48, 23, 0x37800000
	s_delay_alu instid0(VALU_DEP_3) | instskip(NEXT) | instid1(VALU_DEP_3)
	v_and_b32_e32 v17, 0x80000000, v17
	v_cndmask_b32_e32 v39, v39, v49, vcc_lo
	s_delay_alu instid0(VALU_DEP_1) | instskip(NEXT) | instid1(VALU_DEP_1)
	v_lshlrev_b32_e32 v39, 21, v39
	v_or3_b32 v39, v17, v48, v39
.LBB6_12206:                            ;   in Loop: Header=BB6_11312 Depth=3
	s_or_b32 exec_lo, exec_lo, s17
	s_waitcnt vmcnt(0) lgkmcnt(0)
	v_and_b32_e32 v48, 0xff, v16
	s_mov_b32 s13, 0
	s_mov_b32 s30, exec_lo
                                        ; implicit-def: $sgpr17
	s_delay_alu instid0(VALU_DEP_1)
	v_cmpx_lt_i16_e32 0x7f, v48
	s_xor_b32 s30, exec_lo, s30
	s_cbranch_execnz .LBB6_12599
; %bb.12207:                            ;   in Loop: Header=BB6_11312 Depth=3
	s_or_saveexec_b32 s30, s30
	v_mov_b32_e32 v17, s17
	s_xor_b32 exec_lo, exec_lo, s30
	s_cbranch_execnz .LBB6_12602
.LBB6_12208:                            ;   in Loop: Header=BB6_11312 Depth=3
	s_or_b32 exec_lo, exec_lo, s30
	s_and_saveexec_b32 s17, s13
	s_cbranch_execz .LBB6_12210
.LBB6_12209:                            ;   in Loop: Header=BB6_11312 Depth=3
	v_and_b32_e32 v17, 3, v16
	v_lshrrev_b16 v50, 2, v16
	s_delay_alu instid0(VALU_DEP_2) | instskip(NEXT) | instid1(VALU_DEP_1)
	v_clz_i32_u32_e32 v48, v17
	v_min_u32_e32 v48, 32, v48
	s_delay_alu instid0(VALU_DEP_1) | instskip(SKIP_1) | instid1(VALU_DEP_2)
	v_subrev_nc_u32_e32 v49, 29, v48
	v_sub_nc_u32_e32 v48, 30, v48
	v_lshlrev_b32_e32 v49, v49, v16
	v_lshlrev_b32_e32 v16, 24, v16
	s_delay_alu instid0(VALU_DEP_2) | instskip(SKIP_1) | instid1(VALU_DEP_3)
	v_and_b32_e32 v49, 3, v49
	v_and_b32_e32 v50, 31, v50
	;; [unrolled: 1-line block ×3, first 2 shown]
	s_delay_alu instid0(VALU_DEP_2) | instskip(NEXT) | instid1(VALU_DEP_4)
	v_cmp_eq_u32_e32 vcc_lo, 0, v50
	v_dual_cndmask_b32 v17, v17, v49 :: v_dual_cndmask_b32 v48, v50, v48
	s_delay_alu instid0(VALU_DEP_1) | instskip(NEXT) | instid1(VALU_DEP_2)
	v_lshlrev_b32_e32 v17, 21, v17
	v_lshl_add_u32 v48, v48, 23, 0x37800000
	s_delay_alu instid0(VALU_DEP_1)
	v_or3_b32 v17, v16, v48, v17
.LBB6_12210:                            ;   in Loop: Header=BB6_11312 Depth=3
	s_or_b32 exec_lo, exec_lo, s17
	s_delay_alu instid0(VALU_DEP_1) | instskip(NEXT) | instid1(VALU_DEP_1)
	v_add_f32_e32 v16, v39, v17
	v_and_b32_e32 v17, 0x7f800000, v16
	s_delay_alu instid0(VALU_DEP_1)
	v_cmp_ne_u32_e32 vcc_lo, 0x7f800000, v17
	v_mov_b32_e32 v17, 0x80
	s_and_saveexec_b32 s17, vcc_lo
	s_cbranch_execz .LBB6_12218
; %bb.12211:                            ;   in Loop: Header=BB6_11312 Depth=3
	v_mov_b32_e32 v17, 0
	s_mov_b32 s30, exec_lo
	v_cmpx_ne_u32_e32 0, v16
	s_cbranch_execz .LBB6_12217
; %bb.12212:                            ;   in Loop: Header=BB6_11312 Depth=3
	v_bfe_u32 v17, v16, 23, 8
	v_and_b32_e32 v39, 0x7fffff, v16
	s_delay_alu instid0(VALU_DEP_2) | instskip(SKIP_1) | instid1(VALU_DEP_3)
	v_sub_nc_u32_e32 v48, 0x70, v17
	v_cmp_gt_u32_e32 vcc_lo, 0x71, v17
	v_or_b32_e32 v49, 0x800000, v39
	s_delay_alu instid0(VALU_DEP_3) | instskip(SKIP_2) | instid1(VALU_DEP_4)
	v_cndmask_b32_e32 v48, 0, v48, vcc_lo
	v_cmp_eq_u32_e32 vcc_lo, 0, v17
	v_add_nc_u32_e32 v17, 0xffffff91, v17
	v_cndmask_b32_e32 v39, v49, v39, vcc_lo
	s_delay_alu instid0(VALU_DEP_4) | instskip(NEXT) | instid1(VALU_DEP_3)
	v_cndmask_b32_e64 v48, v48, 0x6f, vcc_lo
	v_cndmask_b32_e64 v17, v17, 0xffffff92, vcc_lo
	s_delay_alu instid0(VALU_DEP_2) | instskip(SKIP_2) | instid1(VALU_DEP_4)
	v_lshrrev_b32_e32 v50, v48, v39
	v_lshl_add_u32 v49, 0x200000, v48, -1
	v_lshlrev_b32_e64 v53, v48, 0x100000
	v_add_nc_u32_e32 v48, v48, v17
	s_delay_alu instid0(VALU_DEP_4) | instskip(NEXT) | instid1(VALU_DEP_4)
	v_bfe_u32 v51, v50, 21, 1
	v_and_b32_e32 v39, v49, v39
	s_delay_alu instid0(VALU_DEP_2) | instskip(NEXT) | instid1(VALU_DEP_2)
	v_add_nc_u32_e32 v49, -1, v51
	v_cmp_eq_u32_e64 s13, v39, v53
	s_delay_alu instid0(VALU_DEP_1) | instskip(SKIP_2) | instid1(VALU_DEP_2)
	v_cndmask_b32_e64 v39, 0, v49, s13
	v_lshrrev_b32_e32 v49, 23, v50
	s_mov_b32 s13, exec_lo
	v_add_nc_u32_e32 v39, v39, v50
	s_delay_alu instid0(VALU_DEP_2) | instskip(NEXT) | instid1(VALU_DEP_2)
	v_xor_b32_e32 v49, 1, v49
	v_and_b32_e32 v17, 0x1fffff, v39
	s_delay_alu instid0(VALU_DEP_1) | instskip(NEXT) | instid1(VALU_DEP_3)
	v_add_nc_u32_e32 v39, v17, v50
                                        ; implicit-def: $vgpr17
	v_cmpx_ne_u32_e64 v48, v49
	s_xor_b32 s13, exec_lo, s13
; %bb.12213:                            ;   in Loop: Header=BB6_11312 Depth=3
	s_delay_alu instid0(VALU_DEP_2) | instskip(SKIP_2) | instid1(VALU_DEP_2)
	v_cmp_lt_u32_e32 vcc_lo, 0xffffff, v39
	v_sub_nc_u32_e32 v17, v48, v49
	v_cndmask_b32_e64 v48, 0, 1, vcc_lo
	v_add_co_ci_u32_e32 v17, vcc_lo, 0, v17, vcc_lo
	s_delay_alu instid0(VALU_DEP_2)
	v_lshrrev_b32_e32 v39, v48, v39
; %bb.12214:                            ;   in Loop: Header=BB6_11312 Depth=3
	s_and_not1_saveexec_b32 s13, s13
; %bb.12215:                            ;   in Loop: Header=BB6_11312 Depth=3
	s_delay_alu instid0(VALU_DEP_1)
	v_bfe_u32 v17, v39, 23, 1
; %bb.12216:                            ;   in Loop: Header=BB6_11312 Depth=3
	s_or_b32 exec_lo, exec_lo, s13
	v_lshrrev_b32_e32 v39, 21, v39
	s_delay_alu instid0(VALU_DEP_2) | instskip(SKIP_2) | instid1(VALU_DEP_2)
	v_cmp_gt_i32_e32 vcc_lo, 32, v17
	v_lshrrev_b32_e32 v16, 24, v16
	v_min_i32_e32 v48, 31, v17
	v_dual_cndmask_b32 v39, 3, v39 :: v_dual_and_b32 v16, 0x80, v16
	s_delay_alu instid0(VALU_DEP_2) | instskip(NEXT) | instid1(VALU_DEP_2)
	v_lshlrev_b32_e32 v48, 2, v48
	v_and_b32_e32 v49, 3, v39
	v_or_b32_e32 v17, v17, v39
	s_delay_alu instid0(VALU_DEP_2) | instskip(NEXT) | instid1(VALU_DEP_2)
	v_or3_b32 v16, v48, v16, v49
	v_cmp_ne_u32_e32 vcc_lo, 0, v17
	s_delay_alu instid0(VALU_DEP_2)
	v_cndmask_b32_e32 v17, 0, v16, vcc_lo
.LBB6_12217:                            ;   in Loop: Header=BB6_11312 Depth=3
	s_or_b32 exec_lo, exec_lo, s30
.LBB6_12218:                            ;   in Loop: Header=BB6_11312 Depth=3
	s_delay_alu instid0(SALU_CYCLE_1)
	s_or_b32 exec_lo, exec_lo, s17
	v_mov_b32_e32 v16, v175
	s_clause 0x1f
	flat_store_b8 v[12:13], v22 glc slc dlc
	flat_store_b8 v[12:13], v81 offset:32 glc slc dlc
	flat_store_b8 v[12:13], v160 offset:64 glc slc dlc
	;; [unrolled: 1-line block ×31, first 2 shown]
	s_clause 0x1f
	flat_store_b8 v[14:15], v22 glc slc dlc
	flat_store_b8 v[14:15], v81 offset:32 glc slc dlc
	flat_store_b8 v[14:15], v160 offset:64 glc slc dlc
	;; [unrolled: 1-line block ×31, first 2 shown]
	v_mov_b32_e32 v17, v184
	v_sub_nc_u32_e32 v2, v2, v97
	v_add_co_u32 v8, vcc_lo, v8, v16
	s_delay_alu instid0(VALU_DEP_3)
	v_add_co_ci_u32_e32 v9, vcc_lo, v9, v17, vcc_lo
	v_add_co_u32 v10, vcc_lo, v10, v16
	v_add_co_ci_u32_e32 v11, vcc_lo, v11, v17, vcc_lo
	v_add_co_u32 v12, vcc_lo, v12, v16
	v_add_co_ci_u32_e32 v13, vcc_lo, v13, v17, vcc_lo
	v_cmp_gt_i32_e32 vcc_lo, 1, v2
	v_add_co_u32 v14, s13, v14, v16
	s_delay_alu instid0(VALU_DEP_1) | instskip(SKIP_1) | instid1(SALU_CYCLE_1)
	v_add_co_ci_u32_e64 v15, s13, v15, v17, s13
	s_or_b32 s16, vcc_lo, s16
	s_and_not1_b32 exec_lo, exec_lo, s16
	s_cbranch_execnz .LBB6_11312
	s_branch .LBB6_12603
.LBB6_12219:                            ;   in Loop: Header=BB6_11312 Depth=3
	s_mov_b32 s13, -1
	s_mov_b32 s31, exec_lo
                                        ; implicit-def: $sgpr17
	v_cmpx_eq_u16_e32 0x80, v16
; %bb.12220:                            ;   in Loop: Header=BB6_11312 Depth=3
	s_mov_b32 s17, 0x7f800001
	s_xor_b32 s13, exec_lo, -1
; %bb.12221:                            ;   in Loop: Header=BB6_11312 Depth=3
	s_or_b32 exec_lo, exec_lo, s31
	s_delay_alu instid0(SALU_CYCLE_1)
	s_and_b32 s13, s13, exec_lo
	s_or_saveexec_b32 s30, s30
	v_mov_b32_e32 v22, s17
	s_xor_b32 exec_lo, exec_lo, s30
	s_cbranch_execz .LBB6_11324
.LBB6_12222:                            ;   in Loop: Header=BB6_11312 Depth=3
	v_cmp_ne_u16_e32 vcc_lo, 0, v16
	v_mov_b32_e32 v22, 0
	s_and_not1_b32 s13, s13, exec_lo
	s_and_b32 s17, vcc_lo, exec_lo
	s_delay_alu instid0(SALU_CYCLE_1)
	s_or_b32 s13, s13, s17
	s_or_b32 exec_lo, exec_lo, s30
	s_and_saveexec_b32 s17, s13
	s_cbranch_execnz .LBB6_11325
	s_branch .LBB6_11326
.LBB6_12223:                            ;   in Loop: Header=BB6_11312 Depth=3
	s_mov_b32 s13, -1
	s_mov_b32 s31, exec_lo
                                        ; implicit-def: $sgpr17
	v_cmpx_eq_u16_e32 0x80, v16
; %bb.12224:                            ;   in Loop: Header=BB6_11312 Depth=3
	s_mov_b32 s17, 0x7f800001
	s_xor_b32 s13, exec_lo, -1
; %bb.12225:                            ;   in Loop: Header=BB6_11312 Depth=3
	s_or_b32 exec_lo, exec_lo, s31
	s_delay_alu instid0(SALU_CYCLE_1)
	s_and_b32 s13, s13, exec_lo
	s_or_saveexec_b32 s30, s30
	v_mov_b32_e32 v23, s17
	s_xor_b32 exec_lo, exec_lo, s30
	s_cbranch_execz .LBB6_11336
.LBB6_12226:                            ;   in Loop: Header=BB6_11312 Depth=3
	v_cmp_ne_u16_e32 vcc_lo, 0, v16
	v_mov_b32_e32 v23, 0
	s_and_not1_b32 s13, s13, exec_lo
	s_and_b32 s17, vcc_lo, exec_lo
	s_delay_alu instid0(SALU_CYCLE_1)
	s_or_b32 s13, s13, s17
	s_or_b32 exec_lo, exec_lo, s30
	s_and_saveexec_b32 s17, s13
	s_cbranch_execnz .LBB6_11337
	s_branch .LBB6_11338
.LBB6_12227:                            ;   in Loop: Header=BB6_11312 Depth=3
	s_mov_b32 s13, -1
	s_mov_b32 s31, exec_lo
                                        ; implicit-def: $sgpr17
	v_cmpx_eq_u16_e32 0x80, v16
; %bb.12228:                            ;   in Loop: Header=BB6_11312 Depth=3
	s_mov_b32 s17, 0x7f800001
	s_xor_b32 s13, exec_lo, -1
; %bb.12229:                            ;   in Loop: Header=BB6_11312 Depth=3
	s_or_b32 exec_lo, exec_lo, s31
	s_delay_alu instid0(SALU_CYCLE_1)
	s_and_b32 s13, s13, exec_lo
	s_or_saveexec_b32 s30, s30
	v_mov_b32_e32 v23, s17
	s_xor_b32 exec_lo, exec_lo, s30
	s_cbranch_execz .LBB6_11348
.LBB6_12230:                            ;   in Loop: Header=BB6_11312 Depth=3
	v_cmp_ne_u16_e32 vcc_lo, 0, v16
	v_mov_b32_e32 v23, 0
	s_and_not1_b32 s13, s13, exec_lo
	s_and_b32 s17, vcc_lo, exec_lo
	s_delay_alu instid0(SALU_CYCLE_1)
	s_or_b32 s13, s13, s17
	s_or_b32 exec_lo, exec_lo, s30
	s_and_saveexec_b32 s17, s13
	s_cbranch_execnz .LBB6_11349
	s_branch .LBB6_11350
.LBB6_12231:                            ;   in Loop: Header=BB6_11312 Depth=3
	s_mov_b32 s13, -1
	s_mov_b32 s31, exec_lo
                                        ; implicit-def: $sgpr17
	v_cmpx_eq_u16_e32 0x80, v16
; %bb.12232:                            ;   in Loop: Header=BB6_11312 Depth=3
	s_mov_b32 s17, 0x7f800001
	s_xor_b32 s13, exec_lo, -1
; %bb.12233:                            ;   in Loop: Header=BB6_11312 Depth=3
	s_or_b32 exec_lo, exec_lo, s31
	s_delay_alu instid0(SALU_CYCLE_1)
	s_and_b32 s13, s13, exec_lo
	s_or_saveexec_b32 s30, s30
	v_mov_b32_e32 v23, s17
	s_xor_b32 exec_lo, exec_lo, s30
	s_cbranch_execz .LBB6_11360
.LBB6_12234:                            ;   in Loop: Header=BB6_11312 Depth=3
	v_cmp_ne_u16_e32 vcc_lo, 0, v16
	v_mov_b32_e32 v23, 0
	s_and_not1_b32 s13, s13, exec_lo
	s_and_b32 s17, vcc_lo, exec_lo
	s_delay_alu instid0(SALU_CYCLE_1)
	s_or_b32 s13, s13, s17
	s_or_b32 exec_lo, exec_lo, s30
	s_and_saveexec_b32 s17, s13
	s_cbranch_execnz .LBB6_11361
	s_branch .LBB6_11362
.LBB6_12235:                            ;   in Loop: Header=BB6_11312 Depth=3
	s_mov_b32 s13, -1
	s_mov_b32 s31, exec_lo
                                        ; implicit-def: $sgpr17
	v_cmpx_eq_u16_e32 0x80, v16
; %bb.12236:                            ;   in Loop: Header=BB6_11312 Depth=3
	s_mov_b32 s17, 0x7f800001
	s_xor_b32 s13, exec_lo, -1
; %bb.12237:                            ;   in Loop: Header=BB6_11312 Depth=3
	s_or_b32 exec_lo, exec_lo, s31
	s_delay_alu instid0(SALU_CYCLE_1)
	s_and_b32 s13, s13, exec_lo
	s_or_saveexec_b32 s30, s30
	v_mov_b32_e32 v23, s17
	s_xor_b32 exec_lo, exec_lo, s30
	s_cbranch_execz .LBB6_11372
.LBB6_12238:                            ;   in Loop: Header=BB6_11312 Depth=3
	v_cmp_ne_u16_e32 vcc_lo, 0, v16
	v_mov_b32_e32 v23, 0
	s_and_not1_b32 s13, s13, exec_lo
	s_and_b32 s17, vcc_lo, exec_lo
	s_delay_alu instid0(SALU_CYCLE_1)
	s_or_b32 s13, s13, s17
	s_or_b32 exec_lo, exec_lo, s30
	s_and_saveexec_b32 s17, s13
	s_cbranch_execnz .LBB6_11373
	s_branch .LBB6_11374
.LBB6_12239:                            ;   in Loop: Header=BB6_11312 Depth=3
	s_mov_b32 s13, -1
	s_mov_b32 s31, exec_lo
                                        ; implicit-def: $sgpr17
	v_cmpx_eq_u16_e32 0x80, v16
; %bb.12240:                            ;   in Loop: Header=BB6_11312 Depth=3
	s_mov_b32 s17, 0x7f800001
	s_xor_b32 s13, exec_lo, -1
; %bb.12241:                            ;   in Loop: Header=BB6_11312 Depth=3
	s_or_b32 exec_lo, exec_lo, s31
	s_delay_alu instid0(SALU_CYCLE_1)
	s_and_b32 s13, s13, exec_lo
	s_or_saveexec_b32 s30, s30
	v_mov_b32_e32 v23, s17
	s_xor_b32 exec_lo, exec_lo, s30
	s_cbranch_execz .LBB6_11384
.LBB6_12242:                            ;   in Loop: Header=BB6_11312 Depth=3
	v_cmp_ne_u16_e32 vcc_lo, 0, v16
	v_mov_b32_e32 v23, 0
	s_and_not1_b32 s13, s13, exec_lo
	s_and_b32 s17, vcc_lo, exec_lo
	s_delay_alu instid0(SALU_CYCLE_1)
	s_or_b32 s13, s13, s17
	s_or_b32 exec_lo, exec_lo, s30
	s_and_saveexec_b32 s17, s13
	s_cbranch_execnz .LBB6_11385
	s_branch .LBB6_11386
.LBB6_12243:                            ;   in Loop: Header=BB6_11312 Depth=3
	s_mov_b32 s13, -1
	s_mov_b32 s31, exec_lo
                                        ; implicit-def: $sgpr17
	v_cmpx_eq_u16_e32 0x80, v16
; %bb.12244:                            ;   in Loop: Header=BB6_11312 Depth=3
	s_mov_b32 s17, 0x7f800001
	s_xor_b32 s13, exec_lo, -1
; %bb.12245:                            ;   in Loop: Header=BB6_11312 Depth=3
	s_or_b32 exec_lo, exec_lo, s31
	s_delay_alu instid0(SALU_CYCLE_1)
	s_and_b32 s13, s13, exec_lo
	s_or_saveexec_b32 s30, s30
	v_mov_b32_e32 v23, s17
	s_xor_b32 exec_lo, exec_lo, s30
	s_cbranch_execz .LBB6_11396
.LBB6_12246:                            ;   in Loop: Header=BB6_11312 Depth=3
	v_cmp_ne_u16_e32 vcc_lo, 0, v16
	v_mov_b32_e32 v23, 0
	s_and_not1_b32 s13, s13, exec_lo
	s_and_b32 s17, vcc_lo, exec_lo
	s_delay_alu instid0(SALU_CYCLE_1)
	s_or_b32 s13, s13, s17
	s_or_b32 exec_lo, exec_lo, s30
	s_and_saveexec_b32 s17, s13
	s_cbranch_execnz .LBB6_11397
	s_branch .LBB6_11398
.LBB6_12247:                            ;   in Loop: Header=BB6_11312 Depth=3
	s_mov_b32 s13, -1
	s_mov_b32 s31, exec_lo
                                        ; implicit-def: $sgpr17
	v_cmpx_eq_u16_e32 0x80, v16
; %bb.12248:                            ;   in Loop: Header=BB6_11312 Depth=3
	s_mov_b32 s17, 0x7f800001
	s_xor_b32 s13, exec_lo, -1
; %bb.12249:                            ;   in Loop: Header=BB6_11312 Depth=3
	s_or_b32 exec_lo, exec_lo, s31
	s_delay_alu instid0(SALU_CYCLE_1)
	s_and_b32 s13, s13, exec_lo
	s_or_saveexec_b32 s30, s30
	v_mov_b32_e32 v23, s17
	s_xor_b32 exec_lo, exec_lo, s30
	s_cbranch_execz .LBB6_11408
.LBB6_12250:                            ;   in Loop: Header=BB6_11312 Depth=3
	v_cmp_ne_u16_e32 vcc_lo, 0, v16
	v_mov_b32_e32 v23, 0
	s_and_not1_b32 s13, s13, exec_lo
	s_and_b32 s17, vcc_lo, exec_lo
	s_delay_alu instid0(SALU_CYCLE_1)
	s_or_b32 s13, s13, s17
	s_or_b32 exec_lo, exec_lo, s30
	s_and_saveexec_b32 s17, s13
	s_cbranch_execnz .LBB6_11409
	s_branch .LBB6_11410
.LBB6_12251:                            ;   in Loop: Header=BB6_11312 Depth=3
	s_mov_b32 s13, -1
	s_mov_b32 s31, exec_lo
                                        ; implicit-def: $sgpr17
	v_cmpx_eq_u16_e32 0x80, v16
; %bb.12252:                            ;   in Loop: Header=BB6_11312 Depth=3
	s_mov_b32 s17, 0x7f800001
	s_xor_b32 s13, exec_lo, -1
; %bb.12253:                            ;   in Loop: Header=BB6_11312 Depth=3
	s_or_b32 exec_lo, exec_lo, s31
	s_delay_alu instid0(SALU_CYCLE_1)
	s_and_b32 s13, s13, exec_lo
	s_or_saveexec_b32 s30, s30
	v_mov_b32_e32 v23, s17
	s_xor_b32 exec_lo, exec_lo, s30
	s_cbranch_execz .LBB6_11420
.LBB6_12254:                            ;   in Loop: Header=BB6_11312 Depth=3
	v_cmp_ne_u16_e32 vcc_lo, 0, v16
	v_mov_b32_e32 v23, 0
	s_and_not1_b32 s13, s13, exec_lo
	s_and_b32 s17, vcc_lo, exec_lo
	s_delay_alu instid0(SALU_CYCLE_1)
	s_or_b32 s13, s13, s17
	s_or_b32 exec_lo, exec_lo, s30
	s_and_saveexec_b32 s17, s13
	s_cbranch_execnz .LBB6_11421
	s_branch .LBB6_11422
.LBB6_12255:                            ;   in Loop: Header=BB6_11312 Depth=3
	s_mov_b32 s13, -1
	s_mov_b32 s31, exec_lo
                                        ; implicit-def: $sgpr17
	v_cmpx_eq_u16_e32 0x80, v16
; %bb.12256:                            ;   in Loop: Header=BB6_11312 Depth=3
	s_mov_b32 s17, 0x7f800001
	s_xor_b32 s13, exec_lo, -1
; %bb.12257:                            ;   in Loop: Header=BB6_11312 Depth=3
	s_or_b32 exec_lo, exec_lo, s31
	s_delay_alu instid0(SALU_CYCLE_1)
	s_and_b32 s13, s13, exec_lo
	s_or_saveexec_b32 s30, s30
	v_mov_b32_e32 v23, s17
	s_xor_b32 exec_lo, exec_lo, s30
	s_cbranch_execz .LBB6_11432
.LBB6_12258:                            ;   in Loop: Header=BB6_11312 Depth=3
	v_cmp_ne_u16_e32 vcc_lo, 0, v16
	v_mov_b32_e32 v23, 0
	s_and_not1_b32 s13, s13, exec_lo
	s_and_b32 s17, vcc_lo, exec_lo
	s_delay_alu instid0(SALU_CYCLE_1)
	s_or_b32 s13, s13, s17
	s_or_b32 exec_lo, exec_lo, s30
	s_and_saveexec_b32 s17, s13
	s_cbranch_execnz .LBB6_11433
	s_branch .LBB6_11434
.LBB6_12259:                            ;   in Loop: Header=BB6_11312 Depth=3
	s_mov_b32 s13, -1
	s_mov_b32 s31, exec_lo
                                        ; implicit-def: $sgpr17
	v_cmpx_eq_u16_e32 0x80, v16
; %bb.12260:                            ;   in Loop: Header=BB6_11312 Depth=3
	s_mov_b32 s17, 0x7f800001
	s_xor_b32 s13, exec_lo, -1
; %bb.12261:                            ;   in Loop: Header=BB6_11312 Depth=3
	s_or_b32 exec_lo, exec_lo, s31
	s_delay_alu instid0(SALU_CYCLE_1)
	s_and_b32 s13, s13, exec_lo
	s_or_saveexec_b32 s30, s30
	v_mov_b32_e32 v23, s17
	s_xor_b32 exec_lo, exec_lo, s30
	s_cbranch_execz .LBB6_11444
.LBB6_12262:                            ;   in Loop: Header=BB6_11312 Depth=3
	v_cmp_ne_u16_e32 vcc_lo, 0, v16
	v_mov_b32_e32 v23, 0
	s_and_not1_b32 s13, s13, exec_lo
	s_and_b32 s17, vcc_lo, exec_lo
	s_delay_alu instid0(SALU_CYCLE_1)
	s_or_b32 s13, s13, s17
	s_or_b32 exec_lo, exec_lo, s30
	s_and_saveexec_b32 s17, s13
	s_cbranch_execnz .LBB6_11445
	s_branch .LBB6_11446
.LBB6_12263:                            ;   in Loop: Header=BB6_11312 Depth=3
	s_mov_b32 s13, -1
	s_mov_b32 s31, exec_lo
                                        ; implicit-def: $sgpr17
	v_cmpx_eq_u16_e32 0x80, v16
; %bb.12264:                            ;   in Loop: Header=BB6_11312 Depth=3
	s_mov_b32 s17, 0x7f800001
	s_xor_b32 s13, exec_lo, -1
; %bb.12265:                            ;   in Loop: Header=BB6_11312 Depth=3
	s_or_b32 exec_lo, exec_lo, s31
	s_delay_alu instid0(SALU_CYCLE_1)
	s_and_b32 s13, s13, exec_lo
	s_or_saveexec_b32 s30, s30
	v_mov_b32_e32 v23, s17
	s_xor_b32 exec_lo, exec_lo, s30
	s_cbranch_execz .LBB6_11456
.LBB6_12266:                            ;   in Loop: Header=BB6_11312 Depth=3
	v_cmp_ne_u16_e32 vcc_lo, 0, v16
	v_mov_b32_e32 v23, 0
	s_and_not1_b32 s13, s13, exec_lo
	s_and_b32 s17, vcc_lo, exec_lo
	s_delay_alu instid0(SALU_CYCLE_1)
	s_or_b32 s13, s13, s17
	s_or_b32 exec_lo, exec_lo, s30
	s_and_saveexec_b32 s17, s13
	s_cbranch_execnz .LBB6_11457
	s_branch .LBB6_11458
.LBB6_12267:                            ;   in Loop: Header=BB6_11312 Depth=3
	s_mov_b32 s13, -1
	s_mov_b32 s31, exec_lo
                                        ; implicit-def: $sgpr17
	v_cmpx_eq_u16_e32 0x80, v16
; %bb.12268:                            ;   in Loop: Header=BB6_11312 Depth=3
	s_mov_b32 s17, 0x7f800001
	s_xor_b32 s13, exec_lo, -1
; %bb.12269:                            ;   in Loop: Header=BB6_11312 Depth=3
	s_or_b32 exec_lo, exec_lo, s31
	s_delay_alu instid0(SALU_CYCLE_1)
	s_and_b32 s13, s13, exec_lo
	s_or_saveexec_b32 s30, s30
	v_mov_b32_e32 v23, s17
	s_xor_b32 exec_lo, exec_lo, s30
	s_cbranch_execz .LBB6_11468
.LBB6_12270:                            ;   in Loop: Header=BB6_11312 Depth=3
	v_cmp_ne_u16_e32 vcc_lo, 0, v16
	v_mov_b32_e32 v23, 0
	s_and_not1_b32 s13, s13, exec_lo
	s_and_b32 s17, vcc_lo, exec_lo
	s_delay_alu instid0(SALU_CYCLE_1)
	s_or_b32 s13, s13, s17
	s_or_b32 exec_lo, exec_lo, s30
	s_and_saveexec_b32 s17, s13
	s_cbranch_execnz .LBB6_11469
	s_branch .LBB6_11470
.LBB6_12271:                            ;   in Loop: Header=BB6_11312 Depth=3
	s_mov_b32 s13, -1
	s_mov_b32 s31, exec_lo
                                        ; implicit-def: $sgpr17
	v_cmpx_eq_u16_e32 0x80, v16
; %bb.12272:                            ;   in Loop: Header=BB6_11312 Depth=3
	s_mov_b32 s17, 0x7f800001
	s_xor_b32 s13, exec_lo, -1
; %bb.12273:                            ;   in Loop: Header=BB6_11312 Depth=3
	s_or_b32 exec_lo, exec_lo, s31
	s_delay_alu instid0(SALU_CYCLE_1)
	s_and_b32 s13, s13, exec_lo
	s_or_saveexec_b32 s30, s30
	v_mov_b32_e32 v23, s17
	s_xor_b32 exec_lo, exec_lo, s30
	s_cbranch_execz .LBB6_11480
.LBB6_12274:                            ;   in Loop: Header=BB6_11312 Depth=3
	v_cmp_ne_u16_e32 vcc_lo, 0, v16
	v_mov_b32_e32 v23, 0
	s_and_not1_b32 s13, s13, exec_lo
	s_and_b32 s17, vcc_lo, exec_lo
	s_delay_alu instid0(SALU_CYCLE_1)
	s_or_b32 s13, s13, s17
	s_or_b32 exec_lo, exec_lo, s30
	s_and_saveexec_b32 s17, s13
	s_cbranch_execnz .LBB6_11481
	s_branch .LBB6_11482
.LBB6_12275:                            ;   in Loop: Header=BB6_11312 Depth=3
	s_mov_b32 s13, -1
	s_mov_b32 s31, exec_lo
                                        ; implicit-def: $sgpr17
	v_cmpx_eq_u16_e32 0x80, v16
; %bb.12276:                            ;   in Loop: Header=BB6_11312 Depth=3
	s_mov_b32 s17, 0x7f800001
	s_xor_b32 s13, exec_lo, -1
; %bb.12277:                            ;   in Loop: Header=BB6_11312 Depth=3
	s_or_b32 exec_lo, exec_lo, s31
	s_delay_alu instid0(SALU_CYCLE_1)
	s_and_b32 s13, s13, exec_lo
	s_or_saveexec_b32 s30, s30
	v_mov_b32_e32 v23, s17
	s_xor_b32 exec_lo, exec_lo, s30
	s_cbranch_execz .LBB6_11492
.LBB6_12278:                            ;   in Loop: Header=BB6_11312 Depth=3
	v_cmp_ne_u16_e32 vcc_lo, 0, v16
	v_mov_b32_e32 v23, 0
	s_and_not1_b32 s13, s13, exec_lo
	s_and_b32 s17, vcc_lo, exec_lo
	s_delay_alu instid0(SALU_CYCLE_1)
	s_or_b32 s13, s13, s17
	s_or_b32 exec_lo, exec_lo, s30
	s_and_saveexec_b32 s17, s13
	s_cbranch_execnz .LBB6_11493
	s_branch .LBB6_11494
.LBB6_12279:                            ;   in Loop: Header=BB6_11312 Depth=3
	s_mov_b32 s13, -1
	s_mov_b32 s31, exec_lo
                                        ; implicit-def: $sgpr17
	v_cmpx_eq_u16_e32 0x80, v16
; %bb.12280:                            ;   in Loop: Header=BB6_11312 Depth=3
	s_mov_b32 s17, 0x7f800001
	s_xor_b32 s13, exec_lo, -1
; %bb.12281:                            ;   in Loop: Header=BB6_11312 Depth=3
	s_or_b32 exec_lo, exec_lo, s31
	s_delay_alu instid0(SALU_CYCLE_1)
	s_and_b32 s13, s13, exec_lo
	s_or_saveexec_b32 s30, s30
	v_mov_b32_e32 v23, s17
	s_xor_b32 exec_lo, exec_lo, s30
	s_cbranch_execz .LBB6_11504
.LBB6_12282:                            ;   in Loop: Header=BB6_11312 Depth=3
	v_cmp_ne_u16_e32 vcc_lo, 0, v16
	v_mov_b32_e32 v23, 0
	s_and_not1_b32 s13, s13, exec_lo
	s_and_b32 s17, vcc_lo, exec_lo
	s_delay_alu instid0(SALU_CYCLE_1)
	s_or_b32 s13, s13, s17
	s_or_b32 exec_lo, exec_lo, s30
	s_and_saveexec_b32 s17, s13
	s_cbranch_execnz .LBB6_11505
	s_branch .LBB6_11506
.LBB6_12283:                            ;   in Loop: Header=BB6_11312 Depth=3
	s_mov_b32 s13, -1
	s_mov_b32 s31, exec_lo
                                        ; implicit-def: $sgpr17
	v_cmpx_eq_u16_e32 0x80, v16
; %bb.12284:                            ;   in Loop: Header=BB6_11312 Depth=3
	s_mov_b32 s17, 0x7f800001
	s_xor_b32 s13, exec_lo, -1
; %bb.12285:                            ;   in Loop: Header=BB6_11312 Depth=3
	s_or_b32 exec_lo, exec_lo, s31
	s_delay_alu instid0(SALU_CYCLE_1)
	s_and_b32 s13, s13, exec_lo
	s_or_saveexec_b32 s30, s30
	v_mov_b32_e32 v23, s17
	s_xor_b32 exec_lo, exec_lo, s30
	s_cbranch_execz .LBB6_11516
.LBB6_12286:                            ;   in Loop: Header=BB6_11312 Depth=3
	v_cmp_ne_u16_e32 vcc_lo, 0, v16
	v_mov_b32_e32 v23, 0
	s_and_not1_b32 s13, s13, exec_lo
	s_and_b32 s17, vcc_lo, exec_lo
	s_delay_alu instid0(SALU_CYCLE_1)
	s_or_b32 s13, s13, s17
	s_or_b32 exec_lo, exec_lo, s30
	s_and_saveexec_b32 s17, s13
	s_cbranch_execnz .LBB6_11517
	s_branch .LBB6_11518
.LBB6_12287:                            ;   in Loop: Header=BB6_11312 Depth=3
	s_mov_b32 s13, -1
	s_mov_b32 s31, exec_lo
                                        ; implicit-def: $sgpr17
	v_cmpx_eq_u16_e32 0x80, v16
; %bb.12288:                            ;   in Loop: Header=BB6_11312 Depth=3
	s_mov_b32 s17, 0x7f800001
	s_xor_b32 s13, exec_lo, -1
; %bb.12289:                            ;   in Loop: Header=BB6_11312 Depth=3
	s_or_b32 exec_lo, exec_lo, s31
	s_delay_alu instid0(SALU_CYCLE_1)
	s_and_b32 s13, s13, exec_lo
	s_or_saveexec_b32 s30, s30
	v_mov_b32_e32 v23, s17
	s_xor_b32 exec_lo, exec_lo, s30
	s_cbranch_execz .LBB6_11528
.LBB6_12290:                            ;   in Loop: Header=BB6_11312 Depth=3
	v_cmp_ne_u16_e32 vcc_lo, 0, v16
	v_mov_b32_e32 v23, 0
	s_and_not1_b32 s13, s13, exec_lo
	s_and_b32 s17, vcc_lo, exec_lo
	s_delay_alu instid0(SALU_CYCLE_1)
	s_or_b32 s13, s13, s17
	s_or_b32 exec_lo, exec_lo, s30
	s_and_saveexec_b32 s17, s13
	s_cbranch_execnz .LBB6_11529
	s_branch .LBB6_11530
.LBB6_12291:                            ;   in Loop: Header=BB6_11312 Depth=3
	s_mov_b32 s13, -1
	s_mov_b32 s31, exec_lo
                                        ; implicit-def: $sgpr17
	v_cmpx_eq_u16_e32 0x80, v16
; %bb.12292:                            ;   in Loop: Header=BB6_11312 Depth=3
	s_mov_b32 s17, 0x7f800001
	s_xor_b32 s13, exec_lo, -1
; %bb.12293:                            ;   in Loop: Header=BB6_11312 Depth=3
	s_or_b32 exec_lo, exec_lo, s31
	s_delay_alu instid0(SALU_CYCLE_1)
	s_and_b32 s13, s13, exec_lo
	s_or_saveexec_b32 s30, s30
	v_mov_b32_e32 v23, s17
	s_xor_b32 exec_lo, exec_lo, s30
	s_cbranch_execz .LBB6_11540
.LBB6_12294:                            ;   in Loop: Header=BB6_11312 Depth=3
	v_cmp_ne_u16_e32 vcc_lo, 0, v16
	v_mov_b32_e32 v23, 0
	s_and_not1_b32 s13, s13, exec_lo
	s_and_b32 s17, vcc_lo, exec_lo
	s_delay_alu instid0(SALU_CYCLE_1)
	s_or_b32 s13, s13, s17
	s_or_b32 exec_lo, exec_lo, s30
	s_and_saveexec_b32 s17, s13
	s_cbranch_execnz .LBB6_11541
	s_branch .LBB6_11542
.LBB6_12295:                            ;   in Loop: Header=BB6_11312 Depth=3
	s_mov_b32 s13, -1
	s_mov_b32 s31, exec_lo
                                        ; implicit-def: $sgpr17
	v_cmpx_eq_u16_e32 0x80, v16
; %bb.12296:                            ;   in Loop: Header=BB6_11312 Depth=3
	s_mov_b32 s17, 0x7f800001
	s_xor_b32 s13, exec_lo, -1
; %bb.12297:                            ;   in Loop: Header=BB6_11312 Depth=3
	s_or_b32 exec_lo, exec_lo, s31
	s_delay_alu instid0(SALU_CYCLE_1)
	s_and_b32 s13, s13, exec_lo
	s_or_saveexec_b32 s30, s30
	v_mov_b32_e32 v23, s17
	s_xor_b32 exec_lo, exec_lo, s30
	s_cbranch_execz .LBB6_11552
.LBB6_12298:                            ;   in Loop: Header=BB6_11312 Depth=3
	v_cmp_ne_u16_e32 vcc_lo, 0, v16
	v_mov_b32_e32 v23, 0
	s_and_not1_b32 s13, s13, exec_lo
	s_and_b32 s17, vcc_lo, exec_lo
	s_delay_alu instid0(SALU_CYCLE_1)
	s_or_b32 s13, s13, s17
	s_or_b32 exec_lo, exec_lo, s30
	s_and_saveexec_b32 s17, s13
	s_cbranch_execnz .LBB6_11553
	s_branch .LBB6_11554
.LBB6_12299:                            ;   in Loop: Header=BB6_11312 Depth=3
	s_mov_b32 s13, -1
	s_mov_b32 s31, exec_lo
                                        ; implicit-def: $sgpr17
	v_cmpx_eq_u16_e32 0x80, v16
; %bb.12300:                            ;   in Loop: Header=BB6_11312 Depth=3
	s_mov_b32 s17, 0x7f800001
	s_xor_b32 s13, exec_lo, -1
; %bb.12301:                            ;   in Loop: Header=BB6_11312 Depth=3
	s_or_b32 exec_lo, exec_lo, s31
	s_delay_alu instid0(SALU_CYCLE_1)
	s_and_b32 s13, s13, exec_lo
	s_or_saveexec_b32 s30, s30
	v_mov_b32_e32 v23, s17
	s_xor_b32 exec_lo, exec_lo, s30
	s_cbranch_execz .LBB6_11564
.LBB6_12302:                            ;   in Loop: Header=BB6_11312 Depth=3
	v_cmp_ne_u16_e32 vcc_lo, 0, v16
	v_mov_b32_e32 v23, 0
	s_and_not1_b32 s13, s13, exec_lo
	s_and_b32 s17, vcc_lo, exec_lo
	s_delay_alu instid0(SALU_CYCLE_1)
	s_or_b32 s13, s13, s17
	s_or_b32 exec_lo, exec_lo, s30
	s_and_saveexec_b32 s17, s13
	s_cbranch_execnz .LBB6_11565
	s_branch .LBB6_11566
.LBB6_12303:                            ;   in Loop: Header=BB6_11312 Depth=3
	s_mov_b32 s13, -1
	s_mov_b32 s31, exec_lo
                                        ; implicit-def: $sgpr17
	v_cmpx_eq_u16_e32 0x80, v16
; %bb.12304:                            ;   in Loop: Header=BB6_11312 Depth=3
	s_mov_b32 s17, 0x7f800001
	s_xor_b32 s13, exec_lo, -1
; %bb.12305:                            ;   in Loop: Header=BB6_11312 Depth=3
	s_or_b32 exec_lo, exec_lo, s31
	s_delay_alu instid0(SALU_CYCLE_1)
	s_and_b32 s13, s13, exec_lo
	s_or_saveexec_b32 s30, s30
	v_mov_b32_e32 v23, s17
	s_xor_b32 exec_lo, exec_lo, s30
	s_cbranch_execz .LBB6_11576
.LBB6_12306:                            ;   in Loop: Header=BB6_11312 Depth=3
	v_cmp_ne_u16_e32 vcc_lo, 0, v16
	v_mov_b32_e32 v23, 0
	s_and_not1_b32 s13, s13, exec_lo
	s_and_b32 s17, vcc_lo, exec_lo
	s_delay_alu instid0(SALU_CYCLE_1)
	s_or_b32 s13, s13, s17
	s_or_b32 exec_lo, exec_lo, s30
	s_and_saveexec_b32 s17, s13
	s_cbranch_execnz .LBB6_11577
	s_branch .LBB6_11578
.LBB6_12307:                            ;   in Loop: Header=BB6_11312 Depth=3
	s_mov_b32 s13, -1
	s_mov_b32 s31, exec_lo
                                        ; implicit-def: $sgpr17
	v_cmpx_eq_u16_e32 0x80, v16
; %bb.12308:                            ;   in Loop: Header=BB6_11312 Depth=3
	s_mov_b32 s17, 0x7f800001
	s_xor_b32 s13, exec_lo, -1
; %bb.12309:                            ;   in Loop: Header=BB6_11312 Depth=3
	s_or_b32 exec_lo, exec_lo, s31
	s_delay_alu instid0(SALU_CYCLE_1)
	s_and_b32 s13, s13, exec_lo
	s_or_saveexec_b32 s30, s30
	v_mov_b32_e32 v23, s17
	s_xor_b32 exec_lo, exec_lo, s30
	s_cbranch_execz .LBB6_11588
.LBB6_12310:                            ;   in Loop: Header=BB6_11312 Depth=3
	v_cmp_ne_u16_e32 vcc_lo, 0, v16
	v_mov_b32_e32 v23, 0
	s_and_not1_b32 s13, s13, exec_lo
	s_and_b32 s17, vcc_lo, exec_lo
	s_delay_alu instid0(SALU_CYCLE_1)
	s_or_b32 s13, s13, s17
	s_or_b32 exec_lo, exec_lo, s30
	s_and_saveexec_b32 s17, s13
	s_cbranch_execnz .LBB6_11589
	s_branch .LBB6_11590
.LBB6_12311:                            ;   in Loop: Header=BB6_11312 Depth=3
	s_mov_b32 s13, -1
	s_mov_b32 s31, exec_lo
                                        ; implicit-def: $sgpr17
	v_cmpx_eq_u16_e32 0x80, v16
; %bb.12312:                            ;   in Loop: Header=BB6_11312 Depth=3
	s_mov_b32 s17, 0x7f800001
	s_xor_b32 s13, exec_lo, -1
; %bb.12313:                            ;   in Loop: Header=BB6_11312 Depth=3
	s_or_b32 exec_lo, exec_lo, s31
	s_delay_alu instid0(SALU_CYCLE_1)
	s_and_b32 s13, s13, exec_lo
	s_or_saveexec_b32 s30, s30
	v_mov_b32_e32 v23, s17
	s_xor_b32 exec_lo, exec_lo, s30
	s_cbranch_execz .LBB6_11600
.LBB6_12314:                            ;   in Loop: Header=BB6_11312 Depth=3
	v_cmp_ne_u16_e32 vcc_lo, 0, v16
	v_mov_b32_e32 v23, 0
	s_and_not1_b32 s13, s13, exec_lo
	s_and_b32 s17, vcc_lo, exec_lo
	s_delay_alu instid0(SALU_CYCLE_1)
	s_or_b32 s13, s13, s17
	s_or_b32 exec_lo, exec_lo, s30
	s_and_saveexec_b32 s17, s13
	s_cbranch_execnz .LBB6_11601
	s_branch .LBB6_11602
.LBB6_12315:                            ;   in Loop: Header=BB6_11312 Depth=3
	s_mov_b32 s13, -1
	s_mov_b32 s31, exec_lo
                                        ; implicit-def: $sgpr17
	v_cmpx_eq_u16_e32 0x80, v16
; %bb.12316:                            ;   in Loop: Header=BB6_11312 Depth=3
	s_mov_b32 s17, 0x7f800001
	s_xor_b32 s13, exec_lo, -1
; %bb.12317:                            ;   in Loop: Header=BB6_11312 Depth=3
	s_or_b32 exec_lo, exec_lo, s31
	s_delay_alu instid0(SALU_CYCLE_1)
	s_and_b32 s13, s13, exec_lo
	s_or_saveexec_b32 s30, s30
	v_mov_b32_e32 v23, s17
	s_xor_b32 exec_lo, exec_lo, s30
	s_cbranch_execz .LBB6_11612
.LBB6_12318:                            ;   in Loop: Header=BB6_11312 Depth=3
	v_cmp_ne_u16_e32 vcc_lo, 0, v16
	v_mov_b32_e32 v23, 0
	s_and_not1_b32 s13, s13, exec_lo
	s_and_b32 s17, vcc_lo, exec_lo
	s_delay_alu instid0(SALU_CYCLE_1)
	s_or_b32 s13, s13, s17
	s_or_b32 exec_lo, exec_lo, s30
	s_and_saveexec_b32 s17, s13
	s_cbranch_execnz .LBB6_11613
	s_branch .LBB6_11614
.LBB6_12319:                            ;   in Loop: Header=BB6_11312 Depth=3
	s_mov_b32 s13, -1
	s_mov_b32 s31, exec_lo
                                        ; implicit-def: $sgpr17
	v_cmpx_eq_u16_e32 0x80, v16
; %bb.12320:                            ;   in Loop: Header=BB6_11312 Depth=3
	s_mov_b32 s17, 0x7f800001
	s_xor_b32 s13, exec_lo, -1
; %bb.12321:                            ;   in Loop: Header=BB6_11312 Depth=3
	s_or_b32 exec_lo, exec_lo, s31
	s_delay_alu instid0(SALU_CYCLE_1)
	s_and_b32 s13, s13, exec_lo
	s_or_saveexec_b32 s30, s30
	v_mov_b32_e32 v23, s17
	s_xor_b32 exec_lo, exec_lo, s30
	s_cbranch_execz .LBB6_11624
.LBB6_12322:                            ;   in Loop: Header=BB6_11312 Depth=3
	v_cmp_ne_u16_e32 vcc_lo, 0, v16
	v_mov_b32_e32 v23, 0
	s_and_not1_b32 s13, s13, exec_lo
	s_and_b32 s17, vcc_lo, exec_lo
	s_delay_alu instid0(SALU_CYCLE_1)
	s_or_b32 s13, s13, s17
	s_or_b32 exec_lo, exec_lo, s30
	s_and_saveexec_b32 s17, s13
	s_cbranch_execnz .LBB6_11625
	s_branch .LBB6_11626
.LBB6_12323:                            ;   in Loop: Header=BB6_11312 Depth=3
	s_mov_b32 s13, -1
	s_mov_b32 s31, exec_lo
                                        ; implicit-def: $sgpr17
	v_cmpx_eq_u16_e32 0x80, v16
; %bb.12324:                            ;   in Loop: Header=BB6_11312 Depth=3
	s_mov_b32 s17, 0x7f800001
	s_xor_b32 s13, exec_lo, -1
; %bb.12325:                            ;   in Loop: Header=BB6_11312 Depth=3
	s_or_b32 exec_lo, exec_lo, s31
	s_delay_alu instid0(SALU_CYCLE_1)
	s_and_b32 s13, s13, exec_lo
	s_or_saveexec_b32 s30, s30
	v_mov_b32_e32 v23, s17
	s_xor_b32 exec_lo, exec_lo, s30
	s_cbranch_execz .LBB6_11636
.LBB6_12326:                            ;   in Loop: Header=BB6_11312 Depth=3
	v_cmp_ne_u16_e32 vcc_lo, 0, v16
	v_mov_b32_e32 v23, 0
	s_and_not1_b32 s13, s13, exec_lo
	s_and_b32 s17, vcc_lo, exec_lo
	s_delay_alu instid0(SALU_CYCLE_1)
	s_or_b32 s13, s13, s17
	s_or_b32 exec_lo, exec_lo, s30
	s_and_saveexec_b32 s17, s13
	s_cbranch_execnz .LBB6_11637
	s_branch .LBB6_11638
.LBB6_12327:                            ;   in Loop: Header=BB6_11312 Depth=3
	s_mov_b32 s13, -1
	s_mov_b32 s31, exec_lo
                                        ; implicit-def: $sgpr17
	v_cmpx_eq_u16_e32 0x80, v16
; %bb.12328:                            ;   in Loop: Header=BB6_11312 Depth=3
	s_mov_b32 s17, 0x7f800001
	s_xor_b32 s13, exec_lo, -1
; %bb.12329:                            ;   in Loop: Header=BB6_11312 Depth=3
	s_or_b32 exec_lo, exec_lo, s31
	s_delay_alu instid0(SALU_CYCLE_1)
	s_and_b32 s13, s13, exec_lo
	s_or_saveexec_b32 s30, s30
	v_mov_b32_e32 v23, s17
	s_xor_b32 exec_lo, exec_lo, s30
	s_cbranch_execz .LBB6_11648
.LBB6_12330:                            ;   in Loop: Header=BB6_11312 Depth=3
	v_cmp_ne_u16_e32 vcc_lo, 0, v16
	v_mov_b32_e32 v23, 0
	s_and_not1_b32 s13, s13, exec_lo
	s_and_b32 s17, vcc_lo, exec_lo
	s_delay_alu instid0(SALU_CYCLE_1)
	s_or_b32 s13, s13, s17
	s_or_b32 exec_lo, exec_lo, s30
	s_and_saveexec_b32 s17, s13
	s_cbranch_execnz .LBB6_11649
	s_branch .LBB6_11650
.LBB6_12331:                            ;   in Loop: Header=BB6_11312 Depth=3
	s_mov_b32 s13, -1
	s_mov_b32 s31, exec_lo
                                        ; implicit-def: $sgpr17
	v_cmpx_eq_u16_e32 0x80, v16
; %bb.12332:                            ;   in Loop: Header=BB6_11312 Depth=3
	s_mov_b32 s17, 0x7f800001
	s_xor_b32 s13, exec_lo, -1
; %bb.12333:                            ;   in Loop: Header=BB6_11312 Depth=3
	s_or_b32 exec_lo, exec_lo, s31
	s_delay_alu instid0(SALU_CYCLE_1)
	s_and_b32 s13, s13, exec_lo
	s_or_saveexec_b32 s30, s30
	v_mov_b32_e32 v23, s17
	s_xor_b32 exec_lo, exec_lo, s30
	s_cbranch_execz .LBB6_11660
.LBB6_12334:                            ;   in Loop: Header=BB6_11312 Depth=3
	v_cmp_ne_u16_e32 vcc_lo, 0, v16
	v_mov_b32_e32 v23, 0
	s_and_not1_b32 s13, s13, exec_lo
	s_and_b32 s17, vcc_lo, exec_lo
	s_delay_alu instid0(SALU_CYCLE_1)
	s_or_b32 s13, s13, s17
	s_or_b32 exec_lo, exec_lo, s30
	s_and_saveexec_b32 s17, s13
	s_cbranch_execnz .LBB6_11661
	s_branch .LBB6_11662
.LBB6_12335:                            ;   in Loop: Header=BB6_11312 Depth=3
	s_mov_b32 s13, -1
	s_mov_b32 s31, exec_lo
                                        ; implicit-def: $sgpr17
	v_cmpx_eq_u16_e32 0x80, v16
; %bb.12336:                            ;   in Loop: Header=BB6_11312 Depth=3
	s_mov_b32 s17, 0x7f800001
	s_xor_b32 s13, exec_lo, -1
; %bb.12337:                            ;   in Loop: Header=BB6_11312 Depth=3
	s_or_b32 exec_lo, exec_lo, s31
	s_delay_alu instid0(SALU_CYCLE_1)
	s_and_b32 s13, s13, exec_lo
	s_or_saveexec_b32 s30, s30
	v_mov_b32_e32 v23, s17
	s_xor_b32 exec_lo, exec_lo, s30
	s_cbranch_execz .LBB6_11672
.LBB6_12338:                            ;   in Loop: Header=BB6_11312 Depth=3
	v_cmp_ne_u16_e32 vcc_lo, 0, v16
	v_mov_b32_e32 v23, 0
	s_and_not1_b32 s13, s13, exec_lo
	s_and_b32 s17, vcc_lo, exec_lo
	s_delay_alu instid0(SALU_CYCLE_1)
	s_or_b32 s13, s13, s17
	s_or_b32 exec_lo, exec_lo, s30
	s_and_saveexec_b32 s17, s13
	s_cbranch_execnz .LBB6_11673
	s_branch .LBB6_11674
.LBB6_12339:                            ;   in Loop: Header=BB6_11312 Depth=3
	s_mov_b32 s13, -1
	s_mov_b32 s31, exec_lo
                                        ; implicit-def: $sgpr17
	v_cmpx_eq_u16_e32 0x80, v16
; %bb.12340:                            ;   in Loop: Header=BB6_11312 Depth=3
	s_mov_b32 s17, 0x7f800001
	s_xor_b32 s13, exec_lo, -1
; %bb.12341:                            ;   in Loop: Header=BB6_11312 Depth=3
	s_or_b32 exec_lo, exec_lo, s31
	s_delay_alu instid0(SALU_CYCLE_1)
	s_and_b32 s13, s13, exec_lo
	s_or_saveexec_b32 s30, s30
	v_mov_b32_e32 v23, s17
	s_xor_b32 exec_lo, exec_lo, s30
	s_cbranch_execz .LBB6_11684
.LBB6_12342:                            ;   in Loop: Header=BB6_11312 Depth=3
	v_cmp_ne_u16_e32 vcc_lo, 0, v16
	v_mov_b32_e32 v23, 0
	s_and_not1_b32 s13, s13, exec_lo
	s_and_b32 s17, vcc_lo, exec_lo
	s_delay_alu instid0(SALU_CYCLE_1)
	s_or_b32 s13, s13, s17
	s_or_b32 exec_lo, exec_lo, s30
	s_and_saveexec_b32 s17, s13
	s_cbranch_execnz .LBB6_11685
	s_branch .LBB6_11686
.LBB6_12343:                            ;   in Loop: Header=BB6_11312 Depth=3
	s_mov_b32 s13, -1
	s_mov_b32 s31, exec_lo
                                        ; implicit-def: $sgpr17
	v_cmpx_eq_u16_e32 0x80, v16
; %bb.12344:                            ;   in Loop: Header=BB6_11312 Depth=3
	s_mov_b32 s17, 0x7f800001
	s_xor_b32 s13, exec_lo, -1
; %bb.12345:                            ;   in Loop: Header=BB6_11312 Depth=3
	s_or_b32 exec_lo, exec_lo, s31
	s_delay_alu instid0(SALU_CYCLE_1)
	s_and_b32 s13, s13, exec_lo
	s_or_saveexec_b32 s30, s30
	v_mov_b32_e32 v26, s17
	s_xor_b32 exec_lo, exec_lo, s30
	s_cbranch_execz .LBB6_11696
.LBB6_12346:                            ;   in Loop: Header=BB6_11312 Depth=3
	v_cmp_ne_u16_e32 vcc_lo, 0, v16
	v_mov_b32_e32 v26, 0
	s_and_not1_b32 s13, s13, exec_lo
	s_and_b32 s17, vcc_lo, exec_lo
	s_delay_alu instid0(SALU_CYCLE_1)
	s_or_b32 s13, s13, s17
	s_or_b32 exec_lo, exec_lo, s30
	s_and_saveexec_b32 s17, s13
	s_cbranch_execnz .LBB6_11697
	s_branch .LBB6_11698
.LBB6_12347:                            ;   in Loop: Header=BB6_11312 Depth=3
	s_mov_b32 s13, -1
	s_mov_b32 s31, exec_lo
                                        ; implicit-def: $sgpr17
	v_cmpx_eq_u16_e32 0x80, v52
; %bb.12348:                            ;   in Loop: Header=BB6_11312 Depth=3
	s_mov_b32 s17, 0x7f800001
	s_xor_b32 s13, exec_lo, -1
; %bb.12349:                            ;   in Loop: Header=BB6_11312 Depth=3
	s_or_b32 exec_lo, exec_lo, s31
	s_delay_alu instid0(SALU_CYCLE_1)
	s_and_b32 s13, s13, exec_lo
                                        ; implicit-def: $vgpr52
	s_or_saveexec_b32 s30, s30
	v_mov_b32_e32 v49, s17
	s_xor_b32 exec_lo, exec_lo, s30
	s_cbranch_execz .LBB6_11708
.LBB6_12350:                            ;   in Loop: Header=BB6_11312 Depth=3
	v_cmp_ne_u16_e32 vcc_lo, 0, v52
	v_mov_b32_e32 v49, 0
	s_and_not1_b32 s13, s13, exec_lo
	s_and_b32 s17, vcc_lo, exec_lo
	s_delay_alu instid0(SALU_CYCLE_1)
	s_or_b32 s13, s13, s17
	s_or_b32 exec_lo, exec_lo, s30
	s_and_saveexec_b32 s17, s13
	s_cbranch_execnz .LBB6_11709
	s_branch .LBB6_11710
.LBB6_12351:                            ;   in Loop: Header=BB6_11312 Depth=3
	s_mov_b32 s13, -1
	s_mov_b32 s31, exec_lo
                                        ; implicit-def: $sgpr17
	v_cmpx_eq_u16_e32 0x80, v52
; %bb.12352:                            ;   in Loop: Header=BB6_11312 Depth=3
	s_mov_b32 s17, 0x7f800001
	s_xor_b32 s13, exec_lo, -1
; %bb.12353:                            ;   in Loop: Header=BB6_11312 Depth=3
	s_or_b32 exec_lo, exec_lo, s31
	s_delay_alu instid0(SALU_CYCLE_1)
	s_and_b32 s13, s13, exec_lo
                                        ; implicit-def: $vgpr52
	s_or_saveexec_b32 s30, s30
	v_mov_b32_e32 v22, s17
	s_xor_b32 exec_lo, exec_lo, s30
	s_cbranch_execz .LBB6_11712
.LBB6_12354:                            ;   in Loop: Header=BB6_11312 Depth=3
	v_cmp_ne_u16_e32 vcc_lo, 0, v52
	v_mov_b32_e32 v22, 0
	s_and_not1_b32 s13, s13, exec_lo
	s_and_b32 s17, vcc_lo, exec_lo
	s_delay_alu instid0(SALU_CYCLE_1)
	s_or_b32 s13, s13, s17
	s_or_b32 exec_lo, exec_lo, s30
	s_and_saveexec_b32 s17, s13
	s_cbranch_execnz .LBB6_11713
	s_branch .LBB6_11714
.LBB6_12355:                            ;   in Loop: Header=BB6_11312 Depth=3
	s_mov_b32 s13, -1
	s_mov_b32 s31, exec_lo
                                        ; implicit-def: $sgpr17
	v_cmpx_eq_u16_e32 0x80, v49
; %bb.12356:                            ;   in Loop: Header=BB6_11312 Depth=3
	s_mov_b32 s17, 0x7f800001
	s_xor_b32 s13, exec_lo, -1
; %bb.12357:                            ;   in Loop: Header=BB6_11312 Depth=3
	s_or_b32 exec_lo, exec_lo, s31
	s_delay_alu instid0(SALU_CYCLE_1)
	s_and_b32 s13, s13, exec_lo
                                        ; implicit-def: $vgpr49
	s_or_saveexec_b32 s30, s30
	v_mov_b32_e32 v48, s17
	s_xor_b32 exec_lo, exec_lo, s30
	s_cbranch_execz .LBB6_11724
.LBB6_12358:                            ;   in Loop: Header=BB6_11312 Depth=3
	v_cmp_ne_u16_e32 vcc_lo, 0, v49
	v_mov_b32_e32 v48, 0
	s_and_not1_b32 s13, s13, exec_lo
	s_and_b32 s17, vcc_lo, exec_lo
	s_delay_alu instid0(SALU_CYCLE_1)
	s_or_b32 s13, s13, s17
	s_or_b32 exec_lo, exec_lo, s30
	s_and_saveexec_b32 s17, s13
	s_cbranch_execnz .LBB6_11725
	s_branch .LBB6_11726
.LBB6_12359:                            ;   in Loop: Header=BB6_11312 Depth=3
	s_mov_b32 s13, -1
	s_mov_b32 s31, exec_lo
                                        ; implicit-def: $sgpr17
	v_cmpx_eq_u16_e32 0x80, v52
; %bb.12360:                            ;   in Loop: Header=BB6_11312 Depth=3
	s_mov_b32 s17, 0x7f800001
	s_xor_b32 s13, exec_lo, -1
; %bb.12361:                            ;   in Loop: Header=BB6_11312 Depth=3
	s_or_b32 exec_lo, exec_lo, s31
	s_delay_alu instid0(SALU_CYCLE_1)
	s_and_b32 s13, s13, exec_lo
                                        ; implicit-def: $vgpr52
	s_or_saveexec_b32 s30, s30
	v_mov_b32_e32 v49, s17
	s_xor_b32 exec_lo, exec_lo, s30
	s_cbranch_execz .LBB6_11728
.LBB6_12362:                            ;   in Loop: Header=BB6_11312 Depth=3
	v_cmp_ne_u16_e32 vcc_lo, 0, v52
	v_mov_b32_e32 v49, 0
	s_and_not1_b32 s13, s13, exec_lo
	s_and_b32 s17, vcc_lo, exec_lo
	s_delay_alu instid0(SALU_CYCLE_1)
	s_or_b32 s13, s13, s17
	s_or_b32 exec_lo, exec_lo, s30
	s_and_saveexec_b32 s17, s13
	s_cbranch_execnz .LBB6_11729
	s_branch .LBB6_11730
.LBB6_12363:                            ;   in Loop: Header=BB6_11312 Depth=3
	s_mov_b32 s13, -1
	s_mov_b32 s31, exec_lo
                                        ; implicit-def: $sgpr17
	v_cmpx_eq_u16_e32 0x80, v48
; %bb.12364:                            ;   in Loop: Header=BB6_11312 Depth=3
	s_mov_b32 s17, 0x7f800001
	s_xor_b32 s13, exec_lo, -1
; %bb.12365:                            ;   in Loop: Header=BB6_11312 Depth=3
	s_or_b32 exec_lo, exec_lo, s31
	s_delay_alu instid0(SALU_CYCLE_1)
	s_and_b32 s13, s13, exec_lo
                                        ; implicit-def: $vgpr48
	s_or_saveexec_b32 s30, s30
	v_mov_b32_e32 v39, s17
	s_xor_b32 exec_lo, exec_lo, s30
	s_cbranch_execz .LBB6_11740
.LBB6_12366:                            ;   in Loop: Header=BB6_11312 Depth=3
	v_cmp_ne_u16_e32 vcc_lo, 0, v48
	v_mov_b32_e32 v39, 0
	s_and_not1_b32 s13, s13, exec_lo
	s_and_b32 s17, vcc_lo, exec_lo
	s_delay_alu instid0(SALU_CYCLE_1)
	s_or_b32 s13, s13, s17
	s_or_b32 exec_lo, exec_lo, s30
	s_and_saveexec_b32 s17, s13
	s_cbranch_execnz .LBB6_11741
	s_branch .LBB6_11742
.LBB6_12367:                            ;   in Loop: Header=BB6_11312 Depth=3
	s_mov_b32 s13, -1
	s_mov_b32 s31, exec_lo
                                        ; implicit-def: $sgpr17
	v_cmpx_eq_u16_e32 0x80, v49
; %bb.12368:                            ;   in Loop: Header=BB6_11312 Depth=3
	s_mov_b32 s17, 0x7f800001
	s_xor_b32 s13, exec_lo, -1
; %bb.12369:                            ;   in Loop: Header=BB6_11312 Depth=3
	s_or_b32 exec_lo, exec_lo, s31
	s_delay_alu instid0(SALU_CYCLE_1)
	s_and_b32 s13, s13, exec_lo
                                        ; implicit-def: $vgpr49
	s_or_saveexec_b32 s30, s30
	v_mov_b32_e32 v48, s17
	s_xor_b32 exec_lo, exec_lo, s30
	s_cbranch_execz .LBB6_11744
.LBB6_12370:                            ;   in Loop: Header=BB6_11312 Depth=3
	v_cmp_ne_u16_e32 vcc_lo, 0, v49
	v_mov_b32_e32 v48, 0
	s_and_not1_b32 s13, s13, exec_lo
	s_and_b32 s17, vcc_lo, exec_lo
	s_delay_alu instid0(SALU_CYCLE_1)
	s_or_b32 s13, s13, s17
	s_or_b32 exec_lo, exec_lo, s30
	s_and_saveexec_b32 s17, s13
	s_cbranch_execnz .LBB6_11745
	s_branch .LBB6_11746
.LBB6_12371:                            ;   in Loop: Header=BB6_11312 Depth=3
	s_mov_b32 s13, -1
	s_mov_b32 s31, exec_lo
                                        ; implicit-def: $sgpr17
	v_cmpx_eq_u16_e32 0x80, v39
; %bb.12372:                            ;   in Loop: Header=BB6_11312 Depth=3
	s_mov_b32 s17, 0x7f800001
	s_xor_b32 s13, exec_lo, -1
; %bb.12373:                            ;   in Loop: Header=BB6_11312 Depth=3
	s_or_b32 exec_lo, exec_lo, s31
	s_delay_alu instid0(SALU_CYCLE_1)
	s_and_b32 s13, s13, exec_lo
                                        ; implicit-def: $vgpr39
	s_or_saveexec_b32 s30, s30
	v_mov_b32_e32 v38, s17
	s_xor_b32 exec_lo, exec_lo, s30
	s_cbranch_execz .LBB6_11756
.LBB6_12374:                            ;   in Loop: Header=BB6_11312 Depth=3
	v_cmp_ne_u16_e32 vcc_lo, 0, v39
	v_mov_b32_e32 v38, 0
	s_and_not1_b32 s13, s13, exec_lo
	s_and_b32 s17, vcc_lo, exec_lo
	s_delay_alu instid0(SALU_CYCLE_1)
	s_or_b32 s13, s13, s17
	s_or_b32 exec_lo, exec_lo, s30
	s_and_saveexec_b32 s17, s13
	s_cbranch_execnz .LBB6_11757
	s_branch .LBB6_11758
.LBB6_12375:                            ;   in Loop: Header=BB6_11312 Depth=3
	s_mov_b32 s13, -1
	s_mov_b32 s31, exec_lo
                                        ; implicit-def: $sgpr17
	v_cmpx_eq_u16_e32 0x80, v48
; %bb.12376:                            ;   in Loop: Header=BB6_11312 Depth=3
	s_mov_b32 s17, 0x7f800001
	s_xor_b32 s13, exec_lo, -1
; %bb.12377:                            ;   in Loop: Header=BB6_11312 Depth=3
	s_or_b32 exec_lo, exec_lo, s31
	s_delay_alu instid0(SALU_CYCLE_1)
	s_and_b32 s13, s13, exec_lo
                                        ; implicit-def: $vgpr48
	s_or_saveexec_b32 s30, s30
	v_mov_b32_e32 v39, s17
	s_xor_b32 exec_lo, exec_lo, s30
	s_cbranch_execz .LBB6_11760
.LBB6_12378:                            ;   in Loop: Header=BB6_11312 Depth=3
	v_cmp_ne_u16_e32 vcc_lo, 0, v48
	v_mov_b32_e32 v39, 0
	s_and_not1_b32 s13, s13, exec_lo
	s_and_b32 s17, vcc_lo, exec_lo
	s_delay_alu instid0(SALU_CYCLE_1)
	s_or_b32 s13, s13, s17
	s_or_b32 exec_lo, exec_lo, s30
	s_and_saveexec_b32 s17, s13
	s_cbranch_execnz .LBB6_11761
	s_branch .LBB6_11762
.LBB6_12379:                            ;   in Loop: Header=BB6_11312 Depth=3
	s_mov_b32 s13, -1
	s_mov_b32 s31, exec_lo
                                        ; implicit-def: $sgpr17
	v_cmpx_eq_u16_e32 0x80, v38
; %bb.12380:                            ;   in Loop: Header=BB6_11312 Depth=3
	s_mov_b32 s17, 0x7f800001
	s_xor_b32 s13, exec_lo, -1
; %bb.12381:                            ;   in Loop: Header=BB6_11312 Depth=3
	s_or_b32 exec_lo, exec_lo, s31
	s_delay_alu instid0(SALU_CYCLE_1)
	s_and_b32 s13, s13, exec_lo
                                        ; implicit-def: $vgpr38
	s_or_saveexec_b32 s30, s30
	v_mov_b32_e32 v37, s17
	s_xor_b32 exec_lo, exec_lo, s30
	s_cbranch_execz .LBB6_11772
.LBB6_12382:                            ;   in Loop: Header=BB6_11312 Depth=3
	v_cmp_ne_u16_e32 vcc_lo, 0, v38
	v_mov_b32_e32 v37, 0
	s_and_not1_b32 s13, s13, exec_lo
	s_and_b32 s17, vcc_lo, exec_lo
	s_delay_alu instid0(SALU_CYCLE_1)
	s_or_b32 s13, s13, s17
	s_or_b32 exec_lo, exec_lo, s30
	s_and_saveexec_b32 s17, s13
	s_cbranch_execnz .LBB6_11773
	s_branch .LBB6_11774
.LBB6_12383:                            ;   in Loop: Header=BB6_11312 Depth=3
	s_mov_b32 s13, -1
	s_mov_b32 s31, exec_lo
                                        ; implicit-def: $sgpr17
	v_cmpx_eq_u16_e32 0x80, v39
; %bb.12384:                            ;   in Loop: Header=BB6_11312 Depth=3
	s_mov_b32 s17, 0x7f800001
	s_xor_b32 s13, exec_lo, -1
; %bb.12385:                            ;   in Loop: Header=BB6_11312 Depth=3
	s_or_b32 exec_lo, exec_lo, s31
	s_delay_alu instid0(SALU_CYCLE_1)
	s_and_b32 s13, s13, exec_lo
                                        ; implicit-def: $vgpr39
	s_or_saveexec_b32 s30, s30
	v_mov_b32_e32 v38, s17
	s_xor_b32 exec_lo, exec_lo, s30
	s_cbranch_execz .LBB6_11776
.LBB6_12386:                            ;   in Loop: Header=BB6_11312 Depth=3
	v_cmp_ne_u16_e32 vcc_lo, 0, v39
	v_mov_b32_e32 v38, 0
	s_and_not1_b32 s13, s13, exec_lo
	s_and_b32 s17, vcc_lo, exec_lo
	s_delay_alu instid0(SALU_CYCLE_1)
	s_or_b32 s13, s13, s17
	s_or_b32 exec_lo, exec_lo, s30
	s_and_saveexec_b32 s17, s13
	s_cbranch_execnz .LBB6_11777
	s_branch .LBB6_11778
.LBB6_12387:                            ;   in Loop: Header=BB6_11312 Depth=3
	s_mov_b32 s13, -1
	s_mov_b32 s31, exec_lo
                                        ; implicit-def: $sgpr17
	v_cmpx_eq_u16_e32 0x80, v37
; %bb.12388:                            ;   in Loop: Header=BB6_11312 Depth=3
	s_mov_b32 s17, 0x7f800001
	s_xor_b32 s13, exec_lo, -1
; %bb.12389:                            ;   in Loop: Header=BB6_11312 Depth=3
	s_or_b32 exec_lo, exec_lo, s31
	s_delay_alu instid0(SALU_CYCLE_1)
	s_and_b32 s13, s13, exec_lo
                                        ; implicit-def: $vgpr37
	s_or_saveexec_b32 s30, s30
	v_mov_b32_e32 v36, s17
	s_xor_b32 exec_lo, exec_lo, s30
	s_cbranch_execz .LBB6_11788
.LBB6_12390:                            ;   in Loop: Header=BB6_11312 Depth=3
	v_cmp_ne_u16_e32 vcc_lo, 0, v37
	v_mov_b32_e32 v36, 0
	s_and_not1_b32 s13, s13, exec_lo
	s_and_b32 s17, vcc_lo, exec_lo
	s_delay_alu instid0(SALU_CYCLE_1)
	s_or_b32 s13, s13, s17
	s_or_b32 exec_lo, exec_lo, s30
	s_and_saveexec_b32 s17, s13
	s_cbranch_execnz .LBB6_11789
	s_branch .LBB6_11790
.LBB6_12391:                            ;   in Loop: Header=BB6_11312 Depth=3
	s_mov_b32 s13, -1
	s_mov_b32 s31, exec_lo
                                        ; implicit-def: $sgpr17
	v_cmpx_eq_u16_e32 0x80, v38
; %bb.12392:                            ;   in Loop: Header=BB6_11312 Depth=3
	s_mov_b32 s17, 0x7f800001
	s_xor_b32 s13, exec_lo, -1
; %bb.12393:                            ;   in Loop: Header=BB6_11312 Depth=3
	s_or_b32 exec_lo, exec_lo, s31
	s_delay_alu instid0(SALU_CYCLE_1)
	s_and_b32 s13, s13, exec_lo
                                        ; implicit-def: $vgpr38
	s_or_saveexec_b32 s30, s30
	v_mov_b32_e32 v37, s17
	s_xor_b32 exec_lo, exec_lo, s30
	s_cbranch_execz .LBB6_11792
.LBB6_12394:                            ;   in Loop: Header=BB6_11312 Depth=3
	v_cmp_ne_u16_e32 vcc_lo, 0, v38
	v_mov_b32_e32 v37, 0
	s_and_not1_b32 s13, s13, exec_lo
	s_and_b32 s17, vcc_lo, exec_lo
	s_delay_alu instid0(SALU_CYCLE_1)
	s_or_b32 s13, s13, s17
	s_or_b32 exec_lo, exec_lo, s30
	s_and_saveexec_b32 s17, s13
	s_cbranch_execnz .LBB6_11793
	s_branch .LBB6_11794
.LBB6_12395:                            ;   in Loop: Header=BB6_11312 Depth=3
	s_mov_b32 s13, -1
	s_mov_b32 s31, exec_lo
                                        ; implicit-def: $sgpr17
	v_cmpx_eq_u16_e32 0x80, v36
; %bb.12396:                            ;   in Loop: Header=BB6_11312 Depth=3
	s_mov_b32 s17, 0x7f800001
	s_xor_b32 s13, exec_lo, -1
; %bb.12397:                            ;   in Loop: Header=BB6_11312 Depth=3
	s_or_b32 exec_lo, exec_lo, s31
	s_delay_alu instid0(SALU_CYCLE_1)
	s_and_b32 s13, s13, exec_lo
                                        ; implicit-def: $vgpr36
	s_or_saveexec_b32 s30, s30
	v_mov_b32_e32 v27, s17
	s_xor_b32 exec_lo, exec_lo, s30
	s_cbranch_execz .LBB6_11804
.LBB6_12398:                            ;   in Loop: Header=BB6_11312 Depth=3
	v_cmp_ne_u16_e32 vcc_lo, 0, v36
	v_mov_b32_e32 v27, 0
	s_and_not1_b32 s13, s13, exec_lo
	s_and_b32 s17, vcc_lo, exec_lo
	s_delay_alu instid0(SALU_CYCLE_1)
	s_or_b32 s13, s13, s17
	s_or_b32 exec_lo, exec_lo, s30
	s_and_saveexec_b32 s17, s13
	s_cbranch_execnz .LBB6_11805
	s_branch .LBB6_11806
.LBB6_12399:                            ;   in Loop: Header=BB6_11312 Depth=3
	s_mov_b32 s13, -1
	s_mov_b32 s31, exec_lo
                                        ; implicit-def: $sgpr17
	v_cmpx_eq_u16_e32 0x80, v37
; %bb.12400:                            ;   in Loop: Header=BB6_11312 Depth=3
	s_mov_b32 s17, 0x7f800001
	s_xor_b32 s13, exec_lo, -1
; %bb.12401:                            ;   in Loop: Header=BB6_11312 Depth=3
	s_or_b32 exec_lo, exec_lo, s31
	s_delay_alu instid0(SALU_CYCLE_1)
	s_and_b32 s13, s13, exec_lo
                                        ; implicit-def: $vgpr37
	s_or_saveexec_b32 s30, s30
	v_mov_b32_e32 v36, s17
	s_xor_b32 exec_lo, exec_lo, s30
	s_cbranch_execz .LBB6_11808
.LBB6_12402:                            ;   in Loop: Header=BB6_11312 Depth=3
	v_cmp_ne_u16_e32 vcc_lo, 0, v37
	v_mov_b32_e32 v36, 0
	s_and_not1_b32 s13, s13, exec_lo
	s_and_b32 s17, vcc_lo, exec_lo
	s_delay_alu instid0(SALU_CYCLE_1)
	s_or_b32 s13, s13, s17
	s_or_b32 exec_lo, exec_lo, s30
	s_and_saveexec_b32 s17, s13
	s_cbranch_execnz .LBB6_11809
	s_branch .LBB6_11810
.LBB6_12403:                            ;   in Loop: Header=BB6_11312 Depth=3
	s_mov_b32 s13, -1
	s_mov_b32 s31, exec_lo
                                        ; implicit-def: $sgpr17
	v_cmpx_eq_u16_e32 0x80, v27
; %bb.12404:                            ;   in Loop: Header=BB6_11312 Depth=3
	s_mov_b32 s17, 0x7f800001
	s_xor_b32 s13, exec_lo, -1
; %bb.12405:                            ;   in Loop: Header=BB6_11312 Depth=3
	s_or_b32 exec_lo, exec_lo, s31
	s_delay_alu instid0(SALU_CYCLE_1)
	s_and_b32 s13, s13, exec_lo
                                        ; implicit-def: $vgpr27
	s_or_saveexec_b32 s30, s30
	v_mov_b32_e32 v26, s17
	s_xor_b32 exec_lo, exec_lo, s30
	s_cbranch_execz .LBB6_11820
.LBB6_12406:                            ;   in Loop: Header=BB6_11312 Depth=3
	v_cmp_ne_u16_e32 vcc_lo, 0, v27
	v_mov_b32_e32 v26, 0
	s_and_not1_b32 s13, s13, exec_lo
	s_and_b32 s17, vcc_lo, exec_lo
	s_delay_alu instid0(SALU_CYCLE_1)
	s_or_b32 s13, s13, s17
	s_or_b32 exec_lo, exec_lo, s30
	s_and_saveexec_b32 s17, s13
	s_cbranch_execnz .LBB6_11821
	s_branch .LBB6_11822
.LBB6_12407:                            ;   in Loop: Header=BB6_11312 Depth=3
	s_mov_b32 s13, -1
	s_mov_b32 s31, exec_lo
                                        ; implicit-def: $sgpr17
	v_cmpx_eq_u16_e32 0x80, v36
; %bb.12408:                            ;   in Loop: Header=BB6_11312 Depth=3
	s_mov_b32 s17, 0x7f800001
	s_xor_b32 s13, exec_lo, -1
; %bb.12409:                            ;   in Loop: Header=BB6_11312 Depth=3
	s_or_b32 exec_lo, exec_lo, s31
	s_delay_alu instid0(SALU_CYCLE_1)
	s_and_b32 s13, s13, exec_lo
                                        ; implicit-def: $vgpr36
	s_or_saveexec_b32 s30, s30
	v_mov_b32_e32 v27, s17
	s_xor_b32 exec_lo, exec_lo, s30
	s_cbranch_execz .LBB6_11824
.LBB6_12410:                            ;   in Loop: Header=BB6_11312 Depth=3
	v_cmp_ne_u16_e32 vcc_lo, 0, v36
	v_mov_b32_e32 v27, 0
	s_and_not1_b32 s13, s13, exec_lo
	s_and_b32 s17, vcc_lo, exec_lo
	s_delay_alu instid0(SALU_CYCLE_1)
	s_or_b32 s13, s13, s17
	s_or_b32 exec_lo, exec_lo, s30
	s_and_saveexec_b32 s17, s13
	s_cbranch_execnz .LBB6_11825
	s_branch .LBB6_11826
.LBB6_12411:                            ;   in Loop: Header=BB6_11312 Depth=3
	s_mov_b32 s13, -1
	s_mov_b32 s31, exec_lo
                                        ; implicit-def: $sgpr17
	v_cmpx_eq_u16_e32 0x80, v27
; %bb.12412:                            ;   in Loop: Header=BB6_11312 Depth=3
	s_mov_b32 s17, 0x7f800001
	s_xor_b32 s13, exec_lo, -1
; %bb.12413:                            ;   in Loop: Header=BB6_11312 Depth=3
	s_or_b32 exec_lo, exec_lo, s31
	s_delay_alu instid0(SALU_CYCLE_1)
	s_and_b32 s13, s13, exec_lo
                                        ; implicit-def: $vgpr27
	s_or_saveexec_b32 s30, s30
	v_mov_b32_e32 v26, s17
	s_xor_b32 exec_lo, exec_lo, s30
	s_cbranch_execz .LBB6_11836
.LBB6_12414:                            ;   in Loop: Header=BB6_11312 Depth=3
	v_cmp_ne_u16_e32 vcc_lo, 0, v27
	v_mov_b32_e32 v26, 0
	s_and_not1_b32 s13, s13, exec_lo
	s_and_b32 s17, vcc_lo, exec_lo
	s_delay_alu instid0(SALU_CYCLE_1)
	s_or_b32 s13, s13, s17
	s_or_b32 exec_lo, exec_lo, s30
	s_and_saveexec_b32 s17, s13
	s_cbranch_execnz .LBB6_11837
	s_branch .LBB6_11838
.LBB6_12415:                            ;   in Loop: Header=BB6_11312 Depth=3
	s_mov_b32 s13, -1
	s_mov_b32 s31, exec_lo
                                        ; implicit-def: $sgpr17
	v_cmpx_eq_u16_e32 0x80, v36
; %bb.12416:                            ;   in Loop: Header=BB6_11312 Depth=3
	s_mov_b32 s17, 0x7f800001
	s_xor_b32 s13, exec_lo, -1
; %bb.12417:                            ;   in Loop: Header=BB6_11312 Depth=3
	s_or_b32 exec_lo, exec_lo, s31
	s_delay_alu instid0(SALU_CYCLE_1)
	s_and_b32 s13, s13, exec_lo
                                        ; implicit-def: $vgpr36
	s_or_saveexec_b32 s30, s30
	v_mov_b32_e32 v27, s17
	s_xor_b32 exec_lo, exec_lo, s30
	s_cbranch_execz .LBB6_11840
.LBB6_12418:                            ;   in Loop: Header=BB6_11312 Depth=3
	v_cmp_ne_u16_e32 vcc_lo, 0, v36
	v_mov_b32_e32 v27, 0
	s_and_not1_b32 s13, s13, exec_lo
	s_and_b32 s17, vcc_lo, exec_lo
	s_delay_alu instid0(SALU_CYCLE_1)
	s_or_b32 s13, s13, s17
	s_or_b32 exec_lo, exec_lo, s30
	s_and_saveexec_b32 s17, s13
	s_cbranch_execnz .LBB6_11841
	s_branch .LBB6_11842
.LBB6_12419:                            ;   in Loop: Header=BB6_11312 Depth=3
	s_mov_b32 s13, -1
	s_mov_b32 s31, exec_lo
                                        ; implicit-def: $sgpr17
	v_cmpx_eq_u16_e32 0x80, v27
; %bb.12420:                            ;   in Loop: Header=BB6_11312 Depth=3
	s_mov_b32 s17, 0x7f800001
	s_xor_b32 s13, exec_lo, -1
; %bb.12421:                            ;   in Loop: Header=BB6_11312 Depth=3
	s_or_b32 exec_lo, exec_lo, s31
	s_delay_alu instid0(SALU_CYCLE_1)
	s_and_b32 s13, s13, exec_lo
                                        ; implicit-def: $vgpr27
	s_or_saveexec_b32 s30, s30
	v_mov_b32_e32 v26, s17
	s_xor_b32 exec_lo, exec_lo, s30
	s_cbranch_execz .LBB6_11852
.LBB6_12422:                            ;   in Loop: Header=BB6_11312 Depth=3
	v_cmp_ne_u16_e32 vcc_lo, 0, v27
	v_mov_b32_e32 v26, 0
	s_and_not1_b32 s13, s13, exec_lo
	s_and_b32 s17, vcc_lo, exec_lo
	s_delay_alu instid0(SALU_CYCLE_1)
	s_or_b32 s13, s13, s17
	s_or_b32 exec_lo, exec_lo, s30
	s_and_saveexec_b32 s17, s13
	s_cbranch_execnz .LBB6_11853
	s_branch .LBB6_11854
.LBB6_12423:                            ;   in Loop: Header=BB6_11312 Depth=3
	s_mov_b32 s13, -1
	s_mov_b32 s31, exec_lo
                                        ; implicit-def: $sgpr17
	v_cmpx_eq_u16_e32 0x80, v36
; %bb.12424:                            ;   in Loop: Header=BB6_11312 Depth=3
	s_mov_b32 s17, 0x7f800001
	s_xor_b32 s13, exec_lo, -1
; %bb.12425:                            ;   in Loop: Header=BB6_11312 Depth=3
	s_or_b32 exec_lo, exec_lo, s31
	s_delay_alu instid0(SALU_CYCLE_1)
	s_and_b32 s13, s13, exec_lo
                                        ; implicit-def: $vgpr36
	s_or_saveexec_b32 s30, s30
	v_mov_b32_e32 v27, s17
	s_xor_b32 exec_lo, exec_lo, s30
	s_cbranch_execz .LBB6_11856
.LBB6_12426:                            ;   in Loop: Header=BB6_11312 Depth=3
	v_cmp_ne_u16_e32 vcc_lo, 0, v36
	v_mov_b32_e32 v27, 0
	s_and_not1_b32 s13, s13, exec_lo
	s_and_b32 s17, vcc_lo, exec_lo
	s_delay_alu instid0(SALU_CYCLE_1)
	s_or_b32 s13, s13, s17
	s_or_b32 exec_lo, exec_lo, s30
	s_and_saveexec_b32 s17, s13
	s_cbranch_execnz .LBB6_11857
	s_branch .LBB6_11858
.LBB6_12427:                            ;   in Loop: Header=BB6_11312 Depth=3
	s_mov_b32 s13, -1
	s_mov_b32 s31, exec_lo
                                        ; implicit-def: $sgpr17
	v_cmpx_eq_u16_e32 0x80, v27
; %bb.12428:                            ;   in Loop: Header=BB6_11312 Depth=3
	s_mov_b32 s17, 0x7f800001
	s_xor_b32 s13, exec_lo, -1
; %bb.12429:                            ;   in Loop: Header=BB6_11312 Depth=3
	s_or_b32 exec_lo, exec_lo, s31
	s_delay_alu instid0(SALU_CYCLE_1)
	s_and_b32 s13, s13, exec_lo
                                        ; implicit-def: $vgpr27
	s_or_saveexec_b32 s30, s30
	v_mov_b32_e32 v26, s17
	s_xor_b32 exec_lo, exec_lo, s30
	s_cbranch_execz .LBB6_11868
.LBB6_12430:                            ;   in Loop: Header=BB6_11312 Depth=3
	v_cmp_ne_u16_e32 vcc_lo, 0, v27
	v_mov_b32_e32 v26, 0
	s_and_not1_b32 s13, s13, exec_lo
	s_and_b32 s17, vcc_lo, exec_lo
	s_delay_alu instid0(SALU_CYCLE_1)
	s_or_b32 s13, s13, s17
	s_or_b32 exec_lo, exec_lo, s30
	s_and_saveexec_b32 s17, s13
	s_cbranch_execnz .LBB6_11869
	s_branch .LBB6_11870
.LBB6_12431:                            ;   in Loop: Header=BB6_11312 Depth=3
	s_mov_b32 s13, -1
	s_mov_b32 s31, exec_lo
                                        ; implicit-def: $sgpr17
	v_cmpx_eq_u16_e32 0x80, v36
; %bb.12432:                            ;   in Loop: Header=BB6_11312 Depth=3
	s_mov_b32 s17, 0x7f800001
	s_xor_b32 s13, exec_lo, -1
; %bb.12433:                            ;   in Loop: Header=BB6_11312 Depth=3
	s_or_b32 exec_lo, exec_lo, s31
	s_delay_alu instid0(SALU_CYCLE_1)
	s_and_b32 s13, s13, exec_lo
                                        ; implicit-def: $vgpr36
	s_or_saveexec_b32 s30, s30
	v_mov_b32_e32 v27, s17
	s_xor_b32 exec_lo, exec_lo, s30
	s_cbranch_execz .LBB6_11872
.LBB6_12434:                            ;   in Loop: Header=BB6_11312 Depth=3
	v_cmp_ne_u16_e32 vcc_lo, 0, v36
	v_mov_b32_e32 v27, 0
	s_and_not1_b32 s13, s13, exec_lo
	s_and_b32 s17, vcc_lo, exec_lo
	s_delay_alu instid0(SALU_CYCLE_1)
	s_or_b32 s13, s13, s17
	s_or_b32 exec_lo, exec_lo, s30
	s_and_saveexec_b32 s17, s13
	s_cbranch_execnz .LBB6_11873
	s_branch .LBB6_11874
.LBB6_12435:                            ;   in Loop: Header=BB6_11312 Depth=3
	s_mov_b32 s13, -1
	s_mov_b32 s31, exec_lo
                                        ; implicit-def: $sgpr17
	v_cmpx_eq_u16_e32 0x80, v27
; %bb.12436:                            ;   in Loop: Header=BB6_11312 Depth=3
	s_mov_b32 s17, 0x7f800001
	s_xor_b32 s13, exec_lo, -1
; %bb.12437:                            ;   in Loop: Header=BB6_11312 Depth=3
	s_or_b32 exec_lo, exec_lo, s31
	s_delay_alu instid0(SALU_CYCLE_1)
	s_and_b32 s13, s13, exec_lo
                                        ; implicit-def: $vgpr27
	s_or_saveexec_b32 s30, s30
	v_mov_b32_e32 v26, s17
	s_xor_b32 exec_lo, exec_lo, s30
	s_cbranch_execz .LBB6_11884
.LBB6_12438:                            ;   in Loop: Header=BB6_11312 Depth=3
	v_cmp_ne_u16_e32 vcc_lo, 0, v27
	v_mov_b32_e32 v26, 0
	s_and_not1_b32 s13, s13, exec_lo
	s_and_b32 s17, vcc_lo, exec_lo
	s_delay_alu instid0(SALU_CYCLE_1)
	s_or_b32 s13, s13, s17
	s_or_b32 exec_lo, exec_lo, s30
	s_and_saveexec_b32 s17, s13
	s_cbranch_execnz .LBB6_11885
	s_branch .LBB6_11886
.LBB6_12439:                            ;   in Loop: Header=BB6_11312 Depth=3
	s_mov_b32 s13, -1
	s_mov_b32 s31, exec_lo
                                        ; implicit-def: $sgpr17
	v_cmpx_eq_u16_e32 0x80, v36
; %bb.12440:                            ;   in Loop: Header=BB6_11312 Depth=3
	s_mov_b32 s17, 0x7f800001
	s_xor_b32 s13, exec_lo, -1
; %bb.12441:                            ;   in Loop: Header=BB6_11312 Depth=3
	s_or_b32 exec_lo, exec_lo, s31
	s_delay_alu instid0(SALU_CYCLE_1)
	s_and_b32 s13, s13, exec_lo
                                        ; implicit-def: $vgpr36
	s_or_saveexec_b32 s30, s30
	v_mov_b32_e32 v27, s17
	s_xor_b32 exec_lo, exec_lo, s30
	s_cbranch_execz .LBB6_11888
.LBB6_12442:                            ;   in Loop: Header=BB6_11312 Depth=3
	v_cmp_ne_u16_e32 vcc_lo, 0, v36
	v_mov_b32_e32 v27, 0
	s_and_not1_b32 s13, s13, exec_lo
	s_and_b32 s17, vcc_lo, exec_lo
	s_delay_alu instid0(SALU_CYCLE_1)
	s_or_b32 s13, s13, s17
	s_or_b32 exec_lo, exec_lo, s30
	s_and_saveexec_b32 s17, s13
	s_cbranch_execnz .LBB6_11889
	s_branch .LBB6_11890
.LBB6_12443:                            ;   in Loop: Header=BB6_11312 Depth=3
	s_mov_b32 s13, -1
	s_mov_b32 s31, exec_lo
                                        ; implicit-def: $sgpr17
	v_cmpx_eq_u16_e32 0x80, v27
; %bb.12444:                            ;   in Loop: Header=BB6_11312 Depth=3
	s_mov_b32 s17, 0x7f800001
	s_xor_b32 s13, exec_lo, -1
; %bb.12445:                            ;   in Loop: Header=BB6_11312 Depth=3
	s_or_b32 exec_lo, exec_lo, s31
	s_delay_alu instid0(SALU_CYCLE_1)
	s_and_b32 s13, s13, exec_lo
                                        ; implicit-def: $vgpr27
	s_or_saveexec_b32 s30, s30
	v_mov_b32_e32 v26, s17
	s_xor_b32 exec_lo, exec_lo, s30
	s_cbranch_execz .LBB6_11900
.LBB6_12446:                            ;   in Loop: Header=BB6_11312 Depth=3
	v_cmp_ne_u16_e32 vcc_lo, 0, v27
	v_mov_b32_e32 v26, 0
	s_and_not1_b32 s13, s13, exec_lo
	s_and_b32 s17, vcc_lo, exec_lo
	s_delay_alu instid0(SALU_CYCLE_1)
	s_or_b32 s13, s13, s17
	s_or_b32 exec_lo, exec_lo, s30
	s_and_saveexec_b32 s17, s13
	s_cbranch_execnz .LBB6_11901
	s_branch .LBB6_11902
.LBB6_12447:                            ;   in Loop: Header=BB6_11312 Depth=3
	s_mov_b32 s13, -1
	s_mov_b32 s31, exec_lo
                                        ; implicit-def: $sgpr17
	v_cmpx_eq_u16_e32 0x80, v36
; %bb.12448:                            ;   in Loop: Header=BB6_11312 Depth=3
	s_mov_b32 s17, 0x7f800001
	s_xor_b32 s13, exec_lo, -1
; %bb.12449:                            ;   in Loop: Header=BB6_11312 Depth=3
	s_or_b32 exec_lo, exec_lo, s31
	s_delay_alu instid0(SALU_CYCLE_1)
	s_and_b32 s13, s13, exec_lo
                                        ; implicit-def: $vgpr36
	s_or_saveexec_b32 s30, s30
	v_mov_b32_e32 v27, s17
	s_xor_b32 exec_lo, exec_lo, s30
	s_cbranch_execz .LBB6_11904
.LBB6_12450:                            ;   in Loop: Header=BB6_11312 Depth=3
	v_cmp_ne_u16_e32 vcc_lo, 0, v36
	v_mov_b32_e32 v27, 0
	s_and_not1_b32 s13, s13, exec_lo
	s_and_b32 s17, vcc_lo, exec_lo
	s_delay_alu instid0(SALU_CYCLE_1)
	s_or_b32 s13, s13, s17
	s_or_b32 exec_lo, exec_lo, s30
	s_and_saveexec_b32 s17, s13
	s_cbranch_execnz .LBB6_11905
	s_branch .LBB6_11906
.LBB6_12451:                            ;   in Loop: Header=BB6_11312 Depth=3
	s_mov_b32 s13, -1
	s_mov_b32 s31, exec_lo
                                        ; implicit-def: $sgpr17
	v_cmpx_eq_u16_e32 0x80, v27
; %bb.12452:                            ;   in Loop: Header=BB6_11312 Depth=3
	s_mov_b32 s17, 0x7f800001
	s_xor_b32 s13, exec_lo, -1
; %bb.12453:                            ;   in Loop: Header=BB6_11312 Depth=3
	s_or_b32 exec_lo, exec_lo, s31
	s_delay_alu instid0(SALU_CYCLE_1)
	s_and_b32 s13, s13, exec_lo
                                        ; implicit-def: $vgpr27
	s_or_saveexec_b32 s30, s30
	v_mov_b32_e32 v26, s17
	s_xor_b32 exec_lo, exec_lo, s30
	s_cbranch_execz .LBB6_11916
.LBB6_12454:                            ;   in Loop: Header=BB6_11312 Depth=3
	v_cmp_ne_u16_e32 vcc_lo, 0, v27
	v_mov_b32_e32 v26, 0
	s_and_not1_b32 s13, s13, exec_lo
	s_and_b32 s17, vcc_lo, exec_lo
	s_delay_alu instid0(SALU_CYCLE_1)
	s_or_b32 s13, s13, s17
	s_or_b32 exec_lo, exec_lo, s30
	s_and_saveexec_b32 s17, s13
	s_cbranch_execnz .LBB6_11917
	s_branch .LBB6_11918
.LBB6_12455:                            ;   in Loop: Header=BB6_11312 Depth=3
	s_mov_b32 s13, -1
	s_mov_b32 s31, exec_lo
                                        ; implicit-def: $sgpr17
	v_cmpx_eq_u16_e32 0x80, v36
; %bb.12456:                            ;   in Loop: Header=BB6_11312 Depth=3
	s_mov_b32 s17, 0x7f800001
	s_xor_b32 s13, exec_lo, -1
; %bb.12457:                            ;   in Loop: Header=BB6_11312 Depth=3
	s_or_b32 exec_lo, exec_lo, s31
	s_delay_alu instid0(SALU_CYCLE_1)
	s_and_b32 s13, s13, exec_lo
                                        ; implicit-def: $vgpr36
	s_or_saveexec_b32 s30, s30
	v_mov_b32_e32 v27, s17
	s_xor_b32 exec_lo, exec_lo, s30
	s_cbranch_execz .LBB6_11920
.LBB6_12458:                            ;   in Loop: Header=BB6_11312 Depth=3
	v_cmp_ne_u16_e32 vcc_lo, 0, v36
	v_mov_b32_e32 v27, 0
	s_and_not1_b32 s13, s13, exec_lo
	s_and_b32 s17, vcc_lo, exec_lo
	s_delay_alu instid0(SALU_CYCLE_1)
	s_or_b32 s13, s13, s17
	s_or_b32 exec_lo, exec_lo, s30
	s_and_saveexec_b32 s17, s13
	s_cbranch_execnz .LBB6_11921
	s_branch .LBB6_11922
.LBB6_12459:                            ;   in Loop: Header=BB6_11312 Depth=3
	s_mov_b32 s13, -1
	s_mov_b32 s31, exec_lo
                                        ; implicit-def: $sgpr17
	v_cmpx_eq_u16_e32 0x80, v27
; %bb.12460:                            ;   in Loop: Header=BB6_11312 Depth=3
	s_mov_b32 s17, 0x7f800001
	s_xor_b32 s13, exec_lo, -1
; %bb.12461:                            ;   in Loop: Header=BB6_11312 Depth=3
	s_or_b32 exec_lo, exec_lo, s31
	s_delay_alu instid0(SALU_CYCLE_1)
	s_and_b32 s13, s13, exec_lo
                                        ; implicit-def: $vgpr27
	s_or_saveexec_b32 s30, s30
	v_mov_b32_e32 v26, s17
	s_xor_b32 exec_lo, exec_lo, s30
	s_cbranch_execz .LBB6_11932
.LBB6_12462:                            ;   in Loop: Header=BB6_11312 Depth=3
	v_cmp_ne_u16_e32 vcc_lo, 0, v27
	v_mov_b32_e32 v26, 0
	s_and_not1_b32 s13, s13, exec_lo
	s_and_b32 s17, vcc_lo, exec_lo
	s_delay_alu instid0(SALU_CYCLE_1)
	s_or_b32 s13, s13, s17
	s_or_b32 exec_lo, exec_lo, s30
	s_and_saveexec_b32 s17, s13
	s_cbranch_execnz .LBB6_11933
	s_branch .LBB6_11934
.LBB6_12463:                            ;   in Loop: Header=BB6_11312 Depth=3
	s_mov_b32 s13, -1
	s_mov_b32 s31, exec_lo
                                        ; implicit-def: $sgpr17
	v_cmpx_eq_u16_e32 0x80, v36
; %bb.12464:                            ;   in Loop: Header=BB6_11312 Depth=3
	s_mov_b32 s17, 0x7f800001
	s_xor_b32 s13, exec_lo, -1
; %bb.12465:                            ;   in Loop: Header=BB6_11312 Depth=3
	s_or_b32 exec_lo, exec_lo, s31
	s_delay_alu instid0(SALU_CYCLE_1)
	s_and_b32 s13, s13, exec_lo
                                        ; implicit-def: $vgpr36
	s_or_saveexec_b32 s30, s30
	v_mov_b32_e32 v27, s17
	s_xor_b32 exec_lo, exec_lo, s30
	s_cbranch_execz .LBB6_11936
.LBB6_12466:                            ;   in Loop: Header=BB6_11312 Depth=3
	v_cmp_ne_u16_e32 vcc_lo, 0, v36
	v_mov_b32_e32 v27, 0
	s_and_not1_b32 s13, s13, exec_lo
	s_and_b32 s17, vcc_lo, exec_lo
	s_delay_alu instid0(SALU_CYCLE_1)
	s_or_b32 s13, s13, s17
	s_or_b32 exec_lo, exec_lo, s30
	s_and_saveexec_b32 s17, s13
	s_cbranch_execnz .LBB6_11937
	s_branch .LBB6_11938
.LBB6_12467:                            ;   in Loop: Header=BB6_11312 Depth=3
	s_mov_b32 s13, -1
	s_mov_b32 s31, exec_lo
                                        ; implicit-def: $sgpr17
	v_cmpx_eq_u16_e32 0x80, v27
; %bb.12468:                            ;   in Loop: Header=BB6_11312 Depth=3
	s_mov_b32 s17, 0x7f800001
	s_xor_b32 s13, exec_lo, -1
; %bb.12469:                            ;   in Loop: Header=BB6_11312 Depth=3
	s_or_b32 exec_lo, exec_lo, s31
	s_delay_alu instid0(SALU_CYCLE_1)
	s_and_b32 s13, s13, exec_lo
                                        ; implicit-def: $vgpr27
	s_or_saveexec_b32 s30, s30
	v_mov_b32_e32 v26, s17
	s_xor_b32 exec_lo, exec_lo, s30
	s_cbranch_execz .LBB6_11948
.LBB6_12470:                            ;   in Loop: Header=BB6_11312 Depth=3
	v_cmp_ne_u16_e32 vcc_lo, 0, v27
	v_mov_b32_e32 v26, 0
	s_and_not1_b32 s13, s13, exec_lo
	s_and_b32 s17, vcc_lo, exec_lo
	s_delay_alu instid0(SALU_CYCLE_1)
	s_or_b32 s13, s13, s17
	s_or_b32 exec_lo, exec_lo, s30
	s_and_saveexec_b32 s17, s13
	s_cbranch_execnz .LBB6_11949
	s_branch .LBB6_11950
.LBB6_12471:                            ;   in Loop: Header=BB6_11312 Depth=3
	s_mov_b32 s13, -1
	s_mov_b32 s31, exec_lo
                                        ; implicit-def: $sgpr17
	v_cmpx_eq_u16_e32 0x80, v36
; %bb.12472:                            ;   in Loop: Header=BB6_11312 Depth=3
	s_mov_b32 s17, 0x7f800001
	s_xor_b32 s13, exec_lo, -1
; %bb.12473:                            ;   in Loop: Header=BB6_11312 Depth=3
	s_or_b32 exec_lo, exec_lo, s31
	s_delay_alu instid0(SALU_CYCLE_1)
	s_and_b32 s13, s13, exec_lo
                                        ; implicit-def: $vgpr36
	s_or_saveexec_b32 s30, s30
	v_mov_b32_e32 v27, s17
	s_xor_b32 exec_lo, exec_lo, s30
	s_cbranch_execz .LBB6_11952
.LBB6_12474:                            ;   in Loop: Header=BB6_11312 Depth=3
	v_cmp_ne_u16_e32 vcc_lo, 0, v36
	v_mov_b32_e32 v27, 0
	s_and_not1_b32 s13, s13, exec_lo
	s_and_b32 s17, vcc_lo, exec_lo
	s_delay_alu instid0(SALU_CYCLE_1)
	s_or_b32 s13, s13, s17
	s_or_b32 exec_lo, exec_lo, s30
	s_and_saveexec_b32 s17, s13
	s_cbranch_execnz .LBB6_11953
	s_branch .LBB6_11954
.LBB6_12475:                            ;   in Loop: Header=BB6_11312 Depth=3
	s_mov_b32 s13, -1
	s_mov_b32 s31, exec_lo
                                        ; implicit-def: $sgpr17
	v_cmpx_eq_u16_e32 0x80, v27
; %bb.12476:                            ;   in Loop: Header=BB6_11312 Depth=3
	s_mov_b32 s17, 0x7f800001
	s_xor_b32 s13, exec_lo, -1
; %bb.12477:                            ;   in Loop: Header=BB6_11312 Depth=3
	s_or_b32 exec_lo, exec_lo, s31
	s_delay_alu instid0(SALU_CYCLE_1)
	s_and_b32 s13, s13, exec_lo
                                        ; implicit-def: $vgpr27
	s_or_saveexec_b32 s30, s30
	v_mov_b32_e32 v26, s17
	s_xor_b32 exec_lo, exec_lo, s30
	s_cbranch_execz .LBB6_11964
.LBB6_12478:                            ;   in Loop: Header=BB6_11312 Depth=3
	v_cmp_ne_u16_e32 vcc_lo, 0, v27
	v_mov_b32_e32 v26, 0
	s_and_not1_b32 s13, s13, exec_lo
	s_and_b32 s17, vcc_lo, exec_lo
	s_delay_alu instid0(SALU_CYCLE_1)
	s_or_b32 s13, s13, s17
	s_or_b32 exec_lo, exec_lo, s30
	s_and_saveexec_b32 s17, s13
	s_cbranch_execnz .LBB6_11965
	s_branch .LBB6_11966
.LBB6_12479:                            ;   in Loop: Header=BB6_11312 Depth=3
	s_mov_b32 s13, -1
	s_mov_b32 s31, exec_lo
                                        ; implicit-def: $sgpr17
	v_cmpx_eq_u16_e32 0x80, v36
; %bb.12480:                            ;   in Loop: Header=BB6_11312 Depth=3
	s_mov_b32 s17, 0x7f800001
	s_xor_b32 s13, exec_lo, -1
; %bb.12481:                            ;   in Loop: Header=BB6_11312 Depth=3
	s_or_b32 exec_lo, exec_lo, s31
	s_delay_alu instid0(SALU_CYCLE_1)
	s_and_b32 s13, s13, exec_lo
                                        ; implicit-def: $vgpr36
	s_or_saveexec_b32 s30, s30
	v_mov_b32_e32 v27, s17
	s_xor_b32 exec_lo, exec_lo, s30
	s_cbranch_execz .LBB6_11968
.LBB6_12482:                            ;   in Loop: Header=BB6_11312 Depth=3
	v_cmp_ne_u16_e32 vcc_lo, 0, v36
	v_mov_b32_e32 v27, 0
	s_and_not1_b32 s13, s13, exec_lo
	s_and_b32 s17, vcc_lo, exec_lo
	s_delay_alu instid0(SALU_CYCLE_1)
	s_or_b32 s13, s13, s17
	s_or_b32 exec_lo, exec_lo, s30
	s_and_saveexec_b32 s17, s13
	s_cbranch_execnz .LBB6_11969
	s_branch .LBB6_11970
.LBB6_12483:                            ;   in Loop: Header=BB6_11312 Depth=3
	s_mov_b32 s13, -1
	s_mov_b32 s31, exec_lo
                                        ; implicit-def: $sgpr17
	v_cmpx_eq_u16_e32 0x80, v27
; %bb.12484:                            ;   in Loop: Header=BB6_11312 Depth=3
	s_mov_b32 s17, 0x7f800001
	s_xor_b32 s13, exec_lo, -1
; %bb.12485:                            ;   in Loop: Header=BB6_11312 Depth=3
	s_or_b32 exec_lo, exec_lo, s31
	s_delay_alu instid0(SALU_CYCLE_1)
	s_and_b32 s13, s13, exec_lo
                                        ; implicit-def: $vgpr27
	s_or_saveexec_b32 s30, s30
	v_mov_b32_e32 v26, s17
	s_xor_b32 exec_lo, exec_lo, s30
	s_cbranch_execz .LBB6_11980
.LBB6_12486:                            ;   in Loop: Header=BB6_11312 Depth=3
	v_cmp_ne_u16_e32 vcc_lo, 0, v27
	v_mov_b32_e32 v26, 0
	s_and_not1_b32 s13, s13, exec_lo
	s_and_b32 s17, vcc_lo, exec_lo
	s_delay_alu instid0(SALU_CYCLE_1)
	s_or_b32 s13, s13, s17
	s_or_b32 exec_lo, exec_lo, s30
	s_and_saveexec_b32 s17, s13
	s_cbranch_execnz .LBB6_11981
	s_branch .LBB6_11982
.LBB6_12487:                            ;   in Loop: Header=BB6_11312 Depth=3
	s_mov_b32 s13, -1
	s_mov_b32 s31, exec_lo
                                        ; implicit-def: $sgpr17
	v_cmpx_eq_u16_e32 0x80, v36
; %bb.12488:                            ;   in Loop: Header=BB6_11312 Depth=3
	s_mov_b32 s17, 0x7f800001
	s_xor_b32 s13, exec_lo, -1
; %bb.12489:                            ;   in Loop: Header=BB6_11312 Depth=3
	s_or_b32 exec_lo, exec_lo, s31
	s_delay_alu instid0(SALU_CYCLE_1)
	s_and_b32 s13, s13, exec_lo
                                        ; implicit-def: $vgpr36
	s_or_saveexec_b32 s30, s30
	v_mov_b32_e32 v27, s17
	s_xor_b32 exec_lo, exec_lo, s30
	s_cbranch_execz .LBB6_11984
.LBB6_12490:                            ;   in Loop: Header=BB6_11312 Depth=3
	v_cmp_ne_u16_e32 vcc_lo, 0, v36
	v_mov_b32_e32 v27, 0
	s_and_not1_b32 s13, s13, exec_lo
	s_and_b32 s17, vcc_lo, exec_lo
	s_delay_alu instid0(SALU_CYCLE_1)
	s_or_b32 s13, s13, s17
	s_or_b32 exec_lo, exec_lo, s30
	s_and_saveexec_b32 s17, s13
	s_cbranch_execnz .LBB6_11985
	s_branch .LBB6_11986
.LBB6_12491:                            ;   in Loop: Header=BB6_11312 Depth=3
	s_mov_b32 s13, -1
	s_mov_b32 s31, exec_lo
                                        ; implicit-def: $sgpr17
	v_cmpx_eq_u16_e32 0x80, v27
; %bb.12492:                            ;   in Loop: Header=BB6_11312 Depth=3
	s_mov_b32 s17, 0x7f800001
	s_xor_b32 s13, exec_lo, -1
; %bb.12493:                            ;   in Loop: Header=BB6_11312 Depth=3
	s_or_b32 exec_lo, exec_lo, s31
	s_delay_alu instid0(SALU_CYCLE_1)
	s_and_b32 s13, s13, exec_lo
                                        ; implicit-def: $vgpr27
	s_or_saveexec_b32 s30, s30
	v_mov_b32_e32 v26, s17
	s_xor_b32 exec_lo, exec_lo, s30
	s_cbranch_execz .LBB6_11996
.LBB6_12494:                            ;   in Loop: Header=BB6_11312 Depth=3
	v_cmp_ne_u16_e32 vcc_lo, 0, v27
	v_mov_b32_e32 v26, 0
	s_and_not1_b32 s13, s13, exec_lo
	s_and_b32 s17, vcc_lo, exec_lo
	s_delay_alu instid0(SALU_CYCLE_1)
	s_or_b32 s13, s13, s17
	s_or_b32 exec_lo, exec_lo, s30
	s_and_saveexec_b32 s17, s13
	s_cbranch_execnz .LBB6_11997
	s_branch .LBB6_11998
.LBB6_12495:                            ;   in Loop: Header=BB6_11312 Depth=3
	s_mov_b32 s13, -1
	s_mov_b32 s31, exec_lo
                                        ; implicit-def: $sgpr17
	v_cmpx_eq_u16_e32 0x80, v36
; %bb.12496:                            ;   in Loop: Header=BB6_11312 Depth=3
	s_mov_b32 s17, 0x7f800001
	s_xor_b32 s13, exec_lo, -1
; %bb.12497:                            ;   in Loop: Header=BB6_11312 Depth=3
	s_or_b32 exec_lo, exec_lo, s31
	s_delay_alu instid0(SALU_CYCLE_1)
	s_and_b32 s13, s13, exec_lo
                                        ; implicit-def: $vgpr36
	s_or_saveexec_b32 s30, s30
	v_mov_b32_e32 v27, s17
	s_xor_b32 exec_lo, exec_lo, s30
	s_cbranch_execz .LBB6_12000
.LBB6_12498:                            ;   in Loop: Header=BB6_11312 Depth=3
	v_cmp_ne_u16_e32 vcc_lo, 0, v36
	v_mov_b32_e32 v27, 0
	s_and_not1_b32 s13, s13, exec_lo
	s_and_b32 s17, vcc_lo, exec_lo
	s_delay_alu instid0(SALU_CYCLE_1)
	s_or_b32 s13, s13, s17
	s_or_b32 exec_lo, exec_lo, s30
	s_and_saveexec_b32 s17, s13
	s_cbranch_execnz .LBB6_12001
	s_branch .LBB6_12002
.LBB6_12499:                            ;   in Loop: Header=BB6_11312 Depth=3
	s_mov_b32 s13, -1
	s_mov_b32 s31, exec_lo
                                        ; implicit-def: $sgpr17
	v_cmpx_eq_u16_e32 0x80, v27
; %bb.12500:                            ;   in Loop: Header=BB6_11312 Depth=3
	s_mov_b32 s17, 0x7f800001
	s_xor_b32 s13, exec_lo, -1
; %bb.12501:                            ;   in Loop: Header=BB6_11312 Depth=3
	s_or_b32 exec_lo, exec_lo, s31
	s_delay_alu instid0(SALU_CYCLE_1)
	s_and_b32 s13, s13, exec_lo
                                        ; implicit-def: $vgpr27
	s_or_saveexec_b32 s30, s30
	v_mov_b32_e32 v26, s17
	s_xor_b32 exec_lo, exec_lo, s30
	s_cbranch_execz .LBB6_12012
.LBB6_12502:                            ;   in Loop: Header=BB6_11312 Depth=3
	v_cmp_ne_u16_e32 vcc_lo, 0, v27
	v_mov_b32_e32 v26, 0
	s_and_not1_b32 s13, s13, exec_lo
	s_and_b32 s17, vcc_lo, exec_lo
	s_delay_alu instid0(SALU_CYCLE_1)
	s_or_b32 s13, s13, s17
	s_or_b32 exec_lo, exec_lo, s30
	s_and_saveexec_b32 s17, s13
	s_cbranch_execnz .LBB6_12013
	s_branch .LBB6_12014
.LBB6_12503:                            ;   in Loop: Header=BB6_11312 Depth=3
	s_mov_b32 s13, -1
	s_mov_b32 s31, exec_lo
                                        ; implicit-def: $sgpr17
	v_cmpx_eq_u16_e32 0x80, v36
; %bb.12504:                            ;   in Loop: Header=BB6_11312 Depth=3
	s_mov_b32 s17, 0x7f800001
	s_xor_b32 s13, exec_lo, -1
; %bb.12505:                            ;   in Loop: Header=BB6_11312 Depth=3
	s_or_b32 exec_lo, exec_lo, s31
	s_delay_alu instid0(SALU_CYCLE_1)
	s_and_b32 s13, s13, exec_lo
                                        ; implicit-def: $vgpr36
	s_or_saveexec_b32 s30, s30
	v_mov_b32_e32 v27, s17
	s_xor_b32 exec_lo, exec_lo, s30
	s_cbranch_execz .LBB6_12016
.LBB6_12506:                            ;   in Loop: Header=BB6_11312 Depth=3
	v_cmp_ne_u16_e32 vcc_lo, 0, v36
	v_mov_b32_e32 v27, 0
	s_and_not1_b32 s13, s13, exec_lo
	s_and_b32 s17, vcc_lo, exec_lo
	s_delay_alu instid0(SALU_CYCLE_1)
	s_or_b32 s13, s13, s17
	s_or_b32 exec_lo, exec_lo, s30
	s_and_saveexec_b32 s17, s13
	s_cbranch_execnz .LBB6_12017
	s_branch .LBB6_12018
.LBB6_12507:                            ;   in Loop: Header=BB6_11312 Depth=3
	s_mov_b32 s13, -1
	s_mov_b32 s31, exec_lo
                                        ; implicit-def: $sgpr17
	v_cmpx_eq_u16_e32 0x80, v27
; %bb.12508:                            ;   in Loop: Header=BB6_11312 Depth=3
	s_mov_b32 s17, 0x7f800001
	s_xor_b32 s13, exec_lo, -1
; %bb.12509:                            ;   in Loop: Header=BB6_11312 Depth=3
	s_or_b32 exec_lo, exec_lo, s31
	s_delay_alu instid0(SALU_CYCLE_1)
	s_and_b32 s13, s13, exec_lo
                                        ; implicit-def: $vgpr27
	s_or_saveexec_b32 s30, s30
	v_mov_b32_e32 v26, s17
	s_xor_b32 exec_lo, exec_lo, s30
	s_cbranch_execz .LBB6_12028
.LBB6_12510:                            ;   in Loop: Header=BB6_11312 Depth=3
	v_cmp_ne_u16_e32 vcc_lo, 0, v27
	v_mov_b32_e32 v26, 0
	s_and_not1_b32 s13, s13, exec_lo
	s_and_b32 s17, vcc_lo, exec_lo
	s_delay_alu instid0(SALU_CYCLE_1)
	s_or_b32 s13, s13, s17
	s_or_b32 exec_lo, exec_lo, s30
	s_and_saveexec_b32 s17, s13
	s_cbranch_execnz .LBB6_12029
	s_branch .LBB6_12030
.LBB6_12511:                            ;   in Loop: Header=BB6_11312 Depth=3
	s_mov_b32 s13, -1
	s_mov_b32 s31, exec_lo
                                        ; implicit-def: $sgpr17
	v_cmpx_eq_u16_e32 0x80, v36
; %bb.12512:                            ;   in Loop: Header=BB6_11312 Depth=3
	s_mov_b32 s17, 0x7f800001
	s_xor_b32 s13, exec_lo, -1
; %bb.12513:                            ;   in Loop: Header=BB6_11312 Depth=3
	s_or_b32 exec_lo, exec_lo, s31
	s_delay_alu instid0(SALU_CYCLE_1)
	s_and_b32 s13, s13, exec_lo
                                        ; implicit-def: $vgpr36
	s_or_saveexec_b32 s30, s30
	v_mov_b32_e32 v27, s17
	s_xor_b32 exec_lo, exec_lo, s30
	s_cbranch_execz .LBB6_12032
.LBB6_12514:                            ;   in Loop: Header=BB6_11312 Depth=3
	v_cmp_ne_u16_e32 vcc_lo, 0, v36
	v_mov_b32_e32 v27, 0
	s_and_not1_b32 s13, s13, exec_lo
	s_and_b32 s17, vcc_lo, exec_lo
	s_delay_alu instid0(SALU_CYCLE_1)
	s_or_b32 s13, s13, s17
	s_or_b32 exec_lo, exec_lo, s30
	s_and_saveexec_b32 s17, s13
	s_cbranch_execnz .LBB6_12033
	s_branch .LBB6_12034
.LBB6_12515:                            ;   in Loop: Header=BB6_11312 Depth=3
	s_mov_b32 s13, -1
	s_mov_b32 s31, exec_lo
                                        ; implicit-def: $sgpr17
	v_cmpx_eq_u16_e32 0x80, v27
; %bb.12516:                            ;   in Loop: Header=BB6_11312 Depth=3
	s_mov_b32 s17, 0x7f800001
	s_xor_b32 s13, exec_lo, -1
; %bb.12517:                            ;   in Loop: Header=BB6_11312 Depth=3
	s_or_b32 exec_lo, exec_lo, s31
	s_delay_alu instid0(SALU_CYCLE_1)
	s_and_b32 s13, s13, exec_lo
                                        ; implicit-def: $vgpr27
	s_or_saveexec_b32 s30, s30
	v_mov_b32_e32 v26, s17
	s_xor_b32 exec_lo, exec_lo, s30
	s_cbranch_execz .LBB6_12044
.LBB6_12518:                            ;   in Loop: Header=BB6_11312 Depth=3
	v_cmp_ne_u16_e32 vcc_lo, 0, v27
	v_mov_b32_e32 v26, 0
	s_and_not1_b32 s13, s13, exec_lo
	s_and_b32 s17, vcc_lo, exec_lo
	s_delay_alu instid0(SALU_CYCLE_1)
	s_or_b32 s13, s13, s17
	s_or_b32 exec_lo, exec_lo, s30
	s_and_saveexec_b32 s17, s13
	s_cbranch_execnz .LBB6_12045
	s_branch .LBB6_12046
.LBB6_12519:                            ;   in Loop: Header=BB6_11312 Depth=3
	s_mov_b32 s13, -1
	s_mov_b32 s31, exec_lo
                                        ; implicit-def: $sgpr17
	v_cmpx_eq_u16_e32 0x80, v36
; %bb.12520:                            ;   in Loop: Header=BB6_11312 Depth=3
	s_mov_b32 s17, 0x7f800001
	s_xor_b32 s13, exec_lo, -1
; %bb.12521:                            ;   in Loop: Header=BB6_11312 Depth=3
	s_or_b32 exec_lo, exec_lo, s31
	s_delay_alu instid0(SALU_CYCLE_1)
	s_and_b32 s13, s13, exec_lo
                                        ; implicit-def: $vgpr36
	s_or_saveexec_b32 s30, s30
	v_mov_b32_e32 v27, s17
	s_xor_b32 exec_lo, exec_lo, s30
	s_cbranch_execz .LBB6_12048
.LBB6_12522:                            ;   in Loop: Header=BB6_11312 Depth=3
	v_cmp_ne_u16_e32 vcc_lo, 0, v36
	v_mov_b32_e32 v27, 0
	s_and_not1_b32 s13, s13, exec_lo
	s_and_b32 s17, vcc_lo, exec_lo
	s_delay_alu instid0(SALU_CYCLE_1)
	s_or_b32 s13, s13, s17
	s_or_b32 exec_lo, exec_lo, s30
	s_and_saveexec_b32 s17, s13
	s_cbranch_execnz .LBB6_12049
	s_branch .LBB6_12050
.LBB6_12523:                            ;   in Loop: Header=BB6_11312 Depth=3
	s_mov_b32 s13, -1
	s_mov_b32 s31, exec_lo
                                        ; implicit-def: $sgpr17
	v_cmpx_eq_u16_e32 0x80, v27
; %bb.12524:                            ;   in Loop: Header=BB6_11312 Depth=3
	s_mov_b32 s17, 0x7f800001
	s_xor_b32 s13, exec_lo, -1
; %bb.12525:                            ;   in Loop: Header=BB6_11312 Depth=3
	s_or_b32 exec_lo, exec_lo, s31
	s_delay_alu instid0(SALU_CYCLE_1)
	s_and_b32 s13, s13, exec_lo
                                        ; implicit-def: $vgpr27
	s_or_saveexec_b32 s30, s30
	v_mov_b32_e32 v26, s17
	s_xor_b32 exec_lo, exec_lo, s30
	s_cbranch_execz .LBB6_12060
.LBB6_12526:                            ;   in Loop: Header=BB6_11312 Depth=3
	v_cmp_ne_u16_e32 vcc_lo, 0, v27
	v_mov_b32_e32 v26, 0
	s_and_not1_b32 s13, s13, exec_lo
	s_and_b32 s17, vcc_lo, exec_lo
	s_delay_alu instid0(SALU_CYCLE_1)
	s_or_b32 s13, s13, s17
	s_or_b32 exec_lo, exec_lo, s30
	s_and_saveexec_b32 s17, s13
	s_cbranch_execnz .LBB6_12061
	s_branch .LBB6_12062
.LBB6_12527:                            ;   in Loop: Header=BB6_11312 Depth=3
	s_mov_b32 s13, -1
	s_mov_b32 s31, exec_lo
                                        ; implicit-def: $sgpr17
	v_cmpx_eq_u16_e32 0x80, v36
; %bb.12528:                            ;   in Loop: Header=BB6_11312 Depth=3
	s_mov_b32 s17, 0x7f800001
	s_xor_b32 s13, exec_lo, -1
; %bb.12529:                            ;   in Loop: Header=BB6_11312 Depth=3
	s_or_b32 exec_lo, exec_lo, s31
	s_delay_alu instid0(SALU_CYCLE_1)
	s_and_b32 s13, s13, exec_lo
                                        ; implicit-def: $vgpr36
	s_or_saveexec_b32 s30, s30
	v_mov_b32_e32 v27, s17
	s_xor_b32 exec_lo, exec_lo, s30
	s_cbranch_execz .LBB6_12064
.LBB6_12530:                            ;   in Loop: Header=BB6_11312 Depth=3
	v_cmp_ne_u16_e32 vcc_lo, 0, v36
	v_mov_b32_e32 v27, 0
	s_and_not1_b32 s13, s13, exec_lo
	s_and_b32 s17, vcc_lo, exec_lo
	s_delay_alu instid0(SALU_CYCLE_1)
	s_or_b32 s13, s13, s17
	s_or_b32 exec_lo, exec_lo, s30
	s_and_saveexec_b32 s17, s13
	s_cbranch_execnz .LBB6_12065
	s_branch .LBB6_12066
.LBB6_12531:                            ;   in Loop: Header=BB6_11312 Depth=3
	s_mov_b32 s13, -1
	s_mov_b32 s31, exec_lo
                                        ; implicit-def: $sgpr17
	v_cmpx_eq_u16_e32 0x80, v27
; %bb.12532:                            ;   in Loop: Header=BB6_11312 Depth=3
	s_mov_b32 s17, 0x7f800001
	s_xor_b32 s13, exec_lo, -1
; %bb.12533:                            ;   in Loop: Header=BB6_11312 Depth=3
	s_or_b32 exec_lo, exec_lo, s31
	s_delay_alu instid0(SALU_CYCLE_1)
	s_and_b32 s13, s13, exec_lo
                                        ; implicit-def: $vgpr27
	s_or_saveexec_b32 s30, s30
	v_mov_b32_e32 v26, s17
	s_xor_b32 exec_lo, exec_lo, s30
	s_cbranch_execz .LBB6_12076
.LBB6_12534:                            ;   in Loop: Header=BB6_11312 Depth=3
	v_cmp_ne_u16_e32 vcc_lo, 0, v27
	v_mov_b32_e32 v26, 0
	s_and_not1_b32 s13, s13, exec_lo
	s_and_b32 s17, vcc_lo, exec_lo
	s_delay_alu instid0(SALU_CYCLE_1)
	s_or_b32 s13, s13, s17
	s_or_b32 exec_lo, exec_lo, s30
	s_and_saveexec_b32 s17, s13
	s_cbranch_execnz .LBB6_12077
	s_branch .LBB6_12078
.LBB6_12535:                            ;   in Loop: Header=BB6_11312 Depth=3
	s_mov_b32 s13, -1
	s_mov_b32 s31, exec_lo
                                        ; implicit-def: $sgpr17
	v_cmpx_eq_u16_e32 0x80, v36
; %bb.12536:                            ;   in Loop: Header=BB6_11312 Depth=3
	s_mov_b32 s17, 0x7f800001
	s_xor_b32 s13, exec_lo, -1
; %bb.12537:                            ;   in Loop: Header=BB6_11312 Depth=3
	s_or_b32 exec_lo, exec_lo, s31
	s_delay_alu instid0(SALU_CYCLE_1)
	s_and_b32 s13, s13, exec_lo
                                        ; implicit-def: $vgpr36
	s_or_saveexec_b32 s30, s30
	v_mov_b32_e32 v27, s17
	s_xor_b32 exec_lo, exec_lo, s30
	s_cbranch_execz .LBB6_12080
.LBB6_12538:                            ;   in Loop: Header=BB6_11312 Depth=3
	v_cmp_ne_u16_e32 vcc_lo, 0, v36
	v_mov_b32_e32 v27, 0
	s_and_not1_b32 s13, s13, exec_lo
	s_and_b32 s17, vcc_lo, exec_lo
	s_delay_alu instid0(SALU_CYCLE_1)
	s_or_b32 s13, s13, s17
	s_or_b32 exec_lo, exec_lo, s30
	s_and_saveexec_b32 s17, s13
	s_cbranch_execnz .LBB6_12081
	s_branch .LBB6_12082
.LBB6_12539:                            ;   in Loop: Header=BB6_11312 Depth=3
	s_mov_b32 s13, -1
	s_mov_b32 s31, exec_lo
                                        ; implicit-def: $sgpr17
	v_cmpx_eq_u16_e32 0x80, v27
; %bb.12540:                            ;   in Loop: Header=BB6_11312 Depth=3
	s_mov_b32 s17, 0x7f800001
	s_xor_b32 s13, exec_lo, -1
; %bb.12541:                            ;   in Loop: Header=BB6_11312 Depth=3
	s_or_b32 exec_lo, exec_lo, s31
	s_delay_alu instid0(SALU_CYCLE_1)
	s_and_b32 s13, s13, exec_lo
                                        ; implicit-def: $vgpr27
	s_or_saveexec_b32 s30, s30
	v_mov_b32_e32 v26, s17
	s_xor_b32 exec_lo, exec_lo, s30
	s_cbranch_execz .LBB6_12092
.LBB6_12542:                            ;   in Loop: Header=BB6_11312 Depth=3
	v_cmp_ne_u16_e32 vcc_lo, 0, v27
	v_mov_b32_e32 v26, 0
	s_and_not1_b32 s13, s13, exec_lo
	s_and_b32 s17, vcc_lo, exec_lo
	s_delay_alu instid0(SALU_CYCLE_1)
	s_or_b32 s13, s13, s17
	s_or_b32 exec_lo, exec_lo, s30
	s_and_saveexec_b32 s17, s13
	s_cbranch_execnz .LBB6_12093
	s_branch .LBB6_12094
.LBB6_12543:                            ;   in Loop: Header=BB6_11312 Depth=3
	s_mov_b32 s13, -1
	s_mov_b32 s31, exec_lo
                                        ; implicit-def: $sgpr17
	v_cmpx_eq_u16_e32 0x80, v36
; %bb.12544:                            ;   in Loop: Header=BB6_11312 Depth=3
	s_mov_b32 s17, 0x7f800001
	s_xor_b32 s13, exec_lo, -1
; %bb.12545:                            ;   in Loop: Header=BB6_11312 Depth=3
	s_or_b32 exec_lo, exec_lo, s31
	s_delay_alu instid0(SALU_CYCLE_1)
	s_and_b32 s13, s13, exec_lo
                                        ; implicit-def: $vgpr36
	s_or_saveexec_b32 s30, s30
	v_mov_b32_e32 v27, s17
	s_xor_b32 exec_lo, exec_lo, s30
	s_cbranch_execz .LBB6_12096
.LBB6_12546:                            ;   in Loop: Header=BB6_11312 Depth=3
	v_cmp_ne_u16_e32 vcc_lo, 0, v36
	v_mov_b32_e32 v27, 0
	s_and_not1_b32 s13, s13, exec_lo
	s_and_b32 s17, vcc_lo, exec_lo
	s_delay_alu instid0(SALU_CYCLE_1)
	s_or_b32 s13, s13, s17
	s_or_b32 exec_lo, exec_lo, s30
	s_and_saveexec_b32 s17, s13
	s_cbranch_execnz .LBB6_12097
	s_branch .LBB6_12098
.LBB6_12547:                            ;   in Loop: Header=BB6_11312 Depth=3
	s_mov_b32 s13, -1
	s_mov_b32 s31, exec_lo
                                        ; implicit-def: $sgpr17
	v_cmpx_eq_u16_e32 0x80, v27
; %bb.12548:                            ;   in Loop: Header=BB6_11312 Depth=3
	s_mov_b32 s17, 0x7f800001
	s_xor_b32 s13, exec_lo, -1
; %bb.12549:                            ;   in Loop: Header=BB6_11312 Depth=3
	s_or_b32 exec_lo, exec_lo, s31
	s_delay_alu instid0(SALU_CYCLE_1)
	s_and_b32 s13, s13, exec_lo
                                        ; implicit-def: $vgpr27
	s_or_saveexec_b32 s30, s30
	v_mov_b32_e32 v26, s17
	s_xor_b32 exec_lo, exec_lo, s30
	s_cbranch_execz .LBB6_12108
.LBB6_12550:                            ;   in Loop: Header=BB6_11312 Depth=3
	v_cmp_ne_u16_e32 vcc_lo, 0, v27
	v_mov_b32_e32 v26, 0
	s_and_not1_b32 s13, s13, exec_lo
	s_and_b32 s17, vcc_lo, exec_lo
	s_delay_alu instid0(SALU_CYCLE_1)
	s_or_b32 s13, s13, s17
	s_or_b32 exec_lo, exec_lo, s30
	s_and_saveexec_b32 s17, s13
	s_cbranch_execnz .LBB6_12109
	s_branch .LBB6_12110
.LBB6_12551:                            ;   in Loop: Header=BB6_11312 Depth=3
	s_mov_b32 s13, -1
	s_mov_b32 s31, exec_lo
                                        ; implicit-def: $sgpr17
	v_cmpx_eq_u16_e32 0x80, v36
; %bb.12552:                            ;   in Loop: Header=BB6_11312 Depth=3
	s_mov_b32 s17, 0x7f800001
	s_xor_b32 s13, exec_lo, -1
; %bb.12553:                            ;   in Loop: Header=BB6_11312 Depth=3
	s_or_b32 exec_lo, exec_lo, s31
	s_delay_alu instid0(SALU_CYCLE_1)
	s_and_b32 s13, s13, exec_lo
                                        ; implicit-def: $vgpr36
	s_or_saveexec_b32 s30, s30
	v_mov_b32_e32 v27, s17
	s_xor_b32 exec_lo, exec_lo, s30
	s_cbranch_execz .LBB6_12112
.LBB6_12554:                            ;   in Loop: Header=BB6_11312 Depth=3
	v_cmp_ne_u16_e32 vcc_lo, 0, v36
	v_mov_b32_e32 v27, 0
	s_and_not1_b32 s13, s13, exec_lo
	s_and_b32 s17, vcc_lo, exec_lo
	s_delay_alu instid0(SALU_CYCLE_1)
	s_or_b32 s13, s13, s17
	s_or_b32 exec_lo, exec_lo, s30
	s_and_saveexec_b32 s17, s13
	s_cbranch_execnz .LBB6_12113
	s_branch .LBB6_12114
.LBB6_12555:                            ;   in Loop: Header=BB6_11312 Depth=3
	s_mov_b32 s13, -1
	s_mov_b32 s31, exec_lo
                                        ; implicit-def: $sgpr17
	v_cmpx_eq_u16_e32 0x80, v36
; %bb.12556:                            ;   in Loop: Header=BB6_11312 Depth=3
	s_mov_b32 s17, 0x7f800001
	s_xor_b32 s13, exec_lo, -1
; %bb.12557:                            ;   in Loop: Header=BB6_11312 Depth=3
	s_or_b32 exec_lo, exec_lo, s31
	s_delay_alu instid0(SALU_CYCLE_1)
	s_and_b32 s13, s13, exec_lo
                                        ; implicit-def: $vgpr36
	s_or_saveexec_b32 s30, s30
	v_mov_b32_e32 v27, s17
	s_xor_b32 exec_lo, exec_lo, s30
	s_cbranch_execz .LBB6_12124
.LBB6_12558:                            ;   in Loop: Header=BB6_11312 Depth=3
	v_cmp_ne_u16_e32 vcc_lo, 0, v36
	v_mov_b32_e32 v27, 0
	s_and_not1_b32 s13, s13, exec_lo
	s_and_b32 s17, vcc_lo, exec_lo
	s_delay_alu instid0(SALU_CYCLE_1)
	s_or_b32 s13, s13, s17
	s_or_b32 exec_lo, exec_lo, s30
	s_and_saveexec_b32 s17, s13
	s_cbranch_execnz .LBB6_12125
	s_branch .LBB6_12126
.LBB6_12559:                            ;   in Loop: Header=BB6_11312 Depth=3
	s_mov_b32 s13, -1
	s_mov_b32 s31, exec_lo
                                        ; implicit-def: $sgpr17
	v_cmpx_eq_u16_e32 0x80, v37
; %bb.12560:                            ;   in Loop: Header=BB6_11312 Depth=3
	s_mov_b32 s17, 0x7f800001
	s_xor_b32 s13, exec_lo, -1
; %bb.12561:                            ;   in Loop: Header=BB6_11312 Depth=3
	s_or_b32 exec_lo, exec_lo, s31
	s_delay_alu instid0(SALU_CYCLE_1)
	s_and_b32 s13, s13, exec_lo
                                        ; implicit-def: $vgpr37
	s_or_saveexec_b32 s30, s30
	v_mov_b32_e32 v36, s17
	s_xor_b32 exec_lo, exec_lo, s30
	s_cbranch_execz .LBB6_12128
.LBB6_12562:                            ;   in Loop: Header=BB6_11312 Depth=3
	v_cmp_ne_u16_e32 vcc_lo, 0, v37
	v_mov_b32_e32 v36, 0
	s_and_not1_b32 s13, s13, exec_lo
	s_and_b32 s17, vcc_lo, exec_lo
	s_delay_alu instid0(SALU_CYCLE_1)
	s_or_b32 s13, s13, s17
	s_or_b32 exec_lo, exec_lo, s30
	s_and_saveexec_b32 s17, s13
	s_cbranch_execnz .LBB6_12129
	s_branch .LBB6_12130
.LBB6_12563:                            ;   in Loop: Header=BB6_11312 Depth=3
	s_mov_b32 s13, -1
	s_mov_b32 s31, exec_lo
                                        ; implicit-def: $sgpr17
	v_cmpx_eq_u16_e32 0x80, v37
; %bb.12564:                            ;   in Loop: Header=BB6_11312 Depth=3
	s_mov_b32 s17, 0x7f800001
	s_xor_b32 s13, exec_lo, -1
; %bb.12565:                            ;   in Loop: Header=BB6_11312 Depth=3
	s_or_b32 exec_lo, exec_lo, s31
	s_delay_alu instid0(SALU_CYCLE_1)
	s_and_b32 s13, s13, exec_lo
                                        ; implicit-def: $vgpr37
	s_or_saveexec_b32 s30, s30
	v_mov_b32_e32 v36, s17
	s_xor_b32 exec_lo, exec_lo, s30
	s_cbranch_execz .LBB6_12140
.LBB6_12566:                            ;   in Loop: Header=BB6_11312 Depth=3
	v_cmp_ne_u16_e32 vcc_lo, 0, v37
	v_mov_b32_e32 v36, 0
	s_and_not1_b32 s13, s13, exec_lo
	s_and_b32 s17, vcc_lo, exec_lo
	s_delay_alu instid0(SALU_CYCLE_1)
	s_or_b32 s13, s13, s17
	s_or_b32 exec_lo, exec_lo, s30
	s_and_saveexec_b32 s17, s13
	s_cbranch_execnz .LBB6_12141
	s_branch .LBB6_12142
.LBB6_12567:                            ;   in Loop: Header=BB6_11312 Depth=3
	s_mov_b32 s13, -1
	s_mov_b32 s31, exec_lo
                                        ; implicit-def: $sgpr17
	v_cmpx_eq_u16_e32 0x80, v38
; %bb.12568:                            ;   in Loop: Header=BB6_11312 Depth=3
	s_mov_b32 s17, 0x7f800001
	s_xor_b32 s13, exec_lo, -1
; %bb.12569:                            ;   in Loop: Header=BB6_11312 Depth=3
	s_or_b32 exec_lo, exec_lo, s31
	s_delay_alu instid0(SALU_CYCLE_1)
	s_and_b32 s13, s13, exec_lo
                                        ; implicit-def: $vgpr38
	s_or_saveexec_b32 s30, s30
	v_mov_b32_e32 v37, s17
	s_xor_b32 exec_lo, exec_lo, s30
	s_cbranch_execz .LBB6_12144
.LBB6_12570:                            ;   in Loop: Header=BB6_11312 Depth=3
	v_cmp_ne_u16_e32 vcc_lo, 0, v38
	v_mov_b32_e32 v37, 0
	s_and_not1_b32 s13, s13, exec_lo
	s_and_b32 s17, vcc_lo, exec_lo
	s_delay_alu instid0(SALU_CYCLE_1)
	s_or_b32 s13, s13, s17
	s_or_b32 exec_lo, exec_lo, s30
	s_and_saveexec_b32 s17, s13
	s_cbranch_execnz .LBB6_12145
	s_branch .LBB6_12146
.LBB6_12571:                            ;   in Loop: Header=BB6_11312 Depth=3
	s_mov_b32 s13, -1
	s_mov_b32 s31, exec_lo
                                        ; implicit-def: $sgpr17
	v_cmpx_eq_u16_e32 0x80, v38
; %bb.12572:                            ;   in Loop: Header=BB6_11312 Depth=3
	s_mov_b32 s17, 0x7f800001
	s_xor_b32 s13, exec_lo, -1
; %bb.12573:                            ;   in Loop: Header=BB6_11312 Depth=3
	s_or_b32 exec_lo, exec_lo, s31
	s_delay_alu instid0(SALU_CYCLE_1)
	s_and_b32 s13, s13, exec_lo
                                        ; implicit-def: $vgpr38
	s_or_saveexec_b32 s30, s30
	v_mov_b32_e32 v37, s17
	s_xor_b32 exec_lo, exec_lo, s30
	s_cbranch_execz .LBB6_12156
.LBB6_12574:                            ;   in Loop: Header=BB6_11312 Depth=3
	v_cmp_ne_u16_e32 vcc_lo, 0, v38
	v_mov_b32_e32 v37, 0
	s_and_not1_b32 s13, s13, exec_lo
	s_and_b32 s17, vcc_lo, exec_lo
	s_delay_alu instid0(SALU_CYCLE_1)
	s_or_b32 s13, s13, s17
	s_or_b32 exec_lo, exec_lo, s30
	s_and_saveexec_b32 s17, s13
	s_cbranch_execnz .LBB6_12157
	s_branch .LBB6_12158
.LBB6_12575:                            ;   in Loop: Header=BB6_11312 Depth=3
	s_mov_b32 s13, -1
	s_mov_b32 s31, exec_lo
                                        ; implicit-def: $sgpr17
	v_cmpx_eq_u16_e32 0x80, v39
; %bb.12576:                            ;   in Loop: Header=BB6_11312 Depth=3
	s_mov_b32 s17, 0x7f800001
	s_xor_b32 s13, exec_lo, -1
; %bb.12577:                            ;   in Loop: Header=BB6_11312 Depth=3
	s_or_b32 exec_lo, exec_lo, s31
	s_delay_alu instid0(SALU_CYCLE_1)
	s_and_b32 s13, s13, exec_lo
                                        ; implicit-def: $vgpr39
	s_or_saveexec_b32 s30, s30
	v_mov_b32_e32 v38, s17
	s_xor_b32 exec_lo, exec_lo, s30
	s_cbranch_execz .LBB6_12160
.LBB6_12578:                            ;   in Loop: Header=BB6_11312 Depth=3
	v_cmp_ne_u16_e32 vcc_lo, 0, v39
	v_mov_b32_e32 v38, 0
	s_and_not1_b32 s13, s13, exec_lo
	s_and_b32 s17, vcc_lo, exec_lo
	s_delay_alu instid0(SALU_CYCLE_1)
	s_or_b32 s13, s13, s17
	s_or_b32 exec_lo, exec_lo, s30
	s_and_saveexec_b32 s17, s13
	s_cbranch_execnz .LBB6_12161
	s_branch .LBB6_12162
.LBB6_12579:                            ;   in Loop: Header=BB6_11312 Depth=3
	s_mov_b32 s13, -1
	s_mov_b32 s31, exec_lo
                                        ; implicit-def: $sgpr17
	v_cmpx_eq_u16_e32 0x80, v39
; %bb.12580:                            ;   in Loop: Header=BB6_11312 Depth=3
	s_mov_b32 s17, 0x7f800001
	s_xor_b32 s13, exec_lo, -1
; %bb.12581:                            ;   in Loop: Header=BB6_11312 Depth=3
	s_or_b32 exec_lo, exec_lo, s31
	s_delay_alu instid0(SALU_CYCLE_1)
	s_and_b32 s13, s13, exec_lo
                                        ; implicit-def: $vgpr39
	s_or_saveexec_b32 s30, s30
	v_mov_b32_e32 v38, s17
	s_xor_b32 exec_lo, exec_lo, s30
	s_cbranch_execz .LBB6_12172
.LBB6_12582:                            ;   in Loop: Header=BB6_11312 Depth=3
	v_cmp_ne_u16_e32 vcc_lo, 0, v39
	v_mov_b32_e32 v38, 0
	s_and_not1_b32 s13, s13, exec_lo
	s_and_b32 s17, vcc_lo, exec_lo
	s_delay_alu instid0(SALU_CYCLE_1)
	s_or_b32 s13, s13, s17
	s_or_b32 exec_lo, exec_lo, s30
	s_and_saveexec_b32 s17, s13
	s_cbranch_execnz .LBB6_12173
	s_branch .LBB6_12174
.LBB6_12583:                            ;   in Loop: Header=BB6_11312 Depth=3
	s_mov_b32 s13, -1
	s_mov_b32 s31, exec_lo
                                        ; implicit-def: $sgpr17
	v_cmpx_eq_u16_e32 0x80, v48
; %bb.12584:                            ;   in Loop: Header=BB6_11312 Depth=3
	s_mov_b32 s17, 0x7f800001
	s_xor_b32 s13, exec_lo, -1
; %bb.12585:                            ;   in Loop: Header=BB6_11312 Depth=3
	s_or_b32 exec_lo, exec_lo, s31
	s_delay_alu instid0(SALU_CYCLE_1)
	s_and_b32 s13, s13, exec_lo
                                        ; implicit-def: $vgpr48
	s_or_saveexec_b32 s30, s30
	v_mov_b32_e32 v39, s17
	s_xor_b32 exec_lo, exec_lo, s30
	s_cbranch_execz .LBB6_12176
.LBB6_12586:                            ;   in Loop: Header=BB6_11312 Depth=3
	v_cmp_ne_u16_e32 vcc_lo, 0, v48
	v_mov_b32_e32 v39, 0
	s_and_not1_b32 s13, s13, exec_lo
	s_and_b32 s17, vcc_lo, exec_lo
	s_delay_alu instid0(SALU_CYCLE_1)
	s_or_b32 s13, s13, s17
	s_or_b32 exec_lo, exec_lo, s30
	s_and_saveexec_b32 s17, s13
	s_cbranch_execnz .LBB6_12177
	s_branch .LBB6_12178
.LBB6_12587:                            ;   in Loop: Header=BB6_11312 Depth=3
	s_mov_b32 s13, -1
	s_mov_b32 s31, exec_lo
                                        ; implicit-def: $sgpr17
	v_cmpx_eq_u16_e32 0x80, v48
; %bb.12588:                            ;   in Loop: Header=BB6_11312 Depth=3
	s_mov_b32 s17, 0x7f800001
	s_xor_b32 s13, exec_lo, -1
; %bb.12589:                            ;   in Loop: Header=BB6_11312 Depth=3
	s_or_b32 exec_lo, exec_lo, s31
	s_delay_alu instid0(SALU_CYCLE_1)
	s_and_b32 s13, s13, exec_lo
                                        ; implicit-def: $vgpr48
	s_or_saveexec_b32 s30, s30
	v_mov_b32_e32 v39, s17
	s_xor_b32 exec_lo, exec_lo, s30
	s_cbranch_execz .LBB6_12188
.LBB6_12590:                            ;   in Loop: Header=BB6_11312 Depth=3
	v_cmp_ne_u16_e32 vcc_lo, 0, v48
	v_mov_b32_e32 v39, 0
	s_and_not1_b32 s13, s13, exec_lo
	s_and_b32 s17, vcc_lo, exec_lo
	s_delay_alu instid0(SALU_CYCLE_1)
	s_or_b32 s13, s13, s17
	s_or_b32 exec_lo, exec_lo, s30
	s_and_saveexec_b32 s17, s13
	s_cbranch_execnz .LBB6_12189
	s_branch .LBB6_12190
.LBB6_12591:                            ;   in Loop: Header=BB6_11312 Depth=3
	s_mov_b32 s13, -1
	s_mov_b32 s31, exec_lo
                                        ; implicit-def: $sgpr17
	v_cmpx_eq_u16_e32 0x80, v48
; %bb.12592:                            ;   in Loop: Header=BB6_11312 Depth=3
	s_mov_b32 s17, 0x7f800001
	s_xor_b32 s13, exec_lo, -1
; %bb.12593:                            ;   in Loop: Header=BB6_11312 Depth=3
	s_or_b32 exec_lo, exec_lo, s31
	s_delay_alu instid0(SALU_CYCLE_1)
	s_and_b32 s13, s13, exec_lo
                                        ; implicit-def: $vgpr48
	s_or_saveexec_b32 s30, s30
	v_mov_b32_e32 v23, s17
	s_xor_b32 exec_lo, exec_lo, s30
	s_cbranch_execz .LBB6_12192
.LBB6_12594:                            ;   in Loop: Header=BB6_11312 Depth=3
	v_cmp_ne_u16_e32 vcc_lo, 0, v48
	v_mov_b32_e32 v23, 0
	s_and_not1_b32 s13, s13, exec_lo
	s_and_b32 s17, vcc_lo, exec_lo
	s_delay_alu instid0(SALU_CYCLE_1)
	s_or_b32 s13, s13, s17
	s_or_b32 exec_lo, exec_lo, s30
	s_and_saveexec_b32 s17, s13
	s_cbranch_execnz .LBB6_12193
	s_branch .LBB6_12194
.LBB6_12595:                            ;   in Loop: Header=BB6_11312 Depth=3
	s_mov_b32 s13, -1
	s_mov_b32 s31, exec_lo
                                        ; implicit-def: $sgpr17
	v_cmpx_eq_u16_e32 0x80, v48
; %bb.12596:                            ;   in Loop: Header=BB6_11312 Depth=3
	s_mov_b32 s17, 0x7f800001
	s_xor_b32 s13, exec_lo, -1
; %bb.12597:                            ;   in Loop: Header=BB6_11312 Depth=3
	s_or_b32 exec_lo, exec_lo, s31
	s_delay_alu instid0(SALU_CYCLE_1)
	s_and_b32 s13, s13, exec_lo
                                        ; implicit-def: $vgpr48
	s_or_saveexec_b32 s30, s30
	v_mov_b32_e32 v39, s17
	s_xor_b32 exec_lo, exec_lo, s30
	s_cbranch_execz .LBB6_12204
.LBB6_12598:                            ;   in Loop: Header=BB6_11312 Depth=3
	v_cmp_ne_u16_e32 vcc_lo, 0, v48
	v_mov_b32_e32 v39, 0
	s_and_not1_b32 s13, s13, exec_lo
	s_and_b32 s17, vcc_lo, exec_lo
	s_delay_alu instid0(SALU_CYCLE_1)
	s_or_b32 s13, s13, s17
	s_or_b32 exec_lo, exec_lo, s30
	s_and_saveexec_b32 s17, s13
	s_cbranch_execnz .LBB6_12205
	s_branch .LBB6_12206
.LBB6_12599:                            ;   in Loop: Header=BB6_11312 Depth=3
	s_mov_b32 s13, -1
	s_mov_b32 s31, exec_lo
                                        ; implicit-def: $sgpr17
	v_cmpx_eq_u16_e32 0x80, v48
; %bb.12600:                            ;   in Loop: Header=BB6_11312 Depth=3
	s_mov_b32 s17, 0x7f800001
	s_xor_b32 s13, exec_lo, -1
; %bb.12601:                            ;   in Loop: Header=BB6_11312 Depth=3
	s_or_b32 exec_lo, exec_lo, s31
	s_delay_alu instid0(SALU_CYCLE_1)
	s_and_b32 s13, s13, exec_lo
                                        ; implicit-def: $vgpr48
	s_or_saveexec_b32 s30, s30
	v_mov_b32_e32 v17, s17
	s_xor_b32 exec_lo, exec_lo, s30
	s_cbranch_execz .LBB6_12208
.LBB6_12602:                            ;   in Loop: Header=BB6_11312 Depth=3
	v_cmp_ne_u16_e32 vcc_lo, 0, v48
	v_mov_b32_e32 v17, 0
	s_and_not1_b32 s13, s13, exec_lo
	s_and_b32 s17, vcc_lo, exec_lo
	s_delay_alu instid0(SALU_CYCLE_1)
	s_or_b32 s13, s13, s17
	s_or_b32 exec_lo, exec_lo, s30
	s_and_saveexec_b32 s17, s13
	s_cbranch_execnz .LBB6_12209
	s_branch .LBB6_12210
.LBB6_12603:                            ;   in Loop: Header=BB6_7988 Depth=2
	s_or_b32 exec_lo, exec_lo, s16
.LBB6_12604:                            ;   in Loop: Header=BB6_7988 Depth=2
	s_delay_alu instid0(SALU_CYCLE_1) | instskip(SKIP_2) | instid1(VALU_DEP_1)
	s_or_b32 exec_lo, exec_lo, s14
	v_lshlrev_b32_e32 v8, 10, v21
	s_mov_b32 s30, exec_lo
	v_cmpx_ne_u32_e64 v19, v8
	s_cbranch_execz .LBB6_12661
; %bb.12605:                            ;   in Loop: Header=BB6_7988 Depth=2
	v_ashrrev_i32_e32 v9, 31, v20
	v_lshlrev_b32_e32 v2, 5, v2
	s_delay_alu instid0(VALU_DEP_2) | instskip(NEXT) | instid1(VALU_DEP_1)
	v_lshrrev_b32_e32 v9, 27, v9
	v_add_nc_u32_e32 v9, v20, v9
	s_delay_alu instid0(VALU_DEP_1) | instskip(NEXT) | instid1(VALU_DEP_1)
	v_and_b32_e32 v9, 0xffffffe0, v9
	v_sub_nc_u32_e32 v9, v20, v9
	s_delay_alu instid0(VALU_DEP_1) | instskip(NEXT) | instid1(VALU_DEP_1)
	v_sub_nc_u32_e32 v2, v9, v2
	v_add_nc_u32_e32 v8, v8, v2
	s_delay_alu instid0(VALU_DEP_1) | instskip(NEXT) | instid1(VALU_DEP_1)
	v_sub_nc_u32_e32 v2, v19, v8
	v_cmp_lt_i32_e32 vcc_lo, 0, v2
	s_and_b32 exec_lo, exec_lo, vcc_lo
	s_cbranch_execz .LBB6_12661
; %bb.12606:                            ;   in Loop: Header=BB6_7988 Depth=2
	s_cbranch_execz .LBB6_12607
; %bb.18777:
	s_getpc_b64 s[48:49]
.Lpost_getpc415:
	s_add_u32 s48, s48, (.LBB6_18385-.Lpost_getpc415)&4294967295
	s_addc_u32 s49, s49, (.LBB6_18385-.Lpost_getpc415)>>32
	s_setpc_b64 s[48:49]
.LBB6_12607:                            ;   in Loop: Header=BB6_7988 Depth=2
	ds_load_b128 v[9:12], v0
	v_add_nc_u32_e32 v13, v8, v18
	s_mov_b32 s31, 0
	s_delay_alu instid0(VALU_DEP_1) | instskip(SKIP_2) | instid1(VALU_DEP_2)
	v_ashrrev_i32_e32 v14, 31, v13
	s_waitcnt lgkmcnt(0)
	v_add_co_u32 v8, vcc_lo, v9, v13
	v_add_co_ci_u32_e32 v9, vcc_lo, v10, v14, vcc_lo
	v_add_co_u32 v10, vcc_lo, v11, v13
	v_add_co_ci_u32_e32 v11, vcc_lo, v12, v14, vcc_lo
	s_delay_alu instid0(VALU_DEP_3) | instskip(NEXT) | instid1(VALU_DEP_2)
	v_dual_mov_b32 v13, v9 :: v_dual_mov_b32 v12, v8
	v_dual_mov_b32 v15, v11 :: v_dual_mov_b32 v14, v10
.LBB6_12608:                            ;   Parent Loop BB6_51 Depth=1
                                        ;     Parent Loop BB6_7988 Depth=2
                                        ; =>    This Loop Header: Depth=3
                                        ;         Child Loop BB6_12647 Depth 4
	s_cbranch_execz .LBB6_12609
; %bb.18779:
	s_getpc_b64 s[48:49]
.Lpost_getpc416:
	s_add_u32 s48, s48, (.LBB6_18389-.Lpost_getpc416)&4294967295
	s_addc_u32 s49, s49, (.LBB6_18389-.Lpost_getpc416)>>32
	s_setpc_b64 s[48:49]
.LBB6_12609:                            ;   in Loop: Header=BB6_12608 Depth=3
	ds_load_b64 v[16:17], v0
	s_waitcnt lgkmcnt(0)
	v_and_b32_e32 v17, 0xff, v16
	v_readfirstlane_b32 s13, v16
	s_delay_alu instid0(VALU_DEP_2)
	v_cmp_gt_i16_e32 vcc_lo, 0x80, v17
	s_cbranch_vccnz .LBB6_12613
; %bb.12610:                            ;   in Loop: Header=BB6_12608 Depth=3
	v_cmp_eq_u16_e32 vcc_lo, 0x80, v17
	s_mov_b32 s14, -1
                                        ; implicit-def: $sgpr16
	s_cbranch_vccz .LBB6_12612
; %bb.12611:                            ;   in Loop: Header=BB6_12608 Depth=3
	s_mov_b32 s14, 0
	s_mov_b32 s16, 0x7f800001
.LBB6_12612:                            ;   in Loop: Header=BB6_12608 Depth=3
	s_mov_b32 s17, 0
	s_branch .LBB6_12614
.LBB6_12613:                            ;   in Loop: Header=BB6_12608 Depth=3
	s_mov_b32 s17, -1
	s_mov_b32 s14, 0
                                        ; implicit-def: $sgpr16
.LBB6_12614:                            ;   in Loop: Header=BB6_12608 Depth=3
	s_and_b32 vcc_lo, exec_lo, s17
	s_cbranch_vccz .LBB6_12616
; %bb.12615:                            ;   in Loop: Header=BB6_12608 Depth=3
	v_cmp_ne_u16_e64 s14, 0, v17
	s_mov_b32 s16, 0
.LBB6_12616:                            ;   in Loop: Header=BB6_12608 Depth=3
	s_delay_alu instid0(SALU_CYCLE_1) | instskip(NEXT) | instid1(VALU_DEP_2)
	v_mov_b32_e32 v17, s16
	s_and_not1_b32 vcc_lo, exec_lo, s14
	s_cbranch_vccnz .LBB6_12618
; %bb.12617:                            ;   in Loop: Header=BB6_12608 Depth=3
	s_and_b32 s14, s13, 3
	s_bfe_u32 s17, s13, 0x50002
	s_clz_i32_u32 s16, s14
	v_lshlrev_b32_e32 v16, 24, v16
	s_min_u32 s16, s16, 32
	s_delay_alu instid0(SALU_CYCLE_1)
	s_sub_i32 vcc_lo, s16, 29
	s_sub_i32 s16, 30, s16
	s_lshl_b32 s13, s13, vcc_lo
	v_and_b32_e32 v16, 0x80000000, v16
	s_and_b32 s13, s13, 3
	s_cmp_eq_u32 s17, 0
	s_cselect_b32 s16, s16, s17
	s_cselect_b32 s13, s13, s14
	s_lshl_b32 s14, s16, 23
	s_lshl_b32 s13, s13, 21
	s_add_i32 s14, s14, 0x37800000
	s_delay_alu instid0(SALU_CYCLE_1) | instskip(NEXT) | instid1(VALU_DEP_1)
	v_or_b32_e32 v16, s14, v16
	v_or_b32_e32 v17, s13, v16
.LBB6_12618:                            ;   in Loop: Header=BB6_12608 Depth=3
	flat_load_u8 v16, v[12:13] slc dlc
	s_mov_b32 s13, 0
	s_mov_b32 s16, exec_lo
                                        ; implicit-def: $sgpr14
	s_waitcnt vmcnt(0) lgkmcnt(0)
	v_cmpx_lt_i16_e32 0x7f, v16
	s_xor_b32 s16, exec_lo, s16
	s_cbranch_execnz .LBB6_12649
; %bb.12619:                            ;   in Loop: Header=BB6_12608 Depth=3
	s_or_saveexec_b32 s16, s16
	v_mov_b32_e32 v18, s14
	s_xor_b32 exec_lo, exec_lo, s16
	s_cbranch_execnz .LBB6_12652
.LBB6_12620:                            ;   in Loop: Header=BB6_12608 Depth=3
	s_or_b32 exec_lo, exec_lo, s16
	s_and_saveexec_b32 s14, s13
	s_cbranch_execz .LBB6_12622
.LBB6_12621:                            ;   in Loop: Header=BB6_12608 Depth=3
	v_and_b32_e32 v18, 0xffff, v16
	v_lshlrev_b32_e32 v16, 24, v16
	s_delay_alu instid0(VALU_DEP_2) | instskip(NEXT) | instid1(VALU_DEP_2)
	v_and_b32_e32 v19, 3, v18
	v_and_b32_e32 v16, 0x80000000, v16
	s_delay_alu instid0(VALU_DEP_2) | instskip(NEXT) | instid1(VALU_DEP_1)
	v_clz_i32_u32_e32 v20, v19
	v_min_u32_e32 v20, 32, v20
	s_delay_alu instid0(VALU_DEP_1) | instskip(SKIP_1) | instid1(VALU_DEP_2)
	v_subrev_nc_u32_e32 v21, 29, v20
	v_sub_nc_u32_e32 v20, 30, v20
	v_lshlrev_b32_e32 v21, v21, v18
	v_bfe_u32 v18, v18, 2, 5
	s_delay_alu instid0(VALU_DEP_2) | instskip(NEXT) | instid1(VALU_DEP_2)
	v_and_b32_e32 v21, 3, v21
	v_cmp_eq_u32_e32 vcc_lo, 0, v18
	s_delay_alu instid0(VALU_DEP_2) | instskip(NEXT) | instid1(VALU_DEP_1)
	v_dual_cndmask_b32 v18, v18, v20 :: v_dual_cndmask_b32 v19, v19, v21
	v_lshl_add_u32 v18, v18, 23, 0x37800000
	s_delay_alu instid0(VALU_DEP_2) | instskip(NEXT) | instid1(VALU_DEP_1)
	v_lshlrev_b32_e32 v19, 21, v19
	v_or3_b32 v18, v16, v18, v19
.LBB6_12622:                            ;   in Loop: Header=BB6_12608 Depth=3
	s_or_b32 exec_lo, exec_lo, s14
	s_delay_alu instid0(VALU_DEP_1) | instskip(SKIP_2) | instid1(VALU_DEP_2)
	v_mul_f32_e32 v16, v17, v18
	v_mov_b32_e32 v18, 0x80
	s_mov_b32 s14, exec_lo
	v_and_b32_e32 v17, 0x7f800000, v16
	s_delay_alu instid0(VALU_DEP_1)
	v_cmpx_ne_u32_e32 0x7f800000, v17
	s_cbranch_execz .LBB6_12630
; %bb.12623:                            ;   in Loop: Header=BB6_12608 Depth=3
	v_mov_b32_e32 v18, 0
	s_mov_b32 s16, exec_lo
	v_cmpx_ne_u32_e32 0, v16
	s_cbranch_execz .LBB6_12629
; %bb.12624:                            ;   in Loop: Header=BB6_12608 Depth=3
	v_bfe_u32 v17, v16, 23, 8
	s_delay_alu instid0(VALU_DEP_1) | instskip(SKIP_1) | instid1(VALU_DEP_2)
	v_sub_nc_u32_e32 v19, 0x70, v17
	v_cmp_gt_u32_e32 vcc_lo, 0x71, v17
	v_dual_cndmask_b32 v19, 0, v19 :: v_dual_and_b32 v18, 0x7fffff, v16
	s_delay_alu instid0(VALU_DEP_1) | instskip(SKIP_2) | instid1(VALU_DEP_4)
	v_or_b32_e32 v20, 0x800000, v18
	v_cmp_eq_u32_e32 vcc_lo, 0, v17
	v_add_nc_u32_e32 v17, 0xffffff91, v17
	v_cndmask_b32_e64 v19, v19, 0x6f, vcc_lo
	s_delay_alu instid0(VALU_DEP_4) | instskip(NEXT) | instid1(VALU_DEP_3)
	v_cndmask_b32_e32 v18, v20, v18, vcc_lo
	v_cndmask_b32_e64 v17, v17, 0xffffff92, vcc_lo
	s_delay_alu instid0(VALU_DEP_3) | instskip(NEXT) | instid1(VALU_DEP_3)
	v_lshl_add_u32 v20, 0x200000, v19, -1
	v_lshrrev_b32_e32 v21, v19, v18
	v_lshlrev_b32_e64 v23, v19, 0x100000
	s_delay_alu instid0(VALU_DEP_4) | instskip(NEXT) | instid1(VALU_DEP_4)
	v_add_nc_u32_e32 v19, v19, v17
	v_and_b32_e32 v18, v20, v18
	s_delay_alu instid0(VALU_DEP_4) | instskip(NEXT) | instid1(VALU_DEP_2)
	v_bfe_u32 v22, v21, 21, 1
	v_cmp_eq_u32_e64 s13, v18, v23
	s_delay_alu instid0(VALU_DEP_2) | instskip(NEXT) | instid1(VALU_DEP_1)
	v_add_nc_u32_e32 v20, -1, v22
	v_cndmask_b32_e64 v18, 0, v20, s13
	v_lshrrev_b32_e32 v20, 23, v21
	s_mov_b32 s13, exec_lo
	s_delay_alu instid0(VALU_DEP_2) | instskip(NEXT) | instid1(VALU_DEP_2)
	v_add_nc_u32_e32 v18, v18, v21
	v_xor_b32_e32 v20, 1, v20
	s_delay_alu instid0(VALU_DEP_2) | instskip(NEXT) | instid1(VALU_DEP_1)
	v_and_b32_e32 v17, 0x1fffff, v18
	v_add_nc_u32_e32 v18, v17, v21
                                        ; implicit-def: $vgpr17
	s_delay_alu instid0(VALU_DEP_3)
	v_cmpx_ne_u32_e64 v19, v20
	s_xor_b32 s13, exec_lo, s13
; %bb.12625:                            ;   in Loop: Header=BB6_12608 Depth=3
	s_delay_alu instid0(VALU_DEP_2) | instskip(SKIP_2) | instid1(VALU_DEP_2)
	v_cmp_lt_u32_e32 vcc_lo, 0xffffff, v18
	v_sub_nc_u32_e32 v17, v19, v20
	v_cndmask_b32_e64 v19, 0, 1, vcc_lo
	v_add_co_ci_u32_e32 v17, vcc_lo, 0, v17, vcc_lo
	s_delay_alu instid0(VALU_DEP_2)
	v_lshrrev_b32_e32 v18, v19, v18
; %bb.12626:                            ;   in Loop: Header=BB6_12608 Depth=3
	s_and_not1_saveexec_b32 s13, s13
; %bb.12627:                            ;   in Loop: Header=BB6_12608 Depth=3
	s_delay_alu instid0(VALU_DEP_1)
	v_bfe_u32 v17, v18, 23, 1
; %bb.12628:                            ;   in Loop: Header=BB6_12608 Depth=3
	s_or_b32 exec_lo, exec_lo, s13
	v_lshrrev_b32_e32 v18, 21, v18
	s_delay_alu instid0(VALU_DEP_2) | instskip(SKIP_2) | instid1(VALU_DEP_4)
	v_cmp_gt_i32_e32 vcc_lo, 32, v17
	v_lshrrev_b32_e32 v16, 24, v16
	v_min_i32_e32 v19, 31, v17
	v_cndmask_b32_e32 v18, 3, v18, vcc_lo
	s_delay_alu instid0(VALU_DEP_3) | instskip(NEXT) | instid1(VALU_DEP_3)
	v_and_b32_e32 v16, 0x80, v16
	v_lshlrev_b32_e32 v19, 2, v19
	s_delay_alu instid0(VALU_DEP_3) | instskip(SKIP_1) | instid1(VALU_DEP_2)
	v_and_b32_e32 v20, 3, v18
	v_or_b32_e32 v17, v17, v18
	v_or3_b32 v16, v19, v16, v20
	s_delay_alu instid0(VALU_DEP_2) | instskip(NEXT) | instid1(VALU_DEP_2)
	v_cmp_ne_u32_e32 vcc_lo, 0, v17
	v_cndmask_b32_e32 v18, 0, v16, vcc_lo
.LBB6_12629:                            ;   in Loop: Header=BB6_12608 Depth=3
	s_or_b32 exec_lo, exec_lo, s16
.LBB6_12630:                            ;   in Loop: Header=BB6_12608 Depth=3
	s_delay_alu instid0(SALU_CYCLE_1) | instskip(SKIP_4) | instid1(VALU_DEP_1)
	s_or_b32 exec_lo, exec_lo, s14
	flat_load_u8 v16, v[14:15] slc dlc
	v_and_b32_e32 v19, 0xff, v18
	s_mov_b32 s13, 0
	s_mov_b32 s16, exec_lo
                                        ; implicit-def: $sgpr14
	v_cmpx_lt_i16_e32 0x7f, v19
	s_xor_b32 s16, exec_lo, s16
	s_cbranch_execnz .LBB6_12653
; %bb.12631:                            ;   in Loop: Header=BB6_12608 Depth=3
	s_or_saveexec_b32 s16, s16
	v_mov_b32_e32 v17, s14
	s_xor_b32 exec_lo, exec_lo, s16
	s_cbranch_execnz .LBB6_12656
.LBB6_12632:                            ;   in Loop: Header=BB6_12608 Depth=3
	s_or_b32 exec_lo, exec_lo, s16
	s_and_saveexec_b32 s14, s13
	s_cbranch_execz .LBB6_12634
.LBB6_12633:                            ;   in Loop: Header=BB6_12608 Depth=3
	v_and_b32_e32 v17, 3, v18
	v_lshrrev_b16 v21, 2, v18
	s_delay_alu instid0(VALU_DEP_2) | instskip(NEXT) | instid1(VALU_DEP_2)
	v_clz_i32_u32_e32 v19, v17
	v_and_b32_e32 v21, 31, v21
	s_delay_alu instid0(VALU_DEP_2) | instskip(NEXT) | instid1(VALU_DEP_2)
	v_min_u32_e32 v19, 32, v19
	v_cmp_eq_u32_e32 vcc_lo, 0, v21
	s_delay_alu instid0(VALU_DEP_2) | instskip(SKIP_1) | instid1(VALU_DEP_1)
	v_subrev_nc_u32_e32 v20, 29, v19
	v_sub_nc_u32_e32 v19, 30, v19
	v_dual_cndmask_b32 v19, v21, v19 :: v_dual_lshlrev_b32 v20, v20, v18
	s_delay_alu instid0(VALU_DEP_1) | instskip(SKIP_1) | instid1(VALU_DEP_3)
	v_and_b32_e32 v20, 3, v20
	v_lshlrev_b32_e32 v18, 24, v18
	v_lshl_add_u32 v19, v19, 23, 0x37800000
	s_delay_alu instid0(VALU_DEP_2) | instskip(NEXT) | instid1(VALU_DEP_1)
	v_dual_cndmask_b32 v17, v17, v20 :: v_dual_and_b32 v18, 0x80000000, v18
	v_lshlrev_b32_e32 v17, 21, v17
	s_delay_alu instid0(VALU_DEP_1)
	v_or3_b32 v17, v18, v19, v17
.LBB6_12634:                            ;   in Loop: Header=BB6_12608 Depth=3
	s_or_b32 exec_lo, exec_lo, s14
	s_waitcnt vmcnt(0) lgkmcnt(0)
	v_and_b32_e32 v19, 0xff, v16
	s_mov_b32 s13, 0
	s_mov_b32 s16, exec_lo
                                        ; implicit-def: $sgpr14
	s_delay_alu instid0(VALU_DEP_1)
	v_cmpx_lt_i16_e32 0x7f, v19
	s_xor_b32 s16, exec_lo, s16
	s_cbranch_execnz .LBB6_12657
; %bb.12635:                            ;   in Loop: Header=BB6_12608 Depth=3
	s_or_saveexec_b32 s16, s16
	v_mov_b32_e32 v18, s14
	s_xor_b32 exec_lo, exec_lo, s16
	s_cbranch_execnz .LBB6_12660
.LBB6_12636:                            ;   in Loop: Header=BB6_12608 Depth=3
	s_or_b32 exec_lo, exec_lo, s16
	s_and_saveexec_b32 s14, s13
	s_cbranch_execz .LBB6_12638
.LBB6_12637:                            ;   in Loop: Header=BB6_12608 Depth=3
	v_lshrrev_b16 v21, 2, v16
	s_delay_alu instid0(VALU_DEP_1) | instskip(NEXT) | instid1(VALU_DEP_1)
	v_and_b32_e32 v21, 31, v21
	v_cmp_eq_u32_e32 vcc_lo, 0, v21
	v_and_b32_e32 v18, 3, v16
	s_delay_alu instid0(VALU_DEP_1) | instskip(NEXT) | instid1(VALU_DEP_1)
	v_clz_i32_u32_e32 v19, v18
	v_min_u32_e32 v19, 32, v19
	s_delay_alu instid0(VALU_DEP_1) | instskip(SKIP_1) | instid1(VALU_DEP_1)
	v_subrev_nc_u32_e32 v20, 29, v19
	v_sub_nc_u32_e32 v19, 30, v19
	v_dual_cndmask_b32 v19, v21, v19 :: v_dual_lshlrev_b32 v20, v20, v16
	v_lshlrev_b32_e32 v16, 24, v16
	s_delay_alu instid0(VALU_DEP_2) | instskip(NEXT) | instid1(VALU_DEP_3)
	v_and_b32_e32 v20, 3, v20
	v_lshl_add_u32 v19, v19, 23, 0x37800000
	s_delay_alu instid0(VALU_DEP_3) | instskip(NEXT) | instid1(VALU_DEP_3)
	v_and_b32_e32 v16, 0x80000000, v16
	v_cndmask_b32_e32 v18, v18, v20, vcc_lo
	s_delay_alu instid0(VALU_DEP_1) | instskip(NEXT) | instid1(VALU_DEP_1)
	v_lshlrev_b32_e32 v18, 21, v18
	v_or3_b32 v18, v16, v19, v18
.LBB6_12638:                            ;   in Loop: Header=BB6_12608 Depth=3
	s_or_b32 exec_lo, exec_lo, s14
	s_delay_alu instid0(VALU_DEP_1) | instskip(NEXT) | instid1(VALU_DEP_1)
	v_add_f32_e32 v16, v17, v18
	v_and_b32_e32 v17, 0x7f800000, v16
	s_delay_alu instid0(VALU_DEP_1)
	v_cmp_ne_u32_e32 vcc_lo, 0x7f800000, v17
	v_mov_b32_e32 v17, 0x80
	s_and_saveexec_b32 s14, vcc_lo
	s_cbranch_execz .LBB6_12646
; %bb.12639:                            ;   in Loop: Header=BB6_12608 Depth=3
	v_mov_b32_e32 v17, 0
	s_mov_b32 s16, exec_lo
	v_cmpx_ne_u32_e32 0, v16
	s_cbranch_execz .LBB6_12645
; %bb.12640:                            ;   in Loop: Header=BB6_12608 Depth=3
	v_bfe_u32 v17, v16, 23, 8
	s_delay_alu instid0(VALU_DEP_1) | instskip(SKIP_1) | instid1(VALU_DEP_2)
	v_sub_nc_u32_e32 v19, 0x70, v17
	v_cmp_gt_u32_e32 vcc_lo, 0x71, v17
	v_dual_cndmask_b32 v19, 0, v19 :: v_dual_and_b32 v18, 0x7fffff, v16
	s_delay_alu instid0(VALU_DEP_1) | instskip(SKIP_2) | instid1(VALU_DEP_4)
	v_or_b32_e32 v20, 0x800000, v18
	v_cmp_eq_u32_e32 vcc_lo, 0, v17
	v_add_nc_u32_e32 v17, 0xffffff91, v17
	v_cndmask_b32_e64 v19, v19, 0x6f, vcc_lo
	s_delay_alu instid0(VALU_DEP_4) | instskip(NEXT) | instid1(VALU_DEP_3)
	v_cndmask_b32_e32 v18, v20, v18, vcc_lo
	v_cndmask_b32_e64 v17, v17, 0xffffff92, vcc_lo
	s_delay_alu instid0(VALU_DEP_3) | instskip(NEXT) | instid1(VALU_DEP_3)
	v_lshl_add_u32 v20, 0x200000, v19, -1
	v_lshrrev_b32_e32 v21, v19, v18
	v_lshlrev_b32_e64 v23, v19, 0x100000
	s_delay_alu instid0(VALU_DEP_4) | instskip(NEXT) | instid1(VALU_DEP_4)
	v_add_nc_u32_e32 v19, v19, v17
	v_and_b32_e32 v18, v20, v18
	s_delay_alu instid0(VALU_DEP_4) | instskip(NEXT) | instid1(VALU_DEP_2)
	v_bfe_u32 v22, v21, 21, 1
	v_cmp_eq_u32_e64 s13, v18, v23
	s_delay_alu instid0(VALU_DEP_2) | instskip(NEXT) | instid1(VALU_DEP_1)
	v_add_nc_u32_e32 v20, -1, v22
	v_cndmask_b32_e64 v18, 0, v20, s13
	v_lshrrev_b32_e32 v20, 23, v21
	s_mov_b32 s13, exec_lo
	s_delay_alu instid0(VALU_DEP_2) | instskip(NEXT) | instid1(VALU_DEP_2)
	v_add_nc_u32_e32 v18, v18, v21
	v_xor_b32_e32 v20, 1, v20
	s_delay_alu instid0(VALU_DEP_2) | instskip(NEXT) | instid1(VALU_DEP_1)
	v_and_b32_e32 v17, 0x1fffff, v18
	v_add_nc_u32_e32 v18, v17, v21
                                        ; implicit-def: $vgpr17
	s_delay_alu instid0(VALU_DEP_3)
	v_cmpx_ne_u32_e64 v19, v20
	s_xor_b32 s13, exec_lo, s13
; %bb.12641:                            ;   in Loop: Header=BB6_12608 Depth=3
	s_delay_alu instid0(VALU_DEP_2) | instskip(SKIP_2) | instid1(VALU_DEP_2)
	v_cmp_lt_u32_e32 vcc_lo, 0xffffff, v18
	v_sub_nc_u32_e32 v17, v19, v20
	v_cndmask_b32_e64 v19, 0, 1, vcc_lo
	v_add_co_ci_u32_e32 v17, vcc_lo, 0, v17, vcc_lo
	s_delay_alu instid0(VALU_DEP_2)
	v_lshrrev_b32_e32 v18, v19, v18
; %bb.12642:                            ;   in Loop: Header=BB6_12608 Depth=3
	s_and_not1_saveexec_b32 s13, s13
; %bb.12643:                            ;   in Loop: Header=BB6_12608 Depth=3
	s_delay_alu instid0(VALU_DEP_1)
	v_bfe_u32 v17, v18, 23, 1
; %bb.12644:                            ;   in Loop: Header=BB6_12608 Depth=3
	s_or_b32 exec_lo, exec_lo, s13
	v_lshrrev_b32_e32 v18, 21, v18
	s_delay_alu instid0(VALU_DEP_2) | instskip(SKIP_2) | instid1(VALU_DEP_2)
	v_cmp_gt_i32_e32 vcc_lo, 32, v17
	v_min_i32_e32 v19, 31, v17
	v_lshrrev_b32_e32 v16, 24, v16
	v_dual_cndmask_b32 v18, 3, v18 :: v_dual_lshlrev_b32 v19, 2, v19
	s_delay_alu instid0(VALU_DEP_2) | instskip(NEXT) | instid1(VALU_DEP_2)
	v_and_b32_e32 v16, 0x80, v16
	v_or_b32_e32 v17, v17, v18
	s_delay_alu instid0(VALU_DEP_1) | instskip(SKIP_1) | instid1(VALU_DEP_1)
	v_cmp_ne_u32_e32 vcc_lo, 0, v17
	v_and_b32_e32 v20, 3, v18
	v_or3_b32 v16, v19, v16, v20
	s_delay_alu instid0(VALU_DEP_1)
	v_cndmask_b32_e32 v17, 0, v16, vcc_lo
.LBB6_12645:                            ;   in Loop: Header=BB6_12608 Depth=3
	s_or_b32 exec_lo, exec_lo, s16
.LBB6_12646:                            ;   in Loop: Header=BB6_12608 Depth=3
	s_delay_alu instid0(SALU_CYCLE_1)
	s_or_b32 exec_lo, exec_lo, s14
	s_mov_b64 s[16:17], 0
	s_mov_b32 s34, -1
.LBB6_12647:                            ;   Parent Loop BB6_51 Depth=1
                                        ;     Parent Loop BB6_7988 Depth=2
                                        ;       Parent Loop BB6_12608 Depth=3
                                        ; =>      This Inner Loop Header: Depth=4
	s_cmp_eq_u32 s16, 1
	s_cselect_b32 vcc_lo, -1, 0
	s_cmp_eq_u32 s16, 0
	v_dual_cndmask_b32 v19, v9, v11 :: v_dual_cndmask_b32 v18, v8, v10
	s_mov_b64 s[16:17], 1
	s_delay_alu instid0(VALU_DEP_1) | instskip(NEXT) | instid1(VALU_DEP_1)
	v_add_co_u32 v16, s13, v18, 32
	v_add_co_ci_u32_e64 v20, s13, 0, v19, s13
	s_cselect_b32 s13, -1, 0
	s_delay_alu instid0(VALU_DEP_2) | instskip(SKIP_1) | instid1(VALU_DEP_3)
	v_cndmask_b32_e32 v10, v10, v16, vcc_lo
	v_cndmask_b32_e64 v8, v8, v16, s13
	v_cndmask_b32_e32 v11, v11, v20, vcc_lo
	v_cndmask_b32_e64 v9, v9, v20, s13
	s_and_b32 s14, exec_lo, s34
	s_mov_b32 s34, 0
	s_mov_b32 vcc_lo, s14
	flat_store_b8 v[18:19], v17 glc slc dlc
	s_cbranch_vccnz .LBB6_12647
; %bb.12648:                            ;   in Loop: Header=BB6_12608 Depth=3
	v_dual_mov_b32 v16, v186 :: v_dual_mov_b32 v17, v187
	v_sub_nc_u32_e32 v2, v2, v171
	s_delay_alu instid0(VALU_DEP_2) | instskip(NEXT) | instid1(VALU_DEP_3)
	v_add_co_u32 v12, vcc_lo, v12, v16
	v_add_co_ci_u32_e32 v13, vcc_lo, v13, v17, vcc_lo
	v_add_co_u32 v14, vcc_lo, v14, v16
	v_mov_b32_e32 v16, v174
	v_add_co_ci_u32_e32 v15, vcc_lo, v15, v17, vcc_lo
	v_mov_b32_e32 v17, v185
	s_delay_alu instid0(VALU_DEP_3) | instskip(SKIP_1) | instid1(VALU_DEP_3)
	v_add_co_u32 v8, vcc_lo, v8, v16
	v_add_co_u32 v10, s13, v10, v16
	v_add_co_ci_u32_e32 v9, vcc_lo, v9, v17, vcc_lo
	v_cmp_gt_i32_e32 vcc_lo, 1, v2
	v_add_co_ci_u32_e64 v11, s13, v11, v17, s13
	s_or_b32 s31, vcc_lo, s31
	s_delay_alu instid0(SALU_CYCLE_1)
	s_and_not1_b32 exec_lo, exec_lo, s31
	s_cbranch_execnz .LBB6_12608
	s_branch .LBB6_12661
.LBB6_12649:                            ;   in Loop: Header=BB6_12608 Depth=3
	s_mov_b32 s13, -1
	s_mov_b32 s17, exec_lo
                                        ; implicit-def: $sgpr14
	v_cmpx_eq_u16_e32 0x80, v16
; %bb.12650:                            ;   in Loop: Header=BB6_12608 Depth=3
	s_mov_b32 s14, 0x7f800001
	s_xor_b32 s13, exec_lo, -1
; %bb.12651:                            ;   in Loop: Header=BB6_12608 Depth=3
	s_or_b32 exec_lo, exec_lo, s17
	s_delay_alu instid0(SALU_CYCLE_1)
	s_and_b32 s13, s13, exec_lo
	s_or_saveexec_b32 s16, s16
	v_mov_b32_e32 v18, s14
	s_xor_b32 exec_lo, exec_lo, s16
	s_cbranch_execz .LBB6_12620
.LBB6_12652:                            ;   in Loop: Header=BB6_12608 Depth=3
	v_cmp_ne_u16_e32 vcc_lo, 0, v16
	v_mov_b32_e32 v18, 0
	s_and_not1_b32 s13, s13, exec_lo
	s_and_b32 s14, vcc_lo, exec_lo
	s_delay_alu instid0(SALU_CYCLE_1)
	s_or_b32 s13, s13, s14
	s_or_b32 exec_lo, exec_lo, s16
	s_and_saveexec_b32 s14, s13
	s_cbranch_execnz .LBB6_12621
	s_branch .LBB6_12622
.LBB6_12653:                            ;   in Loop: Header=BB6_12608 Depth=3
	s_mov_b32 s13, -1
	s_mov_b32 s17, exec_lo
                                        ; implicit-def: $sgpr14
	v_cmpx_eq_u16_e32 0x80, v19
; %bb.12654:                            ;   in Loop: Header=BB6_12608 Depth=3
	s_mov_b32 s14, 0x7f800001
	s_xor_b32 s13, exec_lo, -1
; %bb.12655:                            ;   in Loop: Header=BB6_12608 Depth=3
	s_or_b32 exec_lo, exec_lo, s17
	s_delay_alu instid0(SALU_CYCLE_1)
	s_and_b32 s13, s13, exec_lo
                                        ; implicit-def: $vgpr19
	s_or_saveexec_b32 s16, s16
	v_mov_b32_e32 v17, s14
	s_xor_b32 exec_lo, exec_lo, s16
	s_cbranch_execz .LBB6_12632
.LBB6_12656:                            ;   in Loop: Header=BB6_12608 Depth=3
	v_cmp_ne_u16_e32 vcc_lo, 0, v19
	v_mov_b32_e32 v17, 0
	s_and_not1_b32 s13, s13, exec_lo
	s_and_b32 s14, vcc_lo, exec_lo
	s_delay_alu instid0(SALU_CYCLE_1)
	s_or_b32 s13, s13, s14
	s_or_b32 exec_lo, exec_lo, s16
	s_and_saveexec_b32 s14, s13
	s_cbranch_execnz .LBB6_12633
	s_branch .LBB6_12634
.LBB6_12657:                            ;   in Loop: Header=BB6_12608 Depth=3
	s_mov_b32 s13, -1
	s_mov_b32 s17, exec_lo
                                        ; implicit-def: $sgpr14
	v_cmpx_eq_u16_e32 0x80, v19
; %bb.12658:                            ;   in Loop: Header=BB6_12608 Depth=3
	s_mov_b32 s14, 0x7f800001
	s_xor_b32 s13, exec_lo, -1
; %bb.12659:                            ;   in Loop: Header=BB6_12608 Depth=3
	s_or_b32 exec_lo, exec_lo, s17
	s_delay_alu instid0(SALU_CYCLE_1)
	s_and_b32 s13, s13, exec_lo
                                        ; implicit-def: $vgpr19
	s_or_saveexec_b32 s16, s16
	v_mov_b32_e32 v18, s14
	s_xor_b32 exec_lo, exec_lo, s16
	s_cbranch_execz .LBB6_12636
.LBB6_12660:                            ;   in Loop: Header=BB6_12608 Depth=3
	v_cmp_ne_u16_e32 vcc_lo, 0, v19
	v_mov_b32_e32 v18, 0
	s_and_not1_b32 s13, s13, exec_lo
	s_and_b32 s14, vcc_lo, exec_lo
	s_delay_alu instid0(SALU_CYCLE_1)
	s_or_b32 s13, s13, s14
	s_or_b32 exec_lo, exec_lo, s16
	s_and_saveexec_b32 s14, s13
	s_cbranch_execnz .LBB6_12637
	s_branch .LBB6_12638
.LBB6_12661:                            ;   in Loop: Header=BB6_7988 Depth=2
	s_or_b32 exec_lo, exec_lo, s30
.LBB6_12662:                            ;   in Loop: Header=BB6_7988 Depth=2
	s_delay_alu instid0(SALU_CYCLE_1)
	s_or_b32 exec_lo, exec_lo, s15
	s_mov_b32 s13, 0
.LBB6_12663:                            ;   in Loop: Header=BB6_7988 Depth=2
	s_delay_alu instid0(SALU_CYCLE_1)
	s_and_b32 vcc_lo, exec_lo, s13
	s_cbranch_vccnz .LBB6_12664
; %bb.18781:                            ;   in Loop: Header=BB6_7988 Depth=2
	s_getpc_b64 s[48:49]
.Lpost_getpc417:
	s_add_u32 s48, s48, (.LBB6_17255-.Lpost_getpc417)&4294967295
	s_addc_u32 s49, s49, (.LBB6_17255-.Lpost_getpc417)>>32
	s_setpc_b64 s[48:49]
.LBB6_12664:                            ;   in Loop: Header=BB6_7988 Depth=2
	s_mov_b32 s13, -1
	s_and_saveexec_b32 s14, s12
	s_cbranch_execz .LBB6_12666
; %bb.12665:                            ;   in Loop: Header=BB6_7988 Depth=2
	ds_load_b32 v2, v0 offset:720
	s_waitcnt lgkmcnt(0)
	v_and_b32_e32 v2, 15, v2
	s_delay_alu instid0(VALU_DEP_1)
	v_cmp_eq_u32_e32 vcc_lo, 0, v2
	s_or_not1_b32 s13, vcc_lo, exec_lo
.LBB6_12666:                            ;   in Loop: Header=BB6_7988 Depth=2
	s_or_b32 exec_lo, exec_lo, s14
	s_and_saveexec_b32 s14, s5
	s_cbranch_execz .LBB6_12668
; %bb.12667:                            ;   in Loop: Header=BB6_7988 Depth=2
	ds_load_b32 v2, v0 offset:784
	s_waitcnt lgkmcnt(0)
	v_and_b32_e32 v2, 15, v2
	s_delay_alu instid0(VALU_DEP_1) | instskip(SKIP_3) | instid1(SALU_CYCLE_1)
	v_cmp_eq_u32_e32 vcc_lo, 0, v2
	s_and_b32 s15, s13, vcc_lo
	s_and_not1_b32 s13, s13, exec_lo
	s_and_b32 s15, s15, exec_lo
	s_or_b32 s13, s13, s15
.LBB6_12668:                            ;   in Loop: Header=BB6_7988 Depth=2
	s_or_b32 exec_lo, exec_lo, s14
	s_xor_b32 s13, s13, -1
	v_dual_mov_b32 v16, 0 :: v_dual_mov_b32 v17, v150
	v_cndmask_b32_e64 v2, 0, 1, s13
	;;#ASMSTART
	;;#ASMEND
	s_delay_alu instid0(VALU_DEP_1)
	v_cmp_ne_u32_e32 vcc_lo, 0, v2
	v_mov_b32_e32 v18, v0
	v_mov_b32_e32 v8, v156
	s_mov_b32 s13, -1
	s_cbranch_vccz .LBB6_12669
; %bb.18783:                            ;   in Loop: Header=BB6_7988 Depth=2
	s_getpc_b64 s[48:49]
.Lpost_getpc418:
	s_add_u32 s48, s48, (.LBB6_15902-.Lpost_getpc418)&4294967295
	s_addc_u32 s49, s49, (.LBB6_15902-.Lpost_getpc418)>>32
	s_setpc_b64 s[48:49]
.LBB6_12669:                            ;   in Loop: Header=BB6_7988 Depth=2
	v_ashrrev_i32_e32 v2, 31, v150
	s_mov_b32 s14, exec_lo
	s_delay_alu instid0(VALU_DEP_1) | instskip(NEXT) | instid1(VALU_DEP_1)
	v_lshrrev_b32_e32 v2, 21, v2
	v_add_nc_u32_e32 v2, v150, v2
	s_delay_alu instid0(VALU_DEP_1) | instskip(NEXT) | instid1(VALU_DEP_1)
	v_ashrrev_i32_e32 v84, 11, v2
	v_sub_nc_u32_e32 v2, v84, v156
	s_delay_alu instid0(VALU_DEP_1)
	v_cmpx_lt_i32_e32 0, v2
	s_cbranch_execz .LBB6_15243
; %bb.12670:                            ;   in Loop: Header=BB6_7988 Depth=2
	s_cbranch_execz .LBB6_12671
; %bb.18785:
	s_getpc_b64 s[48:49]
.Lpost_getpc419:
	s_add_u32 s48, s48, (.LBB6_18341-.Lpost_getpc419)&4294967295
	s_addc_u32 s49, s49, (.LBB6_18341-.Lpost_getpc419)>>32
	s_setpc_b64 s[48:49]
.LBB6_12671:                            ;   in Loop: Header=BB6_7988 Depth=2
	ds_load_b64 v[12:13], v0
	ds_load_b128 v[8:11], v0
	s_waitcnt lgkmcnt(1)
	v_dual_mov_b32 v14, v188 :: v_dual_and_b32 v85, 0xff, v12
	v_readfirstlane_b32 s13, v12
	s_waitcnt lgkmcnt(0)
	s_delay_alu instid0(VALU_DEP_2) | instskip(SKIP_1) | instid1(VALU_DEP_3)
	v_add_co_u32 v69, vcc_lo, v8, v14
	v_mov_b32_e32 v8, v189
	s_and_b32 s15, s13, 3
	s_bfe_u32 s30, s13, 0x50002
	s_clz_i32_u32 s16, s15
	s_delay_alu instid0(VALU_DEP_1)
	v_add_co_ci_u32_e32 v70, vcc_lo, v9, v8, vcc_lo
	s_min_u32 s16, s16, 32
	v_add_co_u32 v80, vcc_lo, v10, v14
	s_sub_i32 s17, s16, 29
	s_sub_i32 s16, 30, s16
	s_lshl_b32 s17, s13, s17
	v_add_co_ci_u32_e32 v81, vcc_lo, v11, v8, vcc_lo
	s_and_b32 s17, s17, 3
	s_cmp_eq_u32 s30, 0
	v_add_co_u32 v82, vcc_lo, v12, v14
	s_cselect_b32 s16, s16, s30
	s_cselect_b32 s15, s17, s15
	s_lshl_b32 s13, s13, 24
	s_lshl_b32 s17, s15, 21
	s_lshl_b32 s15, s16, 23
	s_and_b32 s13, s13, 0x80000000
	s_add_i32 s15, s15, 0x37800000
	v_add_co_ci_u32_e32 v83, vcc_lo, v13, v8, vcc_lo
	s_or_b32 s13, s13, s15
	s_mov_b32 s15, 0
	s_or_b32 s16, s13, s17
	s_branch .LBB6_12675
.LBB6_12672:                            ;   in Loop: Header=BB6_12675 Depth=3
	s_or_b32 exec_lo, exec_lo, s13
	s_delay_alu instid0(VALU_DEP_1) | instskip(NEXT) | instid1(VALU_DEP_2)
	v_lshrrev_b32_e32 v48, 21, v48
	v_cmp_gt_i32_e32 vcc_lo, 32, v11
	v_min_i32_e32 v49, 31, v11
	v_lshrrev_b32_e32 v39, 24, v39
	s_delay_alu instid0(VALU_DEP_2) | instskip(NEXT) | instid1(VALU_DEP_2)
	v_dual_cndmask_b32 v48, 3, v48 :: v_dual_lshlrev_b32 v49, 2, v49
	v_and_b32_e32 v39, 0x80, v39
	s_delay_alu instid0(VALU_DEP_2) | instskip(NEXT) | instid1(VALU_DEP_3)
	v_or_b32_e32 v11, v11, v48
	v_and_b32_e32 v49, 0xfc, v49
	s_delay_alu instid0(VALU_DEP_2) | instskip(SKIP_1) | instid1(VALU_DEP_1)
	v_cmp_ne_u32_e32 vcc_lo, 0, v11
	v_and_b32_e32 v50, 3, v48
	v_or3_b32 v39, v39, v49, v50
	s_delay_alu instid0(VALU_DEP_1) | instskip(NEXT) | instid1(VALU_DEP_1)
	v_lshlrev_b32_e32 v39, 8, v39
	v_cndmask_b32_e32 v11, 0, v39, vcc_lo
.LBB6_12673:                            ;   in Loop: Header=BB6_12675 Depth=3
	s_or_b32 exec_lo, exec_lo, s30
.LBB6_12674:                            ;   in Loop: Header=BB6_12675 Depth=3
	s_delay_alu instid0(SALU_CYCLE_1)
	s_or_b32 exec_lo, exec_lo, s17
	v_or_b32_e32 v13, v13, v61
	v_and_b32_e32 v39, 0xff, v74
	v_lshlrev_b32_e32 v49, 8, v76
	v_and_b32_e32 v50, 0xff, v57
	v_lshlrev_b32_e32 v51, 8, v58
	;; [unrolled: 2-line block ×3, first 2 shown]
	v_lshlrev_b32_e32 v13, 16, v13
	v_lshlrev_b32_e32 v39, 16, v39
	v_perm_b32 v49, v49, v78, 0xc0c0500
	v_lshlrev_b32_e32 v14, 24, v14
	v_lshlrev_b32_e32 v50, 16, v50
	v_perm_b32 v51, v51, v60, 0xc0c0500
	v_or3_b32 v13, v72, v48, v13
	v_or3_b32 v12, v12, v39, v49
	v_and_b32_e32 v48, 0xff, v110
	v_lshlrev_b32_e32 v49, 8, v111
	v_or3_b32 v14, v14, v50, v51
	v_and_b32_e32 v50, 0xff, v92
	v_lshlrev_b32_e32 v51, 8, v93
	v_lshlrev_b32_e32 v16, 24, v16
	;; [unrolled: 1-line block ×3, first 2 shown]
	v_perm_b32 v49, v49, v122, 0xc0c0500
	v_lshlrev_b32_e32 v18, 24, v18
	v_lshlrev_b32_e32 v50, 16, v50
	v_perm_b32 v51, v51, v95, 0xc0c0500
	v_or_b32_e32 v15, v15, v103
	v_or_b32_e32 v17, v17, v105
	v_or3_b32 v16, v16, v48, v49
	v_or_b32_e32 v21, v21, v56
	v_or3_b32 v18, v18, v50, v51
	v_and_b32_e32 v49, 0xff, v176
	v_lshlrev_b32_e32 v50, 8, v161
	v_and_b32_e32 v53, 0xff, v96
	v_lshlrev_b32_e32 v15, 16, v15
	;; [unrolled: 2-line block ×3, first 2 shown]
	v_or_b32_e32 v19, v19, v88
	v_and_b32_e32 v48, 0xff, v98
	v_lshlrev_b32_e32 v21, 16, v21
	v_lshlrev_b32_e32 v20, 24, v20
	;; [unrolled: 1-line block ×3, first 2 shown]
	v_perm_b32 v50, v50, v151, 0xc0c0500
	v_or3_b32 v15, v133, v53, v15
	v_or3_b32 v17, v108, v39, v17
	v_and_b32_e32 v39, 0xff, v89
	v_lshlrev_b32_e32 v19, 16, v19
	v_and_b32_e32 v51, 0xff, v79
	v_lshlrev_b32_e32 v53, 8, v75
	v_or_b32_e32 v23, v23, v121
	v_or3_b32 v21, v101, v48, v21
	v_or3_b32 v20, v20, v49, v50
	v_or_b32_e32 v9, v9, v132
	v_and_b32_e32 v48, 0xff, v182
	v_lshlrev_b32_e32 v50, 8, v40
	v_and_b32_e32 v27, 0xff, v27
	v_lshlrev_b32_e32 v26, 8, v26
	v_or_b32_e32 v11, v11, v38
	v_lshlrev_b32_e32 v22, 24, v22
	v_lshlrev_b32_e32 v51, 16, v51
	v_perm_b32 v53, v53, v62, 0xc0c0500
	v_or3_b32 v19, v90, v39, v19
	v_and_b32_e32 v39, 0xff, v104
	v_lshlrev_b32_e32 v23, 16, v23
	v_and_b32_e32 v49, 0xff, v129
	v_lshlrev_b32_e32 v9, 16, v9
	v_lshlrev_b32_e32 v8, 24, v8
	;; [unrolled: 1-line block ×3, first 2 shown]
	v_perm_b32 v50, v50, v144, 0xc0c0500
	v_lshlrev_b32_e32 v10, 24, v10
	v_lshlrev_b32_e32 v27, 16, v27
	v_perm_b32 v26, v26, v52, 0xc0c0500
	v_and_b32_e32 v36, 0xff, v36
	v_lshlrev_b32_e32 v11, 16, v11
	v_or3_b32 v22, v22, v51, v53
	v_or3_b32 v23, v106, v39, v23
	;; [unrolled: 1-line block ×6, first 2 shown]
	s_clause 0x3
	global_store_b128 v[82:83], v[20:23], off glc slc dlc
	global_store_b128 v[82:83], v[16:19], off offset:512 glc slc dlc
	global_store_b128 v[82:83], v[12:15], off offset:1024 glc slc dlc
	;; [unrolled: 1-line block ×3, first 2 shown]
	v_mov_b32_e32 v9, v43
	v_mov_b32_e32 v8, v183
	v_sub_nc_u32_e32 v2, v2, v97
	s_delay_alu instid0(VALU_DEP_2) | instskip(NEXT) | instid1(VALU_DEP_4)
	v_add_co_u32 v69, vcc_lo, v69, v8
	v_add_co_ci_u32_e32 v70, vcc_lo, v70, v9, vcc_lo
	v_add_co_u32 v80, vcc_lo, v80, v8
	v_add_co_ci_u32_e32 v81, vcc_lo, v81, v9, vcc_lo
	v_cmp_gt_i32_e32 vcc_lo, 1, v2
	v_add_co_u32 v82, s13, v82, v8
	s_delay_alu instid0(VALU_DEP_1) | instskip(SKIP_1) | instid1(SALU_CYCLE_1)
	v_add_co_ci_u32_e64 v83, s13, v83, v9, s13
	s_or_b32 s15, vcc_lo, s15
	s_and_not1_b32 exec_lo, exec_lo, s15
	s_cbranch_execz .LBB6_15242
.LBB6_12675:                            ;   Parent Loop BB6_51 Depth=1
                                        ;     Parent Loop BB6_7988 Depth=2
                                        ; =>    This Inner Loop Header: Depth=3
	v_cmp_gt_i16_e32 vcc_lo, 0x80, v85
	s_cbranch_vccnz .LBB6_12679
; %bb.12676:                            ;   in Loop: Header=BB6_12675 Depth=3
	v_cmp_eq_u16_e32 vcc_lo, 0x80, v85
	s_mov_b32 s13, -1
                                        ; implicit-def: $sgpr17
	s_cbranch_vccz .LBB6_12678
; %bb.12677:                            ;   in Loop: Header=BB6_12675 Depth=3
	s_mov_b32 s13, 0
	s_mov_b32 s17, 0x7f800001
.LBB6_12678:                            ;   in Loop: Header=BB6_12675 Depth=3
	s_mov_b32 vcc_lo, 0
	s_branch .LBB6_12680
.LBB6_12679:                            ;   in Loop: Header=BB6_12675 Depth=3
	s_mov_b32 vcc_lo, -1
	s_mov_b32 s13, 0
                                        ; implicit-def: $sgpr17
.LBB6_12680:                            ;   in Loop: Header=BB6_12675 Depth=3
	s_and_b32 vcc_lo, exec_lo, vcc_lo
	s_cbranch_vccz .LBB6_12682
; %bb.12681:                            ;   in Loop: Header=BB6_12675 Depth=3
	v_cmp_ne_u16_e64 s13, 0, v85
	s_mov_b32 s17, 0
.LBB6_12682:                            ;   in Loop: Header=BB6_12675 Depth=3
	s_delay_alu instid0(VALU_DEP_1)
	s_and_not1_b32 vcc_lo, exec_lo, s13
	s_cbranch_vccnz .LBB6_12684
; %bb.12683:                            ;   in Loop: Header=BB6_12675 Depth=3
	s_mov_b32 s17, s16
.LBB6_12684:                            ;   in Loop: Header=BB6_12675 Depth=3
	global_load_b128 v[8:11], v[69:70], off slc dlc
	s_mov_b32 s13, 0
	s_mov_b32 s31, exec_lo
                                        ; implicit-def: $sgpr30
	s_waitcnt vmcnt(0)
	v_and_b32_e32 v13, 0xff, v8
	s_delay_alu instid0(VALU_DEP_1)
	v_cmpx_lt_i16_e32 0x7f, v13
	s_xor_b32 s31, exec_lo, s31
	s_cbranch_execnz .LBB6_14474
; %bb.12685:                            ;   in Loop: Header=BB6_12675 Depth=3
	s_or_saveexec_b32 s31, s31
	v_mov_b32_e32 v12, s30
	s_xor_b32 exec_lo, exec_lo, s31
	s_cbranch_execnz .LBB6_14477
.LBB6_12686:                            ;   in Loop: Header=BB6_12675 Depth=3
	s_or_b32 exec_lo, exec_lo, s31
	s_and_saveexec_b32 s30, s13
	s_cbranch_execz .LBB6_12688
.LBB6_12687:                            ;   in Loop: Header=BB6_12675 Depth=3
	v_bfe_u32 v15, v8, 2, 5
	v_lshlrev_b32_e32 v16, 24, v8
	s_delay_alu instid0(VALU_DEP_2) | instskip(SKIP_1) | instid1(VALU_DEP_1)
	v_cmp_eq_u32_e32 vcc_lo, 0, v15
	v_and_b32_e32 v12, 3, v8
	v_clz_i32_u32_e32 v13, v12
	s_delay_alu instid0(VALU_DEP_1) | instskip(NEXT) | instid1(VALU_DEP_1)
	v_min_u32_e32 v13, 32, v13
	v_subrev_nc_u32_e32 v14, 29, v13
	v_sub_nc_u32_e32 v13, 30, v13
	s_delay_alu instid0(VALU_DEP_1) | instskip(NEXT) | instid1(VALU_DEP_1)
	v_dual_cndmask_b32 v13, v15, v13 :: v_dual_lshlrev_b32 v14, v14, v8
	v_and_b32_e32 v14, 3, v14
	s_delay_alu instid0(VALU_DEP_2) | instskip(NEXT) | instid1(VALU_DEP_2)
	v_lshl_add_u32 v13, v13, 23, 0x37800000
	v_cndmask_b32_e32 v12, v12, v14, vcc_lo
	v_and_b32_e32 v14, 0x80000000, v16
	s_delay_alu instid0(VALU_DEP_2) | instskip(NEXT) | instid1(VALU_DEP_1)
	v_lshlrev_b32_e32 v12, 21, v12
	v_or3_b32 v12, v14, v13, v12
.LBB6_12688:                            ;   in Loop: Header=BB6_12675 Depth=3
	s_or_b32 exec_lo, exec_lo, s30
	s_delay_alu instid0(VALU_DEP_1) | instskip(SKIP_1) | instid1(VALU_DEP_1)
	v_dual_mul_f32 v12, s17, v12 :: v_dual_mov_b32 v151, 0x80
	s_mov_b32 s30, exec_lo
	v_and_b32_e32 v13, 0x7f800000, v12
	s_delay_alu instid0(VALU_DEP_1)
	v_cmpx_ne_u32_e32 0x7f800000, v13
	s_cbranch_execz .LBB6_12696
; %bb.12689:                            ;   in Loop: Header=BB6_12675 Depth=3
	v_mov_b32_e32 v151, 0
	s_mov_b32 s31, exec_lo
	v_cmpx_ne_u32_e32 0, v12
	s_cbranch_execz .LBB6_12695
; %bb.12690:                            ;   in Loop: Header=BB6_12675 Depth=3
	v_bfe_u32 v13, v12, 23, 8
	s_delay_alu instid0(VALU_DEP_1) | instskip(SKIP_1) | instid1(VALU_DEP_2)
	v_sub_nc_u32_e32 v15, 0x70, v13
	v_cmp_gt_u32_e32 vcc_lo, 0x71, v13
	v_dual_cndmask_b32 v15, 0, v15 :: v_dual_and_b32 v14, 0x7fffff, v12
	s_delay_alu instid0(VALU_DEP_1) | instskip(SKIP_2) | instid1(VALU_DEP_4)
	v_or_b32_e32 v16, 0x800000, v14
	v_cmp_eq_u32_e32 vcc_lo, 0, v13
	v_add_nc_u32_e32 v13, 0xffffff91, v13
	v_cndmask_b32_e64 v15, v15, 0x6f, vcc_lo
	s_delay_alu instid0(VALU_DEP_4) | instskip(NEXT) | instid1(VALU_DEP_3)
	v_cndmask_b32_e32 v14, v16, v14, vcc_lo
	v_cndmask_b32_e64 v13, v13, 0xffffff92, vcc_lo
	s_delay_alu instid0(VALU_DEP_3) | instskip(NEXT) | instid1(VALU_DEP_3)
	v_lshl_add_u32 v16, 0x200000, v15, -1
	v_lshrrev_b32_e32 v17, v15, v14
	v_lshlrev_b32_e64 v19, v15, 0x100000
	s_delay_alu instid0(VALU_DEP_4) | instskip(NEXT) | instid1(VALU_DEP_4)
	v_add_nc_u32_e32 v15, v15, v13
	v_and_b32_e32 v14, v16, v14
	s_delay_alu instid0(VALU_DEP_4) | instskip(NEXT) | instid1(VALU_DEP_2)
	v_bfe_u32 v18, v17, 21, 1
	v_cmp_eq_u32_e64 s13, v14, v19
	s_delay_alu instid0(VALU_DEP_2) | instskip(NEXT) | instid1(VALU_DEP_1)
	v_add_nc_u32_e32 v16, -1, v18
	v_cndmask_b32_e64 v14, 0, v16, s13
	v_lshrrev_b32_e32 v16, 23, v17
	s_mov_b32 s13, exec_lo
	s_delay_alu instid0(VALU_DEP_2) | instskip(NEXT) | instid1(VALU_DEP_2)
	v_add_nc_u32_e32 v14, v14, v17
	v_xor_b32_e32 v16, 1, v16
	s_delay_alu instid0(VALU_DEP_2) | instskip(NEXT) | instid1(VALU_DEP_1)
	v_and_b32_e32 v13, 0x1fffff, v14
	v_add_nc_u32_e32 v14, v13, v17
                                        ; implicit-def: $vgpr13
	s_delay_alu instid0(VALU_DEP_3)
	v_cmpx_ne_u32_e64 v15, v16
	s_xor_b32 s13, exec_lo, s13
; %bb.12691:                            ;   in Loop: Header=BB6_12675 Depth=3
	s_delay_alu instid0(VALU_DEP_2) | instskip(SKIP_2) | instid1(VALU_DEP_2)
	v_cmp_lt_u32_e32 vcc_lo, 0xffffff, v14
	v_sub_nc_u32_e32 v13, v15, v16
	v_cndmask_b32_e64 v15, 0, 1, vcc_lo
	v_add_co_ci_u32_e32 v13, vcc_lo, 0, v13, vcc_lo
	s_delay_alu instid0(VALU_DEP_2)
	v_lshrrev_b32_e32 v14, v15, v14
; %bb.12692:                            ;   in Loop: Header=BB6_12675 Depth=3
	s_and_not1_saveexec_b32 s13, s13
; %bb.12693:                            ;   in Loop: Header=BB6_12675 Depth=3
	s_delay_alu instid0(VALU_DEP_1)
	v_bfe_u32 v13, v14, 23, 1
; %bb.12694:                            ;   in Loop: Header=BB6_12675 Depth=3
	s_or_b32 exec_lo, exec_lo, s13
	v_lshrrev_b32_e32 v14, 21, v14
	s_delay_alu instid0(VALU_DEP_2) | instskip(SKIP_2) | instid1(VALU_DEP_2)
	v_cmp_gt_i32_e32 vcc_lo, 32, v13
	v_min_i32_e32 v15, 31, v13
	v_lshrrev_b32_e32 v12, 24, v12
	v_dual_cndmask_b32 v14, 3, v14 :: v_dual_lshlrev_b32 v15, 2, v15
	s_delay_alu instid0(VALU_DEP_2) | instskip(NEXT) | instid1(VALU_DEP_2)
	v_and_b32_e32 v12, 0x80, v12
	v_or_b32_e32 v13, v13, v14
	s_delay_alu instid0(VALU_DEP_1) | instskip(SKIP_1) | instid1(VALU_DEP_1)
	v_cmp_ne_u32_e32 vcc_lo, 0, v13
	v_and_b32_e32 v16, 3, v14
	v_or3_b32 v12, v15, v12, v16
	s_delay_alu instid0(VALU_DEP_1)
	v_cndmask_b32_e32 v151, 0, v12, vcc_lo
.LBB6_12695:                            ;   in Loop: Header=BB6_12675 Depth=3
	s_or_b32 exec_lo, exec_lo, s31
.LBB6_12696:                            ;   in Loop: Header=BB6_12675 Depth=3
	s_delay_alu instid0(SALU_CYCLE_1) | instskip(SKIP_3) | instid1(VALU_DEP_1)
	s_or_b32 exec_lo, exec_lo, s30
	v_lshrrev_b16 v12, 8, v8
	s_mov_b32 s13, 0
	s_mov_b32 s31, exec_lo
                                        ; implicit-def: $sgpr30
	v_cmpx_lt_i16_e32 0x7f, v12
	s_xor_b32 s31, exec_lo, s31
	s_cbranch_execnz .LBB6_14478
; %bb.12697:                            ;   in Loop: Header=BB6_12675 Depth=3
	s_or_saveexec_b32 s31, s31
	v_mov_b32_e32 v13, s30
	s_xor_b32 exec_lo, exec_lo, s31
	s_cbranch_execnz .LBB6_14481
.LBB6_12698:                            ;   in Loop: Header=BB6_12675 Depth=3
	s_or_b32 exec_lo, exec_lo, s31
	s_and_saveexec_b32 s30, s13
	s_cbranch_execz .LBB6_12700
.LBB6_12699:                            ;   in Loop: Header=BB6_12675 Depth=3
	v_and_b32_e32 v13, 0xffff, v12
	v_lshlrev_b32_e32 v12, 24, v12
	s_delay_alu instid0(VALU_DEP_2) | instskip(NEXT) | instid1(VALU_DEP_2)
	v_and_b32_e32 v14, 3, v13
	v_and_b32_e32 v12, 0x80000000, v12
	s_delay_alu instid0(VALU_DEP_2) | instskip(NEXT) | instid1(VALU_DEP_1)
	v_clz_i32_u32_e32 v15, v14
	v_min_u32_e32 v15, 32, v15
	s_delay_alu instid0(VALU_DEP_1) | instskip(SKIP_1) | instid1(VALU_DEP_2)
	v_subrev_nc_u32_e32 v16, 29, v15
	v_sub_nc_u32_e32 v15, 30, v15
	v_lshlrev_b32_e32 v16, v16, v13
	v_bfe_u32 v13, v13, 2, 5
	s_delay_alu instid0(VALU_DEP_2) | instskip(NEXT) | instid1(VALU_DEP_2)
	v_and_b32_e32 v16, 3, v16
	v_cmp_eq_u32_e32 vcc_lo, 0, v13
	s_delay_alu instid0(VALU_DEP_2) | instskip(NEXT) | instid1(VALU_DEP_1)
	v_dual_cndmask_b32 v13, v13, v15 :: v_dual_cndmask_b32 v14, v14, v16
	v_lshl_add_u32 v13, v13, 23, 0x37800000
	s_delay_alu instid0(VALU_DEP_2) | instskip(NEXT) | instid1(VALU_DEP_1)
	v_lshlrev_b32_e32 v14, 21, v14
	v_or3_b32 v13, v12, v13, v14
.LBB6_12700:                            ;   in Loop: Header=BB6_12675 Depth=3
	s_or_b32 exec_lo, exec_lo, s30
	s_delay_alu instid0(VALU_DEP_1) | instskip(SKIP_1) | instid1(VALU_DEP_1)
	v_dual_mul_f32 v12, s17, v13 :: v_dual_mov_b32 v161, 0x80
	s_mov_b32 s30, exec_lo
	v_and_b32_e32 v13, 0x7f800000, v12
	s_delay_alu instid0(VALU_DEP_1)
	v_cmpx_ne_u32_e32 0x7f800000, v13
	s_cbranch_execz .LBB6_12708
; %bb.12701:                            ;   in Loop: Header=BB6_12675 Depth=3
	v_mov_b32_e32 v161, 0
	s_mov_b32 s31, exec_lo
	v_cmpx_ne_u32_e32 0, v12
	s_cbranch_execz .LBB6_12707
; %bb.12702:                            ;   in Loop: Header=BB6_12675 Depth=3
	v_bfe_u32 v13, v12, 23, 8
	s_delay_alu instid0(VALU_DEP_1) | instskip(SKIP_1) | instid1(VALU_DEP_2)
	v_sub_nc_u32_e32 v15, 0x70, v13
	v_cmp_gt_u32_e32 vcc_lo, 0x71, v13
	v_dual_cndmask_b32 v15, 0, v15 :: v_dual_and_b32 v14, 0x7fffff, v12
	s_delay_alu instid0(VALU_DEP_1) | instskip(SKIP_2) | instid1(VALU_DEP_4)
	v_or_b32_e32 v16, 0x800000, v14
	v_cmp_eq_u32_e32 vcc_lo, 0, v13
	v_add_nc_u32_e32 v13, 0xffffff91, v13
	v_cndmask_b32_e64 v15, v15, 0x6f, vcc_lo
	s_delay_alu instid0(VALU_DEP_4) | instskip(NEXT) | instid1(VALU_DEP_3)
	v_cndmask_b32_e32 v14, v16, v14, vcc_lo
	v_cndmask_b32_e64 v13, v13, 0xffffff92, vcc_lo
	s_delay_alu instid0(VALU_DEP_3) | instskip(NEXT) | instid1(VALU_DEP_3)
	v_lshl_add_u32 v16, 0x200000, v15, -1
	v_lshrrev_b32_e32 v17, v15, v14
	v_lshlrev_b32_e64 v19, v15, 0x100000
	s_delay_alu instid0(VALU_DEP_4) | instskip(NEXT) | instid1(VALU_DEP_4)
	v_add_nc_u32_e32 v15, v15, v13
	v_and_b32_e32 v14, v16, v14
	s_delay_alu instid0(VALU_DEP_4) | instskip(NEXT) | instid1(VALU_DEP_2)
	v_bfe_u32 v18, v17, 21, 1
	v_cmp_eq_u32_e64 s13, v14, v19
	s_delay_alu instid0(VALU_DEP_2) | instskip(NEXT) | instid1(VALU_DEP_1)
	v_add_nc_u32_e32 v16, -1, v18
	v_cndmask_b32_e64 v14, 0, v16, s13
	v_lshrrev_b32_e32 v16, 23, v17
	s_mov_b32 s13, exec_lo
	s_delay_alu instid0(VALU_DEP_2) | instskip(NEXT) | instid1(VALU_DEP_2)
	v_add_nc_u32_e32 v14, v14, v17
	v_xor_b32_e32 v16, 1, v16
	s_delay_alu instid0(VALU_DEP_2) | instskip(NEXT) | instid1(VALU_DEP_1)
	v_and_b32_e32 v13, 0x1fffff, v14
	v_add_nc_u32_e32 v14, v13, v17
                                        ; implicit-def: $vgpr13
	s_delay_alu instid0(VALU_DEP_3)
	v_cmpx_ne_u32_e64 v15, v16
	s_xor_b32 s13, exec_lo, s13
; %bb.12703:                            ;   in Loop: Header=BB6_12675 Depth=3
	s_delay_alu instid0(VALU_DEP_2) | instskip(SKIP_2) | instid1(VALU_DEP_2)
	v_cmp_lt_u32_e32 vcc_lo, 0xffffff, v14
	v_sub_nc_u32_e32 v13, v15, v16
	v_cndmask_b32_e64 v15, 0, 1, vcc_lo
	v_add_co_ci_u32_e32 v13, vcc_lo, 0, v13, vcc_lo
	s_delay_alu instid0(VALU_DEP_2)
	v_lshrrev_b32_e32 v14, v15, v14
; %bb.12704:                            ;   in Loop: Header=BB6_12675 Depth=3
	s_and_not1_saveexec_b32 s13, s13
; %bb.12705:                            ;   in Loop: Header=BB6_12675 Depth=3
	s_delay_alu instid0(VALU_DEP_1)
	v_bfe_u32 v13, v14, 23, 1
; %bb.12706:                            ;   in Loop: Header=BB6_12675 Depth=3
	s_or_b32 exec_lo, exec_lo, s13
	v_lshrrev_b32_e32 v14, 21, v14
	s_delay_alu instid0(VALU_DEP_2) | instskip(SKIP_2) | instid1(VALU_DEP_2)
	v_cmp_gt_i32_e32 vcc_lo, 32, v13
	v_min_i32_e32 v15, 31, v13
	v_lshrrev_b32_e32 v12, 24, v12
	v_dual_cndmask_b32 v14, 3, v14 :: v_dual_lshlrev_b32 v15, 2, v15
	s_delay_alu instid0(VALU_DEP_2) | instskip(NEXT) | instid1(VALU_DEP_2)
	v_and_b32_e32 v12, 0x80, v12
	v_or_b32_e32 v13, v13, v14
	s_delay_alu instid0(VALU_DEP_1) | instskip(SKIP_1) | instid1(VALU_DEP_1)
	v_cmp_ne_u32_e32 vcc_lo, 0, v13
	v_and_b32_e32 v16, 3, v14
	v_or3_b32 v12, v15, v12, v16
	s_delay_alu instid0(VALU_DEP_1)
	v_cndmask_b32_e32 v161, 0, v12, vcc_lo
.LBB6_12707:                            ;   in Loop: Header=BB6_12675 Depth=3
	s_or_b32 exec_lo, exec_lo, s31
.LBB6_12708:                            ;   in Loop: Header=BB6_12675 Depth=3
	s_delay_alu instid0(SALU_CYCLE_1) | instskip(SKIP_3) | instid1(VALU_DEP_1)
	s_or_b32 exec_lo, exec_lo, s30
	v_lshrrev_b32_e32 v12, 16, v8
	s_mov_b32 s13, 0
	s_mov_b32 s31, exec_lo
                                        ; implicit-def: $sgpr30
	v_and_b32_e32 v14, 0xff, v12
	s_delay_alu instid0(VALU_DEP_1)
	v_cmpx_lt_i16_e32 0x7f, v14
	s_xor_b32 s31, exec_lo, s31
	s_cbranch_execnz .LBB6_14482
; %bb.12709:                            ;   in Loop: Header=BB6_12675 Depth=3
	s_or_saveexec_b32 s31, s31
	v_mov_b32_e32 v13, s30
	s_xor_b32 exec_lo, exec_lo, s31
	s_cbranch_execnz .LBB6_14485
.LBB6_12710:                            ;   in Loop: Header=BB6_12675 Depth=3
	s_or_b32 exec_lo, exec_lo, s31
	s_and_saveexec_b32 s30, s13
	s_cbranch_execz .LBB6_12712
.LBB6_12711:                            ;   in Loop: Header=BB6_12675 Depth=3
	v_bfe_u32 v13, v8, 16, 2
	v_lshlrev_b32_e32 v16, 8, v8
	s_delay_alu instid0(VALU_DEP_2) | instskip(NEXT) | instid1(VALU_DEP_1)
	v_clz_i32_u32_e32 v14, v13
	v_min_u32_e32 v14, 32, v14
	s_delay_alu instid0(VALU_DEP_1) | instskip(SKIP_1) | instid1(VALU_DEP_2)
	v_subrev_nc_u32_e32 v15, 29, v14
	v_sub_nc_u32_e32 v14, 30, v14
	v_lshlrev_b32_e32 v12, v15, v12
	v_bfe_u32 v15, v8, 18, 5
	s_delay_alu instid0(VALU_DEP_2) | instskip(NEXT) | instid1(VALU_DEP_2)
	v_and_b32_e32 v12, 3, v12
	v_cmp_eq_u32_e32 vcc_lo, 0, v15
	v_cndmask_b32_e32 v14, v15, v14, vcc_lo
	s_delay_alu instid0(VALU_DEP_3) | instskip(SKIP_1) | instid1(VALU_DEP_3)
	v_cndmask_b32_e32 v12, v13, v12, vcc_lo
	v_and_b32_e32 v13, 0x80000000, v16
	v_lshl_add_u32 v14, v14, 23, 0x37800000
	s_delay_alu instid0(VALU_DEP_3) | instskip(NEXT) | instid1(VALU_DEP_1)
	v_lshlrev_b32_e32 v12, 21, v12
	v_or3_b32 v13, v13, v14, v12
.LBB6_12712:                            ;   in Loop: Header=BB6_12675 Depth=3
	s_or_b32 exec_lo, exec_lo, s30
	s_delay_alu instid0(VALU_DEP_1) | instskip(SKIP_2) | instid1(VALU_DEP_2)
	v_mul_f32_e32 v12, s17, v13
	v_mov_b32_e32 v176, 0x80
	s_mov_b32 s30, exec_lo
	v_and_b32_e32 v13, 0x7f800000, v12
	s_delay_alu instid0(VALU_DEP_1)
	v_cmpx_ne_u32_e32 0x7f800000, v13
	s_cbranch_execz .LBB6_12720
; %bb.12713:                            ;   in Loop: Header=BB6_12675 Depth=3
	v_mov_b32_e32 v176, 0
	s_mov_b32 s31, exec_lo
	v_cmpx_ne_u32_e32 0, v12
	s_cbranch_execz .LBB6_12719
; %bb.12714:                            ;   in Loop: Header=BB6_12675 Depth=3
	v_bfe_u32 v13, v12, 23, 8
	s_delay_alu instid0(VALU_DEP_1) | instskip(SKIP_1) | instid1(VALU_DEP_2)
	v_sub_nc_u32_e32 v15, 0x70, v13
	v_cmp_gt_u32_e32 vcc_lo, 0x71, v13
	v_dual_cndmask_b32 v15, 0, v15 :: v_dual_and_b32 v14, 0x7fffff, v12
	s_delay_alu instid0(VALU_DEP_1) | instskip(SKIP_2) | instid1(VALU_DEP_4)
	v_or_b32_e32 v16, 0x800000, v14
	v_cmp_eq_u32_e32 vcc_lo, 0, v13
	v_add_nc_u32_e32 v13, 0xffffff91, v13
	v_cndmask_b32_e64 v15, v15, 0x6f, vcc_lo
	s_delay_alu instid0(VALU_DEP_4) | instskip(NEXT) | instid1(VALU_DEP_3)
	v_cndmask_b32_e32 v14, v16, v14, vcc_lo
	v_cndmask_b32_e64 v13, v13, 0xffffff92, vcc_lo
	s_delay_alu instid0(VALU_DEP_3) | instskip(NEXT) | instid1(VALU_DEP_3)
	v_lshl_add_u32 v16, 0x200000, v15, -1
	v_lshrrev_b32_e32 v17, v15, v14
	v_lshlrev_b32_e64 v19, v15, 0x100000
	s_delay_alu instid0(VALU_DEP_4) | instskip(NEXT) | instid1(VALU_DEP_4)
	v_add_nc_u32_e32 v15, v15, v13
	v_and_b32_e32 v14, v16, v14
	s_delay_alu instid0(VALU_DEP_4) | instskip(NEXT) | instid1(VALU_DEP_2)
	v_bfe_u32 v18, v17, 21, 1
	v_cmp_eq_u32_e64 s13, v14, v19
	s_delay_alu instid0(VALU_DEP_2) | instskip(NEXT) | instid1(VALU_DEP_1)
	v_add_nc_u32_e32 v16, -1, v18
	v_cndmask_b32_e64 v14, 0, v16, s13
	v_lshrrev_b32_e32 v16, 23, v17
	s_mov_b32 s13, exec_lo
	s_delay_alu instid0(VALU_DEP_2) | instskip(NEXT) | instid1(VALU_DEP_2)
	v_add_nc_u32_e32 v14, v14, v17
	v_xor_b32_e32 v16, 1, v16
	s_delay_alu instid0(VALU_DEP_2) | instskip(NEXT) | instid1(VALU_DEP_1)
	v_and_b32_e32 v13, 0x1fffff, v14
	v_add_nc_u32_e32 v14, v13, v17
                                        ; implicit-def: $vgpr13
	s_delay_alu instid0(VALU_DEP_3)
	v_cmpx_ne_u32_e64 v15, v16
	s_xor_b32 s13, exec_lo, s13
; %bb.12715:                            ;   in Loop: Header=BB6_12675 Depth=3
	s_delay_alu instid0(VALU_DEP_2) | instskip(SKIP_2) | instid1(VALU_DEP_2)
	v_cmp_lt_u32_e32 vcc_lo, 0xffffff, v14
	v_sub_nc_u32_e32 v13, v15, v16
	v_cndmask_b32_e64 v15, 0, 1, vcc_lo
	v_add_co_ci_u32_e32 v13, vcc_lo, 0, v13, vcc_lo
	s_delay_alu instid0(VALU_DEP_2)
	v_lshrrev_b32_e32 v14, v15, v14
; %bb.12716:                            ;   in Loop: Header=BB6_12675 Depth=3
	s_and_not1_saveexec_b32 s13, s13
; %bb.12717:                            ;   in Loop: Header=BB6_12675 Depth=3
	s_delay_alu instid0(VALU_DEP_1)
	v_bfe_u32 v13, v14, 23, 1
; %bb.12718:                            ;   in Loop: Header=BB6_12675 Depth=3
	s_or_b32 exec_lo, exec_lo, s13
	v_lshrrev_b32_e32 v14, 21, v14
	s_delay_alu instid0(VALU_DEP_2) | instskip(SKIP_2) | instid1(VALU_DEP_4)
	v_cmp_gt_i32_e32 vcc_lo, 32, v13
	v_lshrrev_b32_e32 v12, 24, v12
	v_min_i32_e32 v15, 31, v13
	v_cndmask_b32_e32 v14, 3, v14, vcc_lo
	s_delay_alu instid0(VALU_DEP_3) | instskip(NEXT) | instid1(VALU_DEP_3)
	v_and_b32_e32 v12, 0x80, v12
	v_lshlrev_b32_e32 v15, 2, v15
	s_delay_alu instid0(VALU_DEP_3) | instskip(SKIP_1) | instid1(VALU_DEP_2)
	v_and_b32_e32 v16, 3, v14
	v_or_b32_e32 v13, v13, v14
	v_or3_b32 v12, v15, v12, v16
	s_delay_alu instid0(VALU_DEP_2) | instskip(NEXT) | instid1(VALU_DEP_2)
	v_cmp_ne_u32_e32 vcc_lo, 0, v13
	v_cndmask_b32_e32 v176, 0, v12, vcc_lo
.LBB6_12719:                            ;   in Loop: Header=BB6_12675 Depth=3
	s_or_b32 exec_lo, exec_lo, s31
.LBB6_12720:                            ;   in Loop: Header=BB6_12675 Depth=3
	s_delay_alu instid0(SALU_CYCLE_1) | instskip(SKIP_3) | instid1(VALU_DEP_1)
	s_or_b32 exec_lo, exec_lo, s30
	v_lshrrev_b32_e32 v12, 24, v8
	s_mov_b32 s13, 0
	s_mov_b32 s31, exec_lo
                                        ; implicit-def: $sgpr30
	v_cmpx_lt_i16_e32 0x7f, v12
	s_xor_b32 s31, exec_lo, s31
	s_cbranch_execnz .LBB6_14486
; %bb.12721:                            ;   in Loop: Header=BB6_12675 Depth=3
	s_or_saveexec_b32 s31, s31
	v_mov_b32_e32 v13, s30
	s_xor_b32 exec_lo, exec_lo, s31
	s_cbranch_execnz .LBB6_14489
.LBB6_12722:                            ;   in Loop: Header=BB6_12675 Depth=3
	s_or_b32 exec_lo, exec_lo, s31
	s_and_saveexec_b32 s30, s13
	s_cbranch_execz .LBB6_12724
.LBB6_12723:                            ;   in Loop: Header=BB6_12675 Depth=3
	v_bfe_u32 v13, v8, 24, 2
	s_delay_alu instid0(VALU_DEP_1) | instskip(NEXT) | instid1(VALU_DEP_1)
	v_clz_i32_u32_e32 v14, v13
	v_min_u32_e32 v14, 32, v14
	s_delay_alu instid0(VALU_DEP_1) | instskip(SKIP_1) | instid1(VALU_DEP_2)
	v_subrev_nc_u32_e32 v15, 29, v14
	v_sub_nc_u32_e32 v14, 30, v14
	v_lshlrev_b32_e32 v12, v15, v12
	v_bfe_u32 v15, v8, 26, 5
	v_and_b32_e32 v8, 0x80000000, v8
	s_delay_alu instid0(VALU_DEP_3) | instskip(NEXT) | instid1(VALU_DEP_3)
	v_and_b32_e32 v12, 3, v12
	v_cmp_eq_u32_e32 vcc_lo, 0, v15
	v_cndmask_b32_e32 v14, v15, v14, vcc_lo
	s_delay_alu instid0(VALU_DEP_3) | instskip(NEXT) | instid1(VALU_DEP_2)
	v_cndmask_b32_e32 v12, v13, v12, vcc_lo
	v_lshl_add_u32 v13, v14, 23, 0x37800000
	s_delay_alu instid0(VALU_DEP_2) | instskip(NEXT) | instid1(VALU_DEP_1)
	v_lshlrev_b32_e32 v12, 21, v12
	v_or3_b32 v13, v8, v13, v12
.LBB6_12724:                            ;   in Loop: Header=BB6_12675 Depth=3
	s_or_b32 exec_lo, exec_lo, s30
	s_delay_alu instid0(VALU_DEP_1) | instskip(SKIP_1) | instid1(VALU_DEP_1)
	v_dual_mul_f32 v8, s17, v13 :: v_dual_mov_b32 v53, 0x80
	s_mov_b32 s30, exec_lo
	v_and_b32_e32 v12, 0x7f800000, v8
	s_delay_alu instid0(VALU_DEP_1)
	v_cmpx_ne_u32_e32 0x7f800000, v12
	s_cbranch_execz .LBB6_12732
; %bb.12725:                            ;   in Loop: Header=BB6_12675 Depth=3
	v_mov_b32_e32 v53, 0
	s_mov_b32 s31, exec_lo
	v_cmpx_ne_u32_e32 0, v8
	s_cbranch_execz .LBB6_12731
; %bb.12726:                            ;   in Loop: Header=BB6_12675 Depth=3
	v_bfe_u32 v12, v8, 23, 8
	s_delay_alu instid0(VALU_DEP_1) | instskip(SKIP_1) | instid1(VALU_DEP_2)
	v_sub_nc_u32_e32 v14, 0x70, v12
	v_cmp_gt_u32_e32 vcc_lo, 0x71, v12
	v_dual_cndmask_b32 v14, 0, v14 :: v_dual_and_b32 v13, 0x7fffff, v8
	s_delay_alu instid0(VALU_DEP_1) | instskip(SKIP_2) | instid1(VALU_DEP_4)
	v_or_b32_e32 v15, 0x800000, v13
	v_cmp_eq_u32_e32 vcc_lo, 0, v12
	v_add_nc_u32_e32 v12, 0xffffff91, v12
	v_cndmask_b32_e64 v14, v14, 0x6f, vcc_lo
	s_delay_alu instid0(VALU_DEP_4) | instskip(NEXT) | instid1(VALU_DEP_3)
	v_cndmask_b32_e32 v13, v15, v13, vcc_lo
	v_cndmask_b32_e64 v12, v12, 0xffffff92, vcc_lo
	s_delay_alu instid0(VALU_DEP_3) | instskip(NEXT) | instid1(VALU_DEP_3)
	v_lshl_add_u32 v15, 0x200000, v14, -1
	v_lshrrev_b32_e32 v16, v14, v13
	v_lshlrev_b32_e64 v18, v14, 0x100000
	s_delay_alu instid0(VALU_DEP_4) | instskip(NEXT) | instid1(VALU_DEP_4)
	v_add_nc_u32_e32 v14, v14, v12
	v_and_b32_e32 v13, v15, v13
	s_delay_alu instid0(VALU_DEP_4) | instskip(NEXT) | instid1(VALU_DEP_2)
	v_bfe_u32 v17, v16, 21, 1
	v_cmp_eq_u32_e64 s13, v13, v18
	s_delay_alu instid0(VALU_DEP_2) | instskip(NEXT) | instid1(VALU_DEP_1)
	v_add_nc_u32_e32 v15, -1, v17
	v_cndmask_b32_e64 v13, 0, v15, s13
	v_lshrrev_b32_e32 v15, 23, v16
	s_mov_b32 s13, exec_lo
	s_delay_alu instid0(VALU_DEP_2) | instskip(NEXT) | instid1(VALU_DEP_2)
	v_add_nc_u32_e32 v13, v13, v16
	v_xor_b32_e32 v15, 1, v15
	s_delay_alu instid0(VALU_DEP_2) | instskip(NEXT) | instid1(VALU_DEP_1)
	v_and_b32_e32 v12, 0x1fffff, v13
	v_add_nc_u32_e32 v13, v12, v16
                                        ; implicit-def: $vgpr12
	s_delay_alu instid0(VALU_DEP_3)
	v_cmpx_ne_u32_e64 v14, v15
	s_xor_b32 s13, exec_lo, s13
; %bb.12727:                            ;   in Loop: Header=BB6_12675 Depth=3
	s_delay_alu instid0(VALU_DEP_2) | instskip(SKIP_2) | instid1(VALU_DEP_2)
	v_cmp_lt_u32_e32 vcc_lo, 0xffffff, v13
	v_sub_nc_u32_e32 v12, v14, v15
	v_cndmask_b32_e64 v14, 0, 1, vcc_lo
	v_add_co_ci_u32_e32 v12, vcc_lo, 0, v12, vcc_lo
	s_delay_alu instid0(VALU_DEP_2)
	v_lshrrev_b32_e32 v13, v14, v13
; %bb.12728:                            ;   in Loop: Header=BB6_12675 Depth=3
	s_and_not1_saveexec_b32 s13, s13
; %bb.12729:                            ;   in Loop: Header=BB6_12675 Depth=3
	s_delay_alu instid0(VALU_DEP_1)
	v_bfe_u32 v12, v13, 23, 1
; %bb.12730:                            ;   in Loop: Header=BB6_12675 Depth=3
	s_or_b32 exec_lo, exec_lo, s13
	v_lshrrev_b32_e32 v13, 21, v13
	s_delay_alu instid0(VALU_DEP_2) | instskip(SKIP_2) | instid1(VALU_DEP_2)
	v_cmp_gt_i32_e32 vcc_lo, 32, v12
	v_lshrrev_b32_e32 v8, 24, v8
	v_min_i32_e32 v14, 31, v12
	v_dual_cndmask_b32 v13, 3, v13 :: v_dual_and_b32 v8, 0x80, v8
	s_delay_alu instid0(VALU_DEP_1) | instskip(SKIP_1) | instid1(VALU_DEP_2)
	v_or_b32_e32 v12, v12, v13
	v_and_b32_e32 v15, 3, v13
	v_cmp_ne_u32_e32 vcc_lo, 0, v12
	v_lshlrev_b32_e32 v14, 2, v14
	s_delay_alu instid0(VALU_DEP_1) | instskip(NEXT) | instid1(VALU_DEP_1)
	v_or3_b32 v8, v14, v8, v15
	v_cndmask_b32_e32 v53, 0, v8, vcc_lo
.LBB6_12731:                            ;   in Loop: Header=BB6_12675 Depth=3
	s_or_b32 exec_lo, exec_lo, s31
.LBB6_12732:                            ;   in Loop: Header=BB6_12675 Depth=3
	s_delay_alu instid0(SALU_CYCLE_1) | instskip(SKIP_3) | instid1(VALU_DEP_1)
	s_or_b32 exec_lo, exec_lo, s30
	v_and_b32_e32 v12, 0xff, v9
	s_mov_b32 s13, 0
	s_mov_b32 s31, exec_lo
                                        ; implicit-def: $sgpr30
	v_cmpx_lt_i16_e32 0x7f, v12
	s_xor_b32 s31, exec_lo, s31
	s_cbranch_execnz .LBB6_14490
; %bb.12733:                            ;   in Loop: Header=BB6_12675 Depth=3
	s_or_saveexec_b32 s31, s31
	v_mov_b32_e32 v8, s30
	s_xor_b32 exec_lo, exec_lo, s31
	s_cbranch_execnz .LBB6_14493
.LBB6_12734:                            ;   in Loop: Header=BB6_12675 Depth=3
	s_or_b32 exec_lo, exec_lo, s31
	s_and_saveexec_b32 s30, s13
	s_cbranch_execz .LBB6_12736
.LBB6_12735:                            ;   in Loop: Header=BB6_12675 Depth=3
	v_and_b32_e32 v8, 3, v9
	v_bfe_u32 v14, v9, 2, 5
	v_lshlrev_b32_e32 v15, 24, v9
	s_delay_alu instid0(VALU_DEP_3) | instskip(NEXT) | instid1(VALU_DEP_3)
	v_clz_i32_u32_e32 v12, v8
	v_cmp_eq_u32_e32 vcc_lo, 0, v14
	s_delay_alu instid0(VALU_DEP_2) | instskip(NEXT) | instid1(VALU_DEP_1)
	v_min_u32_e32 v12, 32, v12
	v_subrev_nc_u32_e32 v13, 29, v12
	v_sub_nc_u32_e32 v12, 30, v12
	s_delay_alu instid0(VALU_DEP_1) | instskip(NEXT) | instid1(VALU_DEP_1)
	v_dual_cndmask_b32 v12, v14, v12 :: v_dual_lshlrev_b32 v13, v13, v9
	v_and_b32_e32 v13, 3, v13
	s_delay_alu instid0(VALU_DEP_2) | instskip(NEXT) | instid1(VALU_DEP_2)
	v_lshl_add_u32 v12, v12, 23, 0x37800000
	v_dual_cndmask_b32 v8, v8, v13 :: v_dual_and_b32 v13, 0x80000000, v15
	s_delay_alu instid0(VALU_DEP_1) | instskip(NEXT) | instid1(VALU_DEP_1)
	v_lshlrev_b32_e32 v8, 21, v8
	v_or3_b32 v8, v13, v12, v8
.LBB6_12736:                            ;   in Loop: Header=BB6_12675 Depth=3
	s_or_b32 exec_lo, exec_lo, s30
	s_delay_alu instid0(VALU_DEP_1) | instskip(SKIP_2) | instid1(VALU_DEP_2)
	v_mul_f32_e32 v8, s17, v8
	v_mov_b32_e32 v50, 0x80
	s_mov_b32 s30, exec_lo
	v_and_b32_e32 v12, 0x7f800000, v8
	s_delay_alu instid0(VALU_DEP_1)
	v_cmpx_ne_u32_e32 0x7f800000, v12
	s_cbranch_execz .LBB6_12744
; %bb.12737:                            ;   in Loop: Header=BB6_12675 Depth=3
	v_mov_b32_e32 v50, 0
	s_mov_b32 s31, exec_lo
	v_cmpx_ne_u32_e32 0, v8
	s_cbranch_execz .LBB6_12743
; %bb.12738:                            ;   in Loop: Header=BB6_12675 Depth=3
	v_bfe_u32 v12, v8, 23, 8
	s_delay_alu instid0(VALU_DEP_1) | instskip(SKIP_1) | instid1(VALU_DEP_2)
	v_sub_nc_u32_e32 v14, 0x70, v12
	v_cmp_gt_u32_e32 vcc_lo, 0x71, v12
	v_dual_cndmask_b32 v14, 0, v14 :: v_dual_and_b32 v13, 0x7fffff, v8
	s_delay_alu instid0(VALU_DEP_1) | instskip(SKIP_2) | instid1(VALU_DEP_4)
	v_or_b32_e32 v15, 0x800000, v13
	v_cmp_eq_u32_e32 vcc_lo, 0, v12
	v_add_nc_u32_e32 v12, 0xffffff91, v12
	v_cndmask_b32_e64 v14, v14, 0x6f, vcc_lo
	s_delay_alu instid0(VALU_DEP_4) | instskip(NEXT) | instid1(VALU_DEP_3)
	v_cndmask_b32_e32 v13, v15, v13, vcc_lo
	v_cndmask_b32_e64 v12, v12, 0xffffff92, vcc_lo
	s_delay_alu instid0(VALU_DEP_3) | instskip(NEXT) | instid1(VALU_DEP_3)
	v_lshl_add_u32 v15, 0x200000, v14, -1
	v_lshrrev_b32_e32 v16, v14, v13
	v_lshlrev_b32_e64 v18, v14, 0x100000
	s_delay_alu instid0(VALU_DEP_4) | instskip(NEXT) | instid1(VALU_DEP_4)
	v_add_nc_u32_e32 v14, v14, v12
	v_and_b32_e32 v13, v15, v13
	s_delay_alu instid0(VALU_DEP_4) | instskip(NEXT) | instid1(VALU_DEP_2)
	v_bfe_u32 v17, v16, 21, 1
	v_cmp_eq_u32_e64 s13, v13, v18
	s_delay_alu instid0(VALU_DEP_2) | instskip(NEXT) | instid1(VALU_DEP_1)
	v_add_nc_u32_e32 v15, -1, v17
	v_cndmask_b32_e64 v13, 0, v15, s13
	v_lshrrev_b32_e32 v15, 23, v16
	s_mov_b32 s13, exec_lo
	s_delay_alu instid0(VALU_DEP_2) | instskip(NEXT) | instid1(VALU_DEP_2)
	v_add_nc_u32_e32 v13, v13, v16
	v_xor_b32_e32 v15, 1, v15
	s_delay_alu instid0(VALU_DEP_2) | instskip(NEXT) | instid1(VALU_DEP_1)
	v_and_b32_e32 v12, 0x1fffff, v13
	v_add_nc_u32_e32 v13, v12, v16
                                        ; implicit-def: $vgpr12
	s_delay_alu instid0(VALU_DEP_3)
	v_cmpx_ne_u32_e64 v14, v15
	s_xor_b32 s13, exec_lo, s13
; %bb.12739:                            ;   in Loop: Header=BB6_12675 Depth=3
	s_delay_alu instid0(VALU_DEP_2) | instskip(SKIP_2) | instid1(VALU_DEP_2)
	v_cmp_lt_u32_e32 vcc_lo, 0xffffff, v13
	v_sub_nc_u32_e32 v12, v14, v15
	v_cndmask_b32_e64 v14, 0, 1, vcc_lo
	v_add_co_ci_u32_e32 v12, vcc_lo, 0, v12, vcc_lo
	s_delay_alu instid0(VALU_DEP_2)
	v_lshrrev_b32_e32 v13, v14, v13
; %bb.12740:                            ;   in Loop: Header=BB6_12675 Depth=3
	s_and_not1_saveexec_b32 s13, s13
; %bb.12741:                            ;   in Loop: Header=BB6_12675 Depth=3
	s_delay_alu instid0(VALU_DEP_1)
	v_bfe_u32 v12, v13, 23, 1
; %bb.12742:                            ;   in Loop: Header=BB6_12675 Depth=3
	s_or_b32 exec_lo, exec_lo, s13
	v_lshrrev_b32_e32 v13, 21, v13
	s_delay_alu instid0(VALU_DEP_2) | instskip(SKIP_2) | instid1(VALU_DEP_2)
	v_cmp_gt_i32_e32 vcc_lo, 32, v12
	v_min_i32_e32 v14, 31, v12
	v_lshrrev_b32_e32 v8, 24, v8
	v_dual_cndmask_b32 v13, 3, v13 :: v_dual_lshlrev_b32 v14, 2, v14
	s_delay_alu instid0(VALU_DEP_2) | instskip(NEXT) | instid1(VALU_DEP_2)
	v_and_b32_e32 v8, 0x80, v8
	v_or_b32_e32 v12, v12, v13
	s_delay_alu instid0(VALU_DEP_3) | instskip(NEXT) | instid1(VALU_DEP_2)
	v_and_b32_e32 v14, 0xfc, v14
	v_cmp_ne_u32_e32 vcc_lo, 0, v12
	v_and_b32_e32 v15, 3, v13
	s_delay_alu instid0(VALU_DEP_1) | instskip(NEXT) | instid1(VALU_DEP_1)
	v_or3_b32 v8, v14, v8, v15
	v_cndmask_b32_e32 v50, 0, v8, vcc_lo
.LBB6_12743:                            ;   in Loop: Header=BB6_12675 Depth=3
	s_or_b32 exec_lo, exec_lo, s31
.LBB6_12744:                            ;   in Loop: Header=BB6_12675 Depth=3
	s_delay_alu instid0(SALU_CYCLE_1) | instskip(SKIP_3) | instid1(VALU_DEP_1)
	s_or_b32 exec_lo, exec_lo, s30
	v_lshrrev_b16 v8, 8, v9
	s_mov_b32 s13, 0
	s_mov_b32 s31, exec_lo
                                        ; implicit-def: $sgpr30
	v_cmpx_lt_i16_e32 0x7f, v8
	s_xor_b32 s31, exec_lo, s31
	s_cbranch_execnz .LBB6_14494
; %bb.12745:                            ;   in Loop: Header=BB6_12675 Depth=3
	s_or_saveexec_b32 s31, s31
	v_mov_b32_e32 v12, s30
	s_xor_b32 exec_lo, exec_lo, s31
	s_cbranch_execnz .LBB6_14497
.LBB6_12746:                            ;   in Loop: Header=BB6_12675 Depth=3
	s_or_b32 exec_lo, exec_lo, s31
	s_and_saveexec_b32 s30, s13
	s_cbranch_execz .LBB6_12748
.LBB6_12747:                            ;   in Loop: Header=BB6_12675 Depth=3
	v_and_b32_e32 v12, 0xffff, v8
	v_lshlrev_b32_e32 v8, 24, v8
	s_delay_alu instid0(VALU_DEP_2) | instskip(NEXT) | instid1(VALU_DEP_2)
	v_and_b32_e32 v13, 3, v12
	v_and_b32_e32 v8, 0x80000000, v8
	s_delay_alu instid0(VALU_DEP_2) | instskip(NEXT) | instid1(VALU_DEP_1)
	v_clz_i32_u32_e32 v14, v13
	v_min_u32_e32 v14, 32, v14
	s_delay_alu instid0(VALU_DEP_1) | instskip(SKIP_1) | instid1(VALU_DEP_2)
	v_subrev_nc_u32_e32 v15, 29, v14
	v_sub_nc_u32_e32 v14, 30, v14
	v_lshlrev_b32_e32 v15, v15, v12
	v_bfe_u32 v12, v12, 2, 5
	s_delay_alu instid0(VALU_DEP_2) | instskip(NEXT) | instid1(VALU_DEP_2)
	v_and_b32_e32 v15, 3, v15
	v_cmp_eq_u32_e32 vcc_lo, 0, v12
	s_delay_alu instid0(VALU_DEP_2) | instskip(NEXT) | instid1(VALU_DEP_1)
	v_dual_cndmask_b32 v12, v12, v14 :: v_dual_cndmask_b32 v13, v13, v15
	v_lshl_add_u32 v12, v12, 23, 0x37800000
	s_delay_alu instid0(VALU_DEP_2) | instskip(NEXT) | instid1(VALU_DEP_1)
	v_lshlrev_b32_e32 v13, 21, v13
	v_or3_b32 v12, v8, v12, v13
.LBB6_12748:                            ;   in Loop: Header=BB6_12675 Depth=3
	s_or_b32 exec_lo, exec_lo, s30
	s_delay_alu instid0(VALU_DEP_1) | instskip(SKIP_2) | instid1(VALU_DEP_2)
	v_mul_f32_e32 v8, s17, v12
	v_mov_b32_e32 v126, 0x8000
	s_mov_b32 s30, exec_lo
	v_and_b32_e32 v12, 0x7f800000, v8
	s_delay_alu instid0(VALU_DEP_1)
	v_cmpx_ne_u32_e32 0x7f800000, v12
	s_cbranch_execz .LBB6_12756
; %bb.12749:                            ;   in Loop: Header=BB6_12675 Depth=3
	v_mov_b32_e32 v126, 0
	s_mov_b32 s31, exec_lo
	v_cmpx_ne_u32_e32 0, v8
	s_cbranch_execz .LBB6_12755
; %bb.12750:                            ;   in Loop: Header=BB6_12675 Depth=3
	v_bfe_u32 v12, v8, 23, 8
	s_delay_alu instid0(VALU_DEP_1) | instskip(SKIP_1) | instid1(VALU_DEP_2)
	v_sub_nc_u32_e32 v14, 0x70, v12
	v_cmp_gt_u32_e32 vcc_lo, 0x71, v12
	v_dual_cndmask_b32 v14, 0, v14 :: v_dual_and_b32 v13, 0x7fffff, v8
	s_delay_alu instid0(VALU_DEP_1) | instskip(SKIP_2) | instid1(VALU_DEP_4)
	v_or_b32_e32 v15, 0x800000, v13
	v_cmp_eq_u32_e32 vcc_lo, 0, v12
	v_add_nc_u32_e32 v12, 0xffffff91, v12
	v_cndmask_b32_e64 v14, v14, 0x6f, vcc_lo
	s_delay_alu instid0(VALU_DEP_4) | instskip(NEXT) | instid1(VALU_DEP_3)
	v_cndmask_b32_e32 v13, v15, v13, vcc_lo
	v_cndmask_b32_e64 v12, v12, 0xffffff92, vcc_lo
	s_delay_alu instid0(VALU_DEP_3) | instskip(NEXT) | instid1(VALU_DEP_3)
	v_lshl_add_u32 v15, 0x200000, v14, -1
	v_lshrrev_b32_e32 v16, v14, v13
	v_lshlrev_b32_e64 v18, v14, 0x100000
	s_delay_alu instid0(VALU_DEP_4) | instskip(NEXT) | instid1(VALU_DEP_4)
	v_add_nc_u32_e32 v14, v14, v12
	v_and_b32_e32 v13, v15, v13
	s_delay_alu instid0(VALU_DEP_4) | instskip(NEXT) | instid1(VALU_DEP_2)
	v_bfe_u32 v17, v16, 21, 1
	v_cmp_eq_u32_e64 s13, v13, v18
	s_delay_alu instid0(VALU_DEP_2) | instskip(NEXT) | instid1(VALU_DEP_1)
	v_add_nc_u32_e32 v15, -1, v17
	v_cndmask_b32_e64 v13, 0, v15, s13
	v_lshrrev_b32_e32 v15, 23, v16
	s_mov_b32 s13, exec_lo
	s_delay_alu instid0(VALU_DEP_2) | instskip(NEXT) | instid1(VALU_DEP_2)
	v_add_nc_u32_e32 v13, v13, v16
	v_xor_b32_e32 v15, 1, v15
	s_delay_alu instid0(VALU_DEP_2) | instskip(NEXT) | instid1(VALU_DEP_1)
	v_and_b32_e32 v12, 0x1fffff, v13
	v_add_nc_u32_e32 v13, v12, v16
                                        ; implicit-def: $vgpr12
	s_delay_alu instid0(VALU_DEP_3)
	v_cmpx_ne_u32_e64 v14, v15
	s_xor_b32 s13, exec_lo, s13
; %bb.12751:                            ;   in Loop: Header=BB6_12675 Depth=3
	s_delay_alu instid0(VALU_DEP_2) | instskip(SKIP_2) | instid1(VALU_DEP_2)
	v_cmp_lt_u32_e32 vcc_lo, 0xffffff, v13
	v_sub_nc_u32_e32 v12, v14, v15
	v_cndmask_b32_e64 v14, 0, 1, vcc_lo
	v_add_co_ci_u32_e32 v12, vcc_lo, 0, v12, vcc_lo
	s_delay_alu instid0(VALU_DEP_2)
	v_lshrrev_b32_e32 v13, v14, v13
; %bb.12752:                            ;   in Loop: Header=BB6_12675 Depth=3
	s_and_not1_saveexec_b32 s13, s13
; %bb.12753:                            ;   in Loop: Header=BB6_12675 Depth=3
	s_delay_alu instid0(VALU_DEP_1)
	v_bfe_u32 v12, v13, 23, 1
; %bb.12754:                            ;   in Loop: Header=BB6_12675 Depth=3
	s_or_b32 exec_lo, exec_lo, s13
	v_lshrrev_b32_e32 v13, 21, v13
	s_delay_alu instid0(VALU_DEP_2) | instskip(SKIP_2) | instid1(VALU_DEP_2)
	v_cmp_gt_i32_e32 vcc_lo, 32, v12
	v_min_i32_e32 v14, 31, v12
	v_lshrrev_b32_e32 v8, 24, v8
	v_dual_cndmask_b32 v13, 3, v13 :: v_dual_lshlrev_b32 v14, 2, v14
	s_delay_alu instid0(VALU_DEP_2) | instskip(NEXT) | instid1(VALU_DEP_2)
	v_and_b32_e32 v8, 0x80, v8
	v_or_b32_e32 v12, v12, v13
	s_delay_alu instid0(VALU_DEP_3) | instskip(NEXT) | instid1(VALU_DEP_2)
	v_and_b32_e32 v14, 0xfc, v14
	v_cmp_ne_u32_e32 vcc_lo, 0, v12
	v_and_b32_e32 v15, 3, v13
	s_delay_alu instid0(VALU_DEP_1) | instskip(NEXT) | instid1(VALU_DEP_1)
	v_or3_b32 v8, v8, v14, v15
	v_lshlrev_b32_e32 v8, 8, v8
	s_delay_alu instid0(VALU_DEP_1)
	v_cndmask_b32_e32 v126, 0, v8, vcc_lo
.LBB6_12755:                            ;   in Loop: Header=BB6_12675 Depth=3
	s_or_b32 exec_lo, exec_lo, s31
.LBB6_12756:                            ;   in Loop: Header=BB6_12675 Depth=3
	s_delay_alu instid0(SALU_CYCLE_1) | instskip(SKIP_3) | instid1(VALU_DEP_1)
	s_or_b32 exec_lo, exec_lo, s30
	v_lshrrev_b32_e32 v8, 16, v9
	s_mov_b32 s13, 0
	s_mov_b32 s31, exec_lo
                                        ; implicit-def: $sgpr30
	v_and_b32_e32 v13, 0xff, v8
	s_delay_alu instid0(VALU_DEP_1)
	v_cmpx_lt_i16_e32 0x7f, v13
	s_xor_b32 s31, exec_lo, s31
	s_cbranch_execnz .LBB6_14498
; %bb.12757:                            ;   in Loop: Header=BB6_12675 Depth=3
	s_or_saveexec_b32 s31, s31
	v_mov_b32_e32 v12, s30
	s_xor_b32 exec_lo, exec_lo, s31
	s_cbranch_execnz .LBB6_14501
.LBB6_12758:                            ;   in Loop: Header=BB6_12675 Depth=3
	s_or_b32 exec_lo, exec_lo, s31
	s_and_saveexec_b32 s30, s13
	s_cbranch_execz .LBB6_12760
.LBB6_12759:                            ;   in Loop: Header=BB6_12675 Depth=3
	v_bfe_u32 v12, v9, 16, 2
	s_delay_alu instid0(VALU_DEP_1) | instskip(NEXT) | instid1(VALU_DEP_1)
	v_clz_i32_u32_e32 v13, v12
	v_min_u32_e32 v13, 32, v13
	s_delay_alu instid0(VALU_DEP_1) | instskip(SKIP_1) | instid1(VALU_DEP_2)
	v_subrev_nc_u32_e32 v14, 29, v13
	v_sub_nc_u32_e32 v13, 30, v13
	v_lshlrev_b32_e32 v8, v14, v8
	v_bfe_u32 v14, v9, 18, 5
	s_delay_alu instid0(VALU_DEP_1) | instskip(NEXT) | instid1(VALU_DEP_3)
	v_cmp_eq_u32_e32 vcc_lo, 0, v14
	v_dual_cndmask_b32 v13, v14, v13 :: v_dual_and_b32 v8, 3, v8
	s_delay_alu instid0(VALU_DEP_1) | instskip(NEXT) | instid1(VALU_DEP_2)
	v_dual_cndmask_b32 v8, v12, v8 :: v_dual_lshlrev_b32 v15, 8, v9
	v_lshl_add_u32 v13, v13, 23, 0x37800000
	s_delay_alu instid0(VALU_DEP_2) | instskip(NEXT) | instid1(VALU_DEP_3)
	v_and_b32_e32 v12, 0x80000000, v15
	v_lshlrev_b32_e32 v8, 21, v8
	s_delay_alu instid0(VALU_DEP_1)
	v_or3_b32 v12, v12, v13, v8
.LBB6_12760:                            ;   in Loop: Header=BB6_12675 Depth=3
	s_or_b32 exec_lo, exec_lo, s30
	s_delay_alu instid0(VALU_DEP_1) | instskip(SKIP_2) | instid1(VALU_DEP_2)
	v_mul_f32_e32 v8, s17, v12
	v_mov_b32_e32 v56, 0x80
	s_mov_b32 s30, exec_lo
	v_and_b32_e32 v12, 0x7f800000, v8
	s_delay_alu instid0(VALU_DEP_1)
	v_cmpx_ne_u32_e32 0x7f800000, v12
	s_cbranch_execz .LBB6_12768
; %bb.12761:                            ;   in Loop: Header=BB6_12675 Depth=3
	v_mov_b32_e32 v56, 0
	s_mov_b32 s31, exec_lo
	v_cmpx_ne_u32_e32 0, v8
	s_cbranch_execz .LBB6_12767
; %bb.12762:                            ;   in Loop: Header=BB6_12675 Depth=3
	v_bfe_u32 v12, v8, 23, 8
	s_delay_alu instid0(VALU_DEP_1) | instskip(SKIP_1) | instid1(VALU_DEP_2)
	v_sub_nc_u32_e32 v14, 0x70, v12
	v_cmp_gt_u32_e32 vcc_lo, 0x71, v12
	v_dual_cndmask_b32 v14, 0, v14 :: v_dual_and_b32 v13, 0x7fffff, v8
	s_delay_alu instid0(VALU_DEP_1) | instskip(SKIP_2) | instid1(VALU_DEP_4)
	v_or_b32_e32 v15, 0x800000, v13
	v_cmp_eq_u32_e32 vcc_lo, 0, v12
	v_add_nc_u32_e32 v12, 0xffffff91, v12
	v_cndmask_b32_e64 v14, v14, 0x6f, vcc_lo
	s_delay_alu instid0(VALU_DEP_4) | instskip(NEXT) | instid1(VALU_DEP_3)
	v_cndmask_b32_e32 v13, v15, v13, vcc_lo
	v_cndmask_b32_e64 v12, v12, 0xffffff92, vcc_lo
	s_delay_alu instid0(VALU_DEP_3) | instskip(NEXT) | instid1(VALU_DEP_3)
	v_lshl_add_u32 v15, 0x200000, v14, -1
	v_lshrrev_b32_e32 v16, v14, v13
	v_lshlrev_b32_e64 v18, v14, 0x100000
	s_delay_alu instid0(VALU_DEP_4) | instskip(NEXT) | instid1(VALU_DEP_4)
	v_add_nc_u32_e32 v14, v14, v12
	v_and_b32_e32 v13, v15, v13
	s_delay_alu instid0(VALU_DEP_4) | instskip(NEXT) | instid1(VALU_DEP_2)
	v_bfe_u32 v17, v16, 21, 1
	v_cmp_eq_u32_e64 s13, v13, v18
	s_delay_alu instid0(VALU_DEP_2) | instskip(NEXT) | instid1(VALU_DEP_1)
	v_add_nc_u32_e32 v15, -1, v17
	v_cndmask_b32_e64 v13, 0, v15, s13
	v_lshrrev_b32_e32 v15, 23, v16
	s_mov_b32 s13, exec_lo
	s_delay_alu instid0(VALU_DEP_2) | instskip(NEXT) | instid1(VALU_DEP_2)
	v_add_nc_u32_e32 v13, v13, v16
	v_xor_b32_e32 v15, 1, v15
	s_delay_alu instid0(VALU_DEP_2) | instskip(NEXT) | instid1(VALU_DEP_1)
	v_and_b32_e32 v12, 0x1fffff, v13
	v_add_nc_u32_e32 v13, v12, v16
                                        ; implicit-def: $vgpr12
	s_delay_alu instid0(VALU_DEP_3)
	v_cmpx_ne_u32_e64 v14, v15
	s_xor_b32 s13, exec_lo, s13
; %bb.12763:                            ;   in Loop: Header=BB6_12675 Depth=3
	s_delay_alu instid0(VALU_DEP_2) | instskip(SKIP_2) | instid1(VALU_DEP_2)
	v_cmp_lt_u32_e32 vcc_lo, 0xffffff, v13
	v_sub_nc_u32_e32 v12, v14, v15
	v_cndmask_b32_e64 v14, 0, 1, vcc_lo
	v_add_co_ci_u32_e32 v12, vcc_lo, 0, v12, vcc_lo
	s_delay_alu instid0(VALU_DEP_2)
	v_lshrrev_b32_e32 v13, v14, v13
; %bb.12764:                            ;   in Loop: Header=BB6_12675 Depth=3
	s_and_not1_saveexec_b32 s13, s13
; %bb.12765:                            ;   in Loop: Header=BB6_12675 Depth=3
	s_delay_alu instid0(VALU_DEP_1)
	v_bfe_u32 v12, v13, 23, 1
; %bb.12766:                            ;   in Loop: Header=BB6_12675 Depth=3
	s_or_b32 exec_lo, exec_lo, s13
	v_lshrrev_b32_e32 v13, 21, v13
	s_delay_alu instid0(VALU_DEP_2) | instskip(SKIP_2) | instid1(VALU_DEP_2)
	v_cmp_gt_i32_e32 vcc_lo, 32, v12
	v_min_i32_e32 v14, 31, v12
	v_lshrrev_b32_e32 v8, 24, v8
	v_dual_cndmask_b32 v13, 3, v13 :: v_dual_lshlrev_b32 v14, 2, v14
	s_delay_alu instid0(VALU_DEP_2) | instskip(NEXT) | instid1(VALU_DEP_2)
	v_and_b32_e32 v8, 0x80, v8
	v_or_b32_e32 v12, v12, v13
	s_delay_alu instid0(VALU_DEP_3) | instskip(NEXT) | instid1(VALU_DEP_2)
	v_and_b32_e32 v14, 0xfc, v14
	v_cmp_ne_u32_e32 vcc_lo, 0, v12
	v_and_b32_e32 v15, 3, v13
	s_delay_alu instid0(VALU_DEP_1) | instskip(NEXT) | instid1(VALU_DEP_1)
	v_or3_b32 v8, v14, v8, v15
	v_cndmask_b32_e32 v56, 0, v8, vcc_lo
.LBB6_12767:                            ;   in Loop: Header=BB6_12675 Depth=3
	s_or_b32 exec_lo, exec_lo, s31
.LBB6_12768:                            ;   in Loop: Header=BB6_12675 Depth=3
	s_delay_alu instid0(SALU_CYCLE_1) | instskip(SKIP_3) | instid1(VALU_DEP_1)
	s_or_b32 exec_lo, exec_lo, s30
	v_lshrrev_b32_e32 v8, 24, v9
	s_mov_b32 s13, 0
	s_mov_b32 s31, exec_lo
                                        ; implicit-def: $sgpr30
	v_cmpx_lt_i16_e32 0x7f, v8
	s_xor_b32 s31, exec_lo, s31
	s_cbranch_execnz .LBB6_14502
; %bb.12769:                            ;   in Loop: Header=BB6_12675 Depth=3
	s_or_saveexec_b32 s31, s31
	v_mov_b32_e32 v12, s30
	s_xor_b32 exec_lo, exec_lo, s31
	s_cbranch_execnz .LBB6_14505
.LBB6_12770:                            ;   in Loop: Header=BB6_12675 Depth=3
	s_or_b32 exec_lo, exec_lo, s31
	s_and_saveexec_b32 s30, s13
	s_cbranch_execz .LBB6_12772
.LBB6_12771:                            ;   in Loop: Header=BB6_12675 Depth=3
	v_bfe_u32 v12, v9, 24, 2
	s_delay_alu instid0(VALU_DEP_1) | instskip(NEXT) | instid1(VALU_DEP_1)
	v_clz_i32_u32_e32 v13, v12
	v_min_u32_e32 v13, 32, v13
	s_delay_alu instid0(VALU_DEP_1) | instskip(SKIP_1) | instid1(VALU_DEP_2)
	v_subrev_nc_u32_e32 v14, 29, v13
	v_sub_nc_u32_e32 v13, 30, v13
	v_lshlrev_b32_e32 v8, v14, v8
	v_bfe_u32 v14, v9, 26, 5
	v_and_b32_e32 v9, 0x80000000, v9
	s_delay_alu instid0(VALU_DEP_2) | instskip(NEXT) | instid1(VALU_DEP_4)
	v_cmp_eq_u32_e32 vcc_lo, 0, v14
	v_dual_cndmask_b32 v13, v14, v13 :: v_dual_and_b32 v8, 3, v8
	s_delay_alu instid0(VALU_DEP_1) | instskip(NEXT) | instid1(VALU_DEP_2)
	v_cndmask_b32_e32 v8, v12, v8, vcc_lo
	v_lshl_add_u32 v12, v13, 23, 0x37800000
	s_delay_alu instid0(VALU_DEP_2) | instskip(NEXT) | instid1(VALU_DEP_1)
	v_lshlrev_b32_e32 v8, 21, v8
	v_or3_b32 v12, v9, v12, v8
.LBB6_12772:                            ;   in Loop: Header=BB6_12675 Depth=3
	s_or_b32 exec_lo, exec_lo, s30
	s_delay_alu instid0(VALU_DEP_1) | instskip(SKIP_1) | instid1(VALU_DEP_1)
	v_dual_mul_f32 v8, s17, v12 :: v_dual_mov_b32 v125, 0x8000
	s_mov_b32 s30, exec_lo
	v_and_b32_e32 v9, 0x7f800000, v8
	s_delay_alu instid0(VALU_DEP_1)
	v_cmpx_ne_u32_e32 0x7f800000, v9
	s_cbranch_execz .LBB6_12780
; %bb.12773:                            ;   in Loop: Header=BB6_12675 Depth=3
	v_mov_b32_e32 v125, 0
	s_mov_b32 s31, exec_lo
	v_cmpx_ne_u32_e32 0, v8
	s_cbranch_execz .LBB6_12779
; %bb.12774:                            ;   in Loop: Header=BB6_12675 Depth=3
	v_bfe_u32 v9, v8, 23, 8
	s_delay_alu instid0(VALU_DEP_1) | instskip(SKIP_1) | instid1(VALU_DEP_2)
	v_sub_nc_u32_e32 v13, 0x70, v9
	v_cmp_gt_u32_e32 vcc_lo, 0x71, v9
	v_dual_cndmask_b32 v13, 0, v13 :: v_dual_and_b32 v12, 0x7fffff, v8
	s_delay_alu instid0(VALU_DEP_1) | instskip(SKIP_2) | instid1(VALU_DEP_4)
	v_or_b32_e32 v14, 0x800000, v12
	v_cmp_eq_u32_e32 vcc_lo, 0, v9
	v_add_nc_u32_e32 v9, 0xffffff91, v9
	v_cndmask_b32_e64 v13, v13, 0x6f, vcc_lo
	s_delay_alu instid0(VALU_DEP_4) | instskip(NEXT) | instid1(VALU_DEP_3)
	v_cndmask_b32_e32 v12, v14, v12, vcc_lo
	v_cndmask_b32_e64 v9, v9, 0xffffff92, vcc_lo
	s_delay_alu instid0(VALU_DEP_3) | instskip(NEXT) | instid1(VALU_DEP_3)
	v_lshl_add_u32 v14, 0x200000, v13, -1
	v_lshrrev_b32_e32 v15, v13, v12
	v_lshlrev_b32_e64 v17, v13, 0x100000
	s_delay_alu instid0(VALU_DEP_4) | instskip(NEXT) | instid1(VALU_DEP_4)
	v_add_nc_u32_e32 v13, v13, v9
	v_and_b32_e32 v12, v14, v12
	s_delay_alu instid0(VALU_DEP_4) | instskip(NEXT) | instid1(VALU_DEP_2)
	v_bfe_u32 v16, v15, 21, 1
	v_cmp_eq_u32_e64 s13, v12, v17
	s_delay_alu instid0(VALU_DEP_2) | instskip(NEXT) | instid1(VALU_DEP_1)
	v_add_nc_u32_e32 v14, -1, v16
	v_cndmask_b32_e64 v12, 0, v14, s13
	v_lshrrev_b32_e32 v14, 23, v15
	s_mov_b32 s13, exec_lo
	s_delay_alu instid0(VALU_DEP_2) | instskip(NEXT) | instid1(VALU_DEP_2)
	v_add_nc_u32_e32 v12, v12, v15
	v_xor_b32_e32 v14, 1, v14
	s_delay_alu instid0(VALU_DEP_2) | instskip(NEXT) | instid1(VALU_DEP_1)
	v_and_b32_e32 v9, 0x1fffff, v12
	v_add_nc_u32_e32 v12, v9, v15
                                        ; implicit-def: $vgpr9
	s_delay_alu instid0(VALU_DEP_3)
	v_cmpx_ne_u32_e64 v13, v14
	s_xor_b32 s13, exec_lo, s13
; %bb.12775:                            ;   in Loop: Header=BB6_12675 Depth=3
	s_delay_alu instid0(VALU_DEP_2) | instskip(SKIP_2) | instid1(VALU_DEP_2)
	v_cmp_lt_u32_e32 vcc_lo, 0xffffff, v12
	v_sub_nc_u32_e32 v9, v13, v14
	v_cndmask_b32_e64 v13, 0, 1, vcc_lo
	v_add_co_ci_u32_e32 v9, vcc_lo, 0, v9, vcc_lo
	s_delay_alu instid0(VALU_DEP_2)
	v_lshrrev_b32_e32 v12, v13, v12
; %bb.12776:                            ;   in Loop: Header=BB6_12675 Depth=3
	s_and_not1_saveexec_b32 s13, s13
; %bb.12777:                            ;   in Loop: Header=BB6_12675 Depth=3
	s_delay_alu instid0(VALU_DEP_1)
	v_bfe_u32 v9, v12, 23, 1
; %bb.12778:                            ;   in Loop: Header=BB6_12675 Depth=3
	s_or_b32 exec_lo, exec_lo, s13
	v_lshrrev_b32_e32 v12, 21, v12
	s_delay_alu instid0(VALU_DEP_2) | instskip(SKIP_2) | instid1(VALU_DEP_3)
	v_min_i32_e32 v13, 31, v9
	v_cmp_gt_i32_e32 vcc_lo, 32, v9
	v_lshrrev_b32_e32 v8, 24, v8
	v_dual_cndmask_b32 v12, 3, v12 :: v_dual_lshlrev_b32 v13, 2, v13
	s_delay_alu instid0(VALU_DEP_2) | instskip(NEXT) | instid1(VALU_DEP_2)
	v_and_b32_e32 v8, 0x80, v8
	v_and_b32_e32 v13, 0xfc, v13
	s_delay_alu instid0(VALU_DEP_3) | instskip(SKIP_1) | instid1(VALU_DEP_2)
	v_and_b32_e32 v14, 3, v12
	v_or_b32_e32 v9, v9, v12
	v_or3_b32 v8, v8, v13, v14
	s_delay_alu instid0(VALU_DEP_2) | instskip(NEXT) | instid1(VALU_DEP_2)
	v_cmp_ne_u32_e32 vcc_lo, 0, v9
	v_lshlrev_b32_e32 v8, 8, v8
	s_delay_alu instid0(VALU_DEP_1)
	v_cndmask_b32_e32 v125, 0, v8, vcc_lo
.LBB6_12779:                            ;   in Loop: Header=BB6_12675 Depth=3
	s_or_b32 exec_lo, exec_lo, s31
.LBB6_12780:                            ;   in Loop: Header=BB6_12675 Depth=3
	s_delay_alu instid0(SALU_CYCLE_1) | instskip(SKIP_3) | instid1(VALU_DEP_1)
	s_or_b32 exec_lo, exec_lo, s30
	v_and_b32_e32 v9, 0xff, v10
	s_mov_b32 s13, 0
	s_mov_b32 s31, exec_lo
                                        ; implicit-def: $sgpr30
	v_cmpx_lt_i16_e32 0x7f, v9
	s_xor_b32 s31, exec_lo, s31
	s_cbranch_execnz .LBB6_14506
; %bb.12781:                            ;   in Loop: Header=BB6_12675 Depth=3
	s_or_saveexec_b32 s31, s31
	v_mov_b32_e32 v8, s30
	s_xor_b32 exec_lo, exec_lo, s31
	s_cbranch_execnz .LBB6_14509
.LBB6_12782:                            ;   in Loop: Header=BB6_12675 Depth=3
	s_or_b32 exec_lo, exec_lo, s31
	s_and_saveexec_b32 s30, s13
	s_cbranch_execz .LBB6_12784
.LBB6_12783:                            ;   in Loop: Header=BB6_12675 Depth=3
	v_bfe_u32 v13, v10, 2, 5
	v_lshlrev_b32_e32 v14, 24, v10
	s_delay_alu instid0(VALU_DEP_2) | instskip(SKIP_1) | instid1(VALU_DEP_1)
	v_cmp_eq_u32_e32 vcc_lo, 0, v13
	v_and_b32_e32 v8, 3, v10
	v_clz_i32_u32_e32 v9, v8
	s_delay_alu instid0(VALU_DEP_1) | instskip(NEXT) | instid1(VALU_DEP_1)
	v_min_u32_e32 v9, 32, v9
	v_subrev_nc_u32_e32 v12, 29, v9
	v_sub_nc_u32_e32 v9, 30, v9
	s_delay_alu instid0(VALU_DEP_1) | instskip(NEXT) | instid1(VALU_DEP_1)
	v_dual_cndmask_b32 v9, v13, v9 :: v_dual_lshlrev_b32 v12, v12, v10
	v_and_b32_e32 v12, 3, v12
	s_delay_alu instid0(VALU_DEP_2) | instskip(NEXT) | instid1(VALU_DEP_2)
	v_lshl_add_u32 v9, v9, 23, 0x37800000
	v_cndmask_b32_e32 v8, v8, v12, vcc_lo
	v_and_b32_e32 v12, 0x80000000, v14
	s_delay_alu instid0(VALU_DEP_2) | instskip(NEXT) | instid1(VALU_DEP_1)
	v_lshlrev_b32_e32 v8, 21, v8
	v_or3_b32 v8, v12, v9, v8
.LBB6_12784:                            ;   in Loop: Header=BB6_12675 Depth=3
	s_or_b32 exec_lo, exec_lo, s30
	s_delay_alu instid0(VALU_DEP_1) | instskip(SKIP_2) | instid1(VALU_DEP_2)
	v_mul_f32_e32 v8, s17, v8
	v_mov_b32_e32 v62, 0x80
	s_mov_b32 s30, exec_lo
	v_and_b32_e32 v9, 0x7f800000, v8
	s_delay_alu instid0(VALU_DEP_1)
	v_cmpx_ne_u32_e32 0x7f800000, v9
	s_cbranch_execz .LBB6_12792
; %bb.12785:                            ;   in Loop: Header=BB6_12675 Depth=3
	v_mov_b32_e32 v62, 0
	s_mov_b32 s31, exec_lo
	v_cmpx_ne_u32_e32 0, v8
	s_cbranch_execz .LBB6_12791
; %bb.12786:                            ;   in Loop: Header=BB6_12675 Depth=3
	v_bfe_u32 v9, v8, 23, 8
	s_delay_alu instid0(VALU_DEP_1) | instskip(SKIP_1) | instid1(VALU_DEP_2)
	v_sub_nc_u32_e32 v13, 0x70, v9
	v_cmp_gt_u32_e32 vcc_lo, 0x71, v9
	v_dual_cndmask_b32 v13, 0, v13 :: v_dual_and_b32 v12, 0x7fffff, v8
	s_delay_alu instid0(VALU_DEP_1) | instskip(SKIP_2) | instid1(VALU_DEP_4)
	v_or_b32_e32 v14, 0x800000, v12
	v_cmp_eq_u32_e32 vcc_lo, 0, v9
	v_add_nc_u32_e32 v9, 0xffffff91, v9
	v_cndmask_b32_e64 v13, v13, 0x6f, vcc_lo
	s_delay_alu instid0(VALU_DEP_4) | instskip(NEXT) | instid1(VALU_DEP_3)
	v_cndmask_b32_e32 v12, v14, v12, vcc_lo
	v_cndmask_b32_e64 v9, v9, 0xffffff92, vcc_lo
	s_delay_alu instid0(VALU_DEP_3) | instskip(NEXT) | instid1(VALU_DEP_3)
	v_lshl_add_u32 v14, 0x200000, v13, -1
	v_lshrrev_b32_e32 v15, v13, v12
	v_lshlrev_b32_e64 v17, v13, 0x100000
	s_delay_alu instid0(VALU_DEP_4) | instskip(NEXT) | instid1(VALU_DEP_4)
	v_add_nc_u32_e32 v13, v13, v9
	v_and_b32_e32 v12, v14, v12
	s_delay_alu instid0(VALU_DEP_4) | instskip(NEXT) | instid1(VALU_DEP_2)
	v_bfe_u32 v16, v15, 21, 1
	v_cmp_eq_u32_e64 s13, v12, v17
	s_delay_alu instid0(VALU_DEP_2) | instskip(NEXT) | instid1(VALU_DEP_1)
	v_add_nc_u32_e32 v14, -1, v16
	v_cndmask_b32_e64 v12, 0, v14, s13
	v_lshrrev_b32_e32 v14, 23, v15
	s_mov_b32 s13, exec_lo
	s_delay_alu instid0(VALU_DEP_2) | instskip(NEXT) | instid1(VALU_DEP_2)
	v_add_nc_u32_e32 v12, v12, v15
	v_xor_b32_e32 v14, 1, v14
	s_delay_alu instid0(VALU_DEP_2) | instskip(NEXT) | instid1(VALU_DEP_1)
	v_and_b32_e32 v9, 0x1fffff, v12
	v_add_nc_u32_e32 v12, v9, v15
                                        ; implicit-def: $vgpr9
	s_delay_alu instid0(VALU_DEP_3)
	v_cmpx_ne_u32_e64 v13, v14
	s_xor_b32 s13, exec_lo, s13
; %bb.12787:                            ;   in Loop: Header=BB6_12675 Depth=3
	s_delay_alu instid0(VALU_DEP_2) | instskip(SKIP_2) | instid1(VALU_DEP_2)
	v_cmp_lt_u32_e32 vcc_lo, 0xffffff, v12
	v_sub_nc_u32_e32 v9, v13, v14
	v_cndmask_b32_e64 v13, 0, 1, vcc_lo
	v_add_co_ci_u32_e32 v9, vcc_lo, 0, v9, vcc_lo
	s_delay_alu instid0(VALU_DEP_2)
	v_lshrrev_b32_e32 v12, v13, v12
; %bb.12788:                            ;   in Loop: Header=BB6_12675 Depth=3
	s_and_not1_saveexec_b32 s13, s13
; %bb.12789:                            ;   in Loop: Header=BB6_12675 Depth=3
	s_delay_alu instid0(VALU_DEP_1)
	v_bfe_u32 v9, v12, 23, 1
; %bb.12790:                            ;   in Loop: Header=BB6_12675 Depth=3
	s_or_b32 exec_lo, exec_lo, s13
	v_lshrrev_b32_e32 v12, 21, v12
	s_delay_alu instid0(VALU_DEP_2) | instskip(SKIP_2) | instid1(VALU_DEP_4)
	v_cmp_gt_i32_e32 vcc_lo, 32, v9
	v_lshrrev_b32_e32 v8, 24, v8
	v_min_i32_e32 v13, 31, v9
	v_cndmask_b32_e32 v12, 3, v12, vcc_lo
	s_delay_alu instid0(VALU_DEP_3) | instskip(NEXT) | instid1(VALU_DEP_3)
	v_and_b32_e32 v8, 0x80, v8
	v_lshlrev_b32_e32 v13, 2, v13
	s_delay_alu instid0(VALU_DEP_3) | instskip(SKIP_1) | instid1(VALU_DEP_2)
	v_and_b32_e32 v14, 3, v12
	v_or_b32_e32 v9, v9, v12
	v_or3_b32 v8, v13, v8, v14
	s_delay_alu instid0(VALU_DEP_2) | instskip(NEXT) | instid1(VALU_DEP_2)
	v_cmp_ne_u32_e32 vcc_lo, 0, v9
	v_cndmask_b32_e32 v62, 0, v8, vcc_lo
.LBB6_12791:                            ;   in Loop: Header=BB6_12675 Depth=3
	s_or_b32 exec_lo, exec_lo, s31
.LBB6_12792:                            ;   in Loop: Header=BB6_12675 Depth=3
	s_delay_alu instid0(SALU_CYCLE_1) | instskip(SKIP_3) | instid1(VALU_DEP_1)
	s_or_b32 exec_lo, exec_lo, s30
	v_lshrrev_b16 v8, 8, v10
	s_mov_b32 s13, 0
	s_mov_b32 s31, exec_lo
                                        ; implicit-def: $sgpr30
	v_cmpx_lt_i16_e32 0x7f, v8
	s_xor_b32 s31, exec_lo, s31
	s_cbranch_execnz .LBB6_14510
; %bb.12793:                            ;   in Loop: Header=BB6_12675 Depth=3
	s_or_saveexec_b32 s31, s31
	v_mov_b32_e32 v9, s30
	s_xor_b32 exec_lo, exec_lo, s31
	s_cbranch_execnz .LBB6_14513
.LBB6_12794:                            ;   in Loop: Header=BB6_12675 Depth=3
	s_or_b32 exec_lo, exec_lo, s31
	s_and_saveexec_b32 s30, s13
	s_cbranch_execz .LBB6_12796
.LBB6_12795:                            ;   in Loop: Header=BB6_12675 Depth=3
	v_and_b32_e32 v9, 0xffff, v8
	v_lshlrev_b32_e32 v8, 24, v8
	s_delay_alu instid0(VALU_DEP_2) | instskip(NEXT) | instid1(VALU_DEP_2)
	v_and_b32_e32 v12, 3, v9
	v_and_b32_e32 v8, 0x80000000, v8
	s_delay_alu instid0(VALU_DEP_2) | instskip(NEXT) | instid1(VALU_DEP_1)
	v_clz_i32_u32_e32 v13, v12
	v_min_u32_e32 v13, 32, v13
	s_delay_alu instid0(VALU_DEP_1) | instskip(SKIP_1) | instid1(VALU_DEP_2)
	v_subrev_nc_u32_e32 v14, 29, v13
	v_sub_nc_u32_e32 v13, 30, v13
	v_lshlrev_b32_e32 v14, v14, v9
	v_bfe_u32 v9, v9, 2, 5
	s_delay_alu instid0(VALU_DEP_1) | instskip(NEXT) | instid1(VALU_DEP_3)
	v_cmp_eq_u32_e32 vcc_lo, 0, v9
	v_dual_cndmask_b32 v9, v9, v13 :: v_dual_and_b32 v14, 3, v14
	s_delay_alu instid0(VALU_DEP_1) | instskip(NEXT) | instid1(VALU_DEP_2)
	v_cndmask_b32_e32 v12, v12, v14, vcc_lo
	v_lshl_add_u32 v9, v9, 23, 0x37800000
	s_delay_alu instid0(VALU_DEP_2) | instskip(NEXT) | instid1(VALU_DEP_1)
	v_lshlrev_b32_e32 v12, 21, v12
	v_or3_b32 v9, v8, v9, v12
.LBB6_12796:                            ;   in Loop: Header=BB6_12675 Depth=3
	s_or_b32 exec_lo, exec_lo, s30
	s_delay_alu instid0(VALU_DEP_1) | instskip(SKIP_1) | instid1(VALU_DEP_1)
	v_dual_mul_f32 v8, s17, v9 :: v_dual_mov_b32 v75, 0x80
	s_mov_b32 s30, exec_lo
	v_and_b32_e32 v9, 0x7f800000, v8
	s_delay_alu instid0(VALU_DEP_1)
	v_cmpx_ne_u32_e32 0x7f800000, v9
	s_cbranch_execz .LBB6_12804
; %bb.12797:                            ;   in Loop: Header=BB6_12675 Depth=3
	v_mov_b32_e32 v75, 0
	s_mov_b32 s31, exec_lo
	v_cmpx_ne_u32_e32 0, v8
	s_cbranch_execz .LBB6_12803
; %bb.12798:                            ;   in Loop: Header=BB6_12675 Depth=3
	v_bfe_u32 v9, v8, 23, 8
	s_delay_alu instid0(VALU_DEP_1) | instskip(SKIP_1) | instid1(VALU_DEP_2)
	v_sub_nc_u32_e32 v13, 0x70, v9
	v_cmp_gt_u32_e32 vcc_lo, 0x71, v9
	v_dual_cndmask_b32 v13, 0, v13 :: v_dual_and_b32 v12, 0x7fffff, v8
	s_delay_alu instid0(VALU_DEP_1) | instskip(SKIP_2) | instid1(VALU_DEP_4)
	v_or_b32_e32 v14, 0x800000, v12
	v_cmp_eq_u32_e32 vcc_lo, 0, v9
	v_add_nc_u32_e32 v9, 0xffffff91, v9
	v_cndmask_b32_e64 v13, v13, 0x6f, vcc_lo
	s_delay_alu instid0(VALU_DEP_4) | instskip(NEXT) | instid1(VALU_DEP_3)
	v_cndmask_b32_e32 v12, v14, v12, vcc_lo
	v_cndmask_b32_e64 v9, v9, 0xffffff92, vcc_lo
	s_delay_alu instid0(VALU_DEP_3) | instskip(NEXT) | instid1(VALU_DEP_3)
	v_lshl_add_u32 v14, 0x200000, v13, -1
	v_lshrrev_b32_e32 v15, v13, v12
	v_lshlrev_b32_e64 v17, v13, 0x100000
	s_delay_alu instid0(VALU_DEP_4) | instskip(NEXT) | instid1(VALU_DEP_4)
	v_add_nc_u32_e32 v13, v13, v9
	v_and_b32_e32 v12, v14, v12
	s_delay_alu instid0(VALU_DEP_4) | instskip(NEXT) | instid1(VALU_DEP_2)
	v_bfe_u32 v16, v15, 21, 1
	v_cmp_eq_u32_e64 s13, v12, v17
	s_delay_alu instid0(VALU_DEP_2) | instskip(NEXT) | instid1(VALU_DEP_1)
	v_add_nc_u32_e32 v14, -1, v16
	v_cndmask_b32_e64 v12, 0, v14, s13
	v_lshrrev_b32_e32 v14, 23, v15
	s_mov_b32 s13, exec_lo
	s_delay_alu instid0(VALU_DEP_2) | instskip(NEXT) | instid1(VALU_DEP_2)
	v_add_nc_u32_e32 v12, v12, v15
	v_xor_b32_e32 v14, 1, v14
	s_delay_alu instid0(VALU_DEP_2) | instskip(NEXT) | instid1(VALU_DEP_1)
	v_and_b32_e32 v9, 0x1fffff, v12
	v_add_nc_u32_e32 v12, v9, v15
                                        ; implicit-def: $vgpr9
	s_delay_alu instid0(VALU_DEP_3)
	v_cmpx_ne_u32_e64 v13, v14
	s_xor_b32 s13, exec_lo, s13
; %bb.12799:                            ;   in Loop: Header=BB6_12675 Depth=3
	s_delay_alu instid0(VALU_DEP_2) | instskip(SKIP_2) | instid1(VALU_DEP_2)
	v_cmp_lt_u32_e32 vcc_lo, 0xffffff, v12
	v_sub_nc_u32_e32 v9, v13, v14
	v_cndmask_b32_e64 v13, 0, 1, vcc_lo
	v_add_co_ci_u32_e32 v9, vcc_lo, 0, v9, vcc_lo
	s_delay_alu instid0(VALU_DEP_2)
	v_lshrrev_b32_e32 v12, v13, v12
; %bb.12800:                            ;   in Loop: Header=BB6_12675 Depth=3
	s_and_not1_saveexec_b32 s13, s13
; %bb.12801:                            ;   in Loop: Header=BB6_12675 Depth=3
	s_delay_alu instid0(VALU_DEP_1)
	v_bfe_u32 v9, v12, 23, 1
; %bb.12802:                            ;   in Loop: Header=BB6_12675 Depth=3
	s_or_b32 exec_lo, exec_lo, s13
	v_lshrrev_b32_e32 v12, 21, v12
	s_delay_alu instid0(VALU_DEP_2) | instskip(SKIP_2) | instid1(VALU_DEP_4)
	v_cmp_gt_i32_e32 vcc_lo, 32, v9
	v_lshrrev_b32_e32 v8, 24, v8
	v_min_i32_e32 v13, 31, v9
	v_cndmask_b32_e32 v12, 3, v12, vcc_lo
	s_delay_alu instid0(VALU_DEP_3) | instskip(NEXT) | instid1(VALU_DEP_3)
	v_and_b32_e32 v8, 0x80, v8
	v_lshlrev_b32_e32 v13, 2, v13
	s_delay_alu instid0(VALU_DEP_3) | instskip(SKIP_1) | instid1(VALU_DEP_2)
	v_and_b32_e32 v14, 3, v12
	v_or_b32_e32 v9, v9, v12
	v_or3_b32 v8, v13, v8, v14
	s_delay_alu instid0(VALU_DEP_2) | instskip(NEXT) | instid1(VALU_DEP_2)
	v_cmp_ne_u32_e32 vcc_lo, 0, v9
	v_cndmask_b32_e32 v75, 0, v8, vcc_lo
.LBB6_12803:                            ;   in Loop: Header=BB6_12675 Depth=3
	s_or_b32 exec_lo, exec_lo, s31
.LBB6_12804:                            ;   in Loop: Header=BB6_12675 Depth=3
	s_delay_alu instid0(SALU_CYCLE_1) | instskip(SKIP_3) | instid1(VALU_DEP_1)
	s_or_b32 exec_lo, exec_lo, s30
	v_lshrrev_b32_e32 v8, 16, v10
	s_mov_b32 s13, 0
	s_mov_b32 s31, exec_lo
                                        ; implicit-def: $sgpr30
	v_and_b32_e32 v12, 0xff, v8
	s_delay_alu instid0(VALU_DEP_1)
	v_cmpx_lt_i16_e32 0x7f, v12
	s_xor_b32 s31, exec_lo, s31
	s_cbranch_execnz .LBB6_14514
; %bb.12805:                            ;   in Loop: Header=BB6_12675 Depth=3
	s_or_saveexec_b32 s31, s31
	v_mov_b32_e32 v9, s30
	s_xor_b32 exec_lo, exec_lo, s31
	s_cbranch_execnz .LBB6_14517
.LBB6_12806:                            ;   in Loop: Header=BB6_12675 Depth=3
	s_or_b32 exec_lo, exec_lo, s31
	s_and_saveexec_b32 s30, s13
	s_cbranch_execz .LBB6_12808
.LBB6_12807:                            ;   in Loop: Header=BB6_12675 Depth=3
	v_bfe_u32 v9, v10, 16, 2
	v_lshlrev_b32_e32 v14, 8, v10
	s_delay_alu instid0(VALU_DEP_2) | instskip(NEXT) | instid1(VALU_DEP_1)
	v_clz_i32_u32_e32 v12, v9
	v_min_u32_e32 v12, 32, v12
	s_delay_alu instid0(VALU_DEP_1) | instskip(SKIP_1) | instid1(VALU_DEP_2)
	v_subrev_nc_u32_e32 v13, 29, v12
	v_sub_nc_u32_e32 v12, 30, v12
	v_lshlrev_b32_e32 v8, v13, v8
	v_bfe_u32 v13, v10, 18, 5
	s_delay_alu instid0(VALU_DEP_2) | instskip(NEXT) | instid1(VALU_DEP_2)
	v_and_b32_e32 v8, 3, v8
	v_cmp_eq_u32_e32 vcc_lo, 0, v13
	v_cndmask_b32_e32 v12, v13, v12, vcc_lo
	s_delay_alu instid0(VALU_DEP_3) | instskip(NEXT) | instid1(VALU_DEP_2)
	v_dual_cndmask_b32 v8, v9, v8 :: v_dual_and_b32 v9, 0x80000000, v14
	v_lshl_add_u32 v12, v12, 23, 0x37800000
	s_delay_alu instid0(VALU_DEP_2) | instskip(NEXT) | instid1(VALU_DEP_1)
	v_lshlrev_b32_e32 v8, 21, v8
	v_or3_b32 v9, v9, v12, v8
.LBB6_12808:                            ;   in Loop: Header=BB6_12675 Depth=3
	s_or_b32 exec_lo, exec_lo, s30
	s_delay_alu instid0(VALU_DEP_1) | instskip(SKIP_1) | instid1(VALU_DEP_1)
	v_dual_mul_f32 v8, s17, v9 :: v_dual_mov_b32 v79, 0x80
	s_mov_b32 s30, exec_lo
	v_and_b32_e32 v9, 0x7f800000, v8
	s_delay_alu instid0(VALU_DEP_1)
	v_cmpx_ne_u32_e32 0x7f800000, v9
	s_cbranch_execz .LBB6_12816
; %bb.12809:                            ;   in Loop: Header=BB6_12675 Depth=3
	v_mov_b32_e32 v79, 0
	s_mov_b32 s31, exec_lo
	v_cmpx_ne_u32_e32 0, v8
	s_cbranch_execz .LBB6_12815
; %bb.12810:                            ;   in Loop: Header=BB6_12675 Depth=3
	v_bfe_u32 v9, v8, 23, 8
	s_delay_alu instid0(VALU_DEP_1) | instskip(SKIP_1) | instid1(VALU_DEP_2)
	v_sub_nc_u32_e32 v13, 0x70, v9
	v_cmp_gt_u32_e32 vcc_lo, 0x71, v9
	v_dual_cndmask_b32 v13, 0, v13 :: v_dual_and_b32 v12, 0x7fffff, v8
	s_delay_alu instid0(VALU_DEP_1) | instskip(SKIP_2) | instid1(VALU_DEP_4)
	v_or_b32_e32 v14, 0x800000, v12
	v_cmp_eq_u32_e32 vcc_lo, 0, v9
	v_add_nc_u32_e32 v9, 0xffffff91, v9
	v_cndmask_b32_e64 v13, v13, 0x6f, vcc_lo
	s_delay_alu instid0(VALU_DEP_4) | instskip(NEXT) | instid1(VALU_DEP_3)
	v_cndmask_b32_e32 v12, v14, v12, vcc_lo
	v_cndmask_b32_e64 v9, v9, 0xffffff92, vcc_lo
	s_delay_alu instid0(VALU_DEP_3) | instskip(NEXT) | instid1(VALU_DEP_3)
	v_lshl_add_u32 v14, 0x200000, v13, -1
	v_lshrrev_b32_e32 v15, v13, v12
	v_lshlrev_b32_e64 v17, v13, 0x100000
	s_delay_alu instid0(VALU_DEP_4) | instskip(NEXT) | instid1(VALU_DEP_4)
	v_add_nc_u32_e32 v13, v13, v9
	v_and_b32_e32 v12, v14, v12
	s_delay_alu instid0(VALU_DEP_4) | instskip(NEXT) | instid1(VALU_DEP_2)
	v_bfe_u32 v16, v15, 21, 1
	v_cmp_eq_u32_e64 s13, v12, v17
	s_delay_alu instid0(VALU_DEP_2) | instskip(NEXT) | instid1(VALU_DEP_1)
	v_add_nc_u32_e32 v14, -1, v16
	v_cndmask_b32_e64 v12, 0, v14, s13
	v_lshrrev_b32_e32 v14, 23, v15
	s_mov_b32 s13, exec_lo
	s_delay_alu instid0(VALU_DEP_2) | instskip(NEXT) | instid1(VALU_DEP_2)
	v_add_nc_u32_e32 v12, v12, v15
	v_xor_b32_e32 v14, 1, v14
	s_delay_alu instid0(VALU_DEP_2) | instskip(NEXT) | instid1(VALU_DEP_1)
	v_and_b32_e32 v9, 0x1fffff, v12
	v_add_nc_u32_e32 v12, v9, v15
                                        ; implicit-def: $vgpr9
	s_delay_alu instid0(VALU_DEP_3)
	v_cmpx_ne_u32_e64 v13, v14
	s_xor_b32 s13, exec_lo, s13
; %bb.12811:                            ;   in Loop: Header=BB6_12675 Depth=3
	s_delay_alu instid0(VALU_DEP_2) | instskip(SKIP_2) | instid1(VALU_DEP_2)
	v_cmp_lt_u32_e32 vcc_lo, 0xffffff, v12
	v_sub_nc_u32_e32 v9, v13, v14
	v_cndmask_b32_e64 v13, 0, 1, vcc_lo
	v_add_co_ci_u32_e32 v9, vcc_lo, 0, v9, vcc_lo
	s_delay_alu instid0(VALU_DEP_2)
	v_lshrrev_b32_e32 v12, v13, v12
; %bb.12812:                            ;   in Loop: Header=BB6_12675 Depth=3
	s_and_not1_saveexec_b32 s13, s13
; %bb.12813:                            ;   in Loop: Header=BB6_12675 Depth=3
	s_delay_alu instid0(VALU_DEP_1)
	v_bfe_u32 v9, v12, 23, 1
; %bb.12814:                            ;   in Loop: Header=BB6_12675 Depth=3
	s_or_b32 exec_lo, exec_lo, s13
	v_lshrrev_b32_e32 v12, 21, v12
	s_delay_alu instid0(VALU_DEP_2) | instskip(SKIP_2) | instid1(VALU_DEP_4)
	v_cmp_gt_i32_e32 vcc_lo, 32, v9
	v_lshrrev_b32_e32 v8, 24, v8
	v_min_i32_e32 v13, 31, v9
	v_cndmask_b32_e32 v12, 3, v12, vcc_lo
	s_delay_alu instid0(VALU_DEP_3) | instskip(NEXT) | instid1(VALU_DEP_3)
	v_and_b32_e32 v8, 0x80, v8
	v_lshlrev_b32_e32 v13, 2, v13
	s_delay_alu instid0(VALU_DEP_3) | instskip(SKIP_1) | instid1(VALU_DEP_2)
	v_and_b32_e32 v14, 3, v12
	v_or_b32_e32 v9, v9, v12
	v_or3_b32 v8, v13, v8, v14
	s_delay_alu instid0(VALU_DEP_2) | instskip(NEXT) | instid1(VALU_DEP_2)
	v_cmp_ne_u32_e32 vcc_lo, 0, v9
	v_cndmask_b32_e32 v79, 0, v8, vcc_lo
.LBB6_12815:                            ;   in Loop: Header=BB6_12675 Depth=3
	s_or_b32 exec_lo, exec_lo, s31
.LBB6_12816:                            ;   in Loop: Header=BB6_12675 Depth=3
	s_delay_alu instid0(SALU_CYCLE_1) | instskip(SKIP_3) | instid1(VALU_DEP_1)
	s_or_b32 exec_lo, exec_lo, s30
	v_lshrrev_b32_e32 v8, 24, v10
	s_mov_b32 s13, 0
	s_mov_b32 s31, exec_lo
                                        ; implicit-def: $sgpr30
	v_cmpx_lt_i16_e32 0x7f, v8
	s_xor_b32 s31, exec_lo, s31
	s_cbranch_execnz .LBB6_14518
; %bb.12817:                            ;   in Loop: Header=BB6_12675 Depth=3
	s_or_saveexec_b32 s31, s31
	v_mov_b32_e32 v9, s30
	s_xor_b32 exec_lo, exec_lo, s31
	s_cbranch_execnz .LBB6_14521
.LBB6_12818:                            ;   in Loop: Header=BB6_12675 Depth=3
	s_or_b32 exec_lo, exec_lo, s31
	s_and_saveexec_b32 s30, s13
	s_cbranch_execz .LBB6_12820
.LBB6_12819:                            ;   in Loop: Header=BB6_12675 Depth=3
	v_bfe_u32 v9, v10, 24, 2
	s_delay_alu instid0(VALU_DEP_1) | instskip(NEXT) | instid1(VALU_DEP_1)
	v_clz_i32_u32_e32 v12, v9
	v_min_u32_e32 v12, 32, v12
	s_delay_alu instid0(VALU_DEP_1) | instskip(SKIP_1) | instid1(VALU_DEP_2)
	v_subrev_nc_u32_e32 v13, 29, v12
	v_sub_nc_u32_e32 v12, 30, v12
	v_lshlrev_b32_e32 v8, v13, v8
	v_bfe_u32 v13, v10, 26, 5
	s_delay_alu instid0(VALU_DEP_2) | instskip(NEXT) | instid1(VALU_DEP_2)
	v_and_b32_e32 v8, 3, v8
	v_cmp_eq_u32_e32 vcc_lo, 0, v13
	v_cndmask_b32_e32 v12, v13, v12, vcc_lo
	s_delay_alu instid0(VALU_DEP_3) | instskip(NEXT) | instid1(VALU_DEP_2)
	v_dual_cndmask_b32 v8, v9, v8 :: v_dual_and_b32 v9, 0x80000000, v10
	v_lshl_add_u32 v10, v12, 23, 0x37800000
	s_delay_alu instid0(VALU_DEP_2) | instskip(NEXT) | instid1(VALU_DEP_1)
	v_lshlrev_b32_e32 v8, 21, v8
	v_or3_b32 v9, v9, v10, v8
.LBB6_12820:                            ;   in Loop: Header=BB6_12675 Depth=3
	s_or_b32 exec_lo, exec_lo, s30
	s_delay_alu instid0(VALU_DEP_1) | instskip(SKIP_2) | instid1(VALU_DEP_2)
	v_mul_f32_e32 v8, s17, v9
	v_mov_b32_e32 v106, 0x80
	s_mov_b32 s30, exec_lo
	v_and_b32_e32 v9, 0x7f800000, v8
	s_delay_alu instid0(VALU_DEP_1)
	v_cmpx_ne_u32_e32 0x7f800000, v9
	s_cbranch_execz .LBB6_12828
; %bb.12821:                            ;   in Loop: Header=BB6_12675 Depth=3
	v_mov_b32_e32 v106, 0
	s_mov_b32 s31, exec_lo
	v_cmpx_ne_u32_e32 0, v8
	s_cbranch_execz .LBB6_12827
; %bb.12822:                            ;   in Loop: Header=BB6_12675 Depth=3
	v_bfe_u32 v9, v8, 23, 8
	v_and_b32_e32 v10, 0x7fffff, v8
	s_delay_alu instid0(VALU_DEP_2) | instskip(SKIP_1) | instid1(VALU_DEP_3)
	v_sub_nc_u32_e32 v12, 0x70, v9
	v_cmp_gt_u32_e32 vcc_lo, 0x71, v9
	v_or_b32_e32 v13, 0x800000, v10
	s_delay_alu instid0(VALU_DEP_3) | instskip(SKIP_2) | instid1(VALU_DEP_3)
	v_cndmask_b32_e32 v12, 0, v12, vcc_lo
	v_cmp_eq_u32_e32 vcc_lo, 0, v9
	v_add_nc_u32_e32 v9, 0xffffff91, v9
	v_cndmask_b32_e64 v12, v12, 0x6f, vcc_lo
	v_cndmask_b32_e32 v10, v13, v10, vcc_lo
	s_delay_alu instid0(VALU_DEP_3) | instskip(NEXT) | instid1(VALU_DEP_3)
	v_cndmask_b32_e64 v9, v9, 0xffffff92, vcc_lo
	v_lshl_add_u32 v13, 0x200000, v12, -1
	s_delay_alu instid0(VALU_DEP_3) | instskip(SKIP_1) | instid1(VALU_DEP_4)
	v_lshrrev_b32_e32 v14, v12, v10
	v_lshlrev_b32_e64 v16, v12, 0x100000
	v_add_nc_u32_e32 v12, v12, v9
	s_delay_alu instid0(VALU_DEP_4) | instskip(NEXT) | instid1(VALU_DEP_4)
	v_and_b32_e32 v10, v13, v10
	v_bfe_u32 v15, v14, 21, 1
	s_delay_alu instid0(VALU_DEP_2) | instskip(NEXT) | instid1(VALU_DEP_2)
	v_cmp_eq_u32_e64 s13, v10, v16
	v_add_nc_u32_e32 v13, -1, v15
	s_delay_alu instid0(VALU_DEP_1) | instskip(SKIP_2) | instid1(VALU_DEP_2)
	v_cndmask_b32_e64 v10, 0, v13, s13
	v_lshrrev_b32_e32 v13, 23, v14
	s_mov_b32 s13, exec_lo
	v_add_nc_u32_e32 v10, v10, v14
	s_delay_alu instid0(VALU_DEP_2) | instskip(NEXT) | instid1(VALU_DEP_2)
	v_xor_b32_e32 v13, 1, v13
	v_and_b32_e32 v9, 0x1fffff, v10
	s_delay_alu instid0(VALU_DEP_1) | instskip(NEXT) | instid1(VALU_DEP_3)
	v_add_nc_u32_e32 v10, v9, v14
                                        ; implicit-def: $vgpr9
	v_cmpx_ne_u32_e64 v12, v13
	s_xor_b32 s13, exec_lo, s13
; %bb.12823:                            ;   in Loop: Header=BB6_12675 Depth=3
	s_delay_alu instid0(VALU_DEP_2) | instskip(SKIP_2) | instid1(VALU_DEP_2)
	v_cmp_lt_u32_e32 vcc_lo, 0xffffff, v10
	v_sub_nc_u32_e32 v9, v12, v13
	v_cndmask_b32_e64 v12, 0, 1, vcc_lo
	v_add_co_ci_u32_e32 v9, vcc_lo, 0, v9, vcc_lo
	s_delay_alu instid0(VALU_DEP_2)
	v_lshrrev_b32_e32 v10, v12, v10
; %bb.12824:                            ;   in Loop: Header=BB6_12675 Depth=3
	s_and_not1_saveexec_b32 s13, s13
; %bb.12825:                            ;   in Loop: Header=BB6_12675 Depth=3
	s_delay_alu instid0(VALU_DEP_1)
	v_bfe_u32 v9, v10, 23, 1
; %bb.12826:                            ;   in Loop: Header=BB6_12675 Depth=3
	s_or_b32 exec_lo, exec_lo, s13
	v_lshrrev_b32_e32 v10, 21, v10
	s_delay_alu instid0(VALU_DEP_2) | instskip(SKIP_2) | instid1(VALU_DEP_4)
	v_cmp_gt_i32_e32 vcc_lo, 32, v9
	v_lshrrev_b32_e32 v8, 24, v8
	v_min_i32_e32 v12, 31, v9
	v_cndmask_b32_e32 v10, 3, v10, vcc_lo
	s_delay_alu instid0(VALU_DEP_3) | instskip(NEXT) | instid1(VALU_DEP_3)
	v_and_b32_e32 v8, 0x80, v8
	v_lshlrev_b32_e32 v12, 2, v12
	s_delay_alu instid0(VALU_DEP_3) | instskip(NEXT) | instid1(VALU_DEP_1)
	v_or_b32_e32 v9, v9, v10
	v_cmp_ne_u32_e32 vcc_lo, 0, v9
	v_and_b32_e32 v13, 3, v10
	s_delay_alu instid0(VALU_DEP_1) | instskip(NEXT) | instid1(VALU_DEP_1)
	v_or3_b32 v8, v12, v8, v13
	v_cndmask_b32_e32 v106, 0, v8, vcc_lo
.LBB6_12827:                            ;   in Loop: Header=BB6_12675 Depth=3
	s_or_b32 exec_lo, exec_lo, s31
.LBB6_12828:                            ;   in Loop: Header=BB6_12675 Depth=3
	s_delay_alu instid0(SALU_CYCLE_1) | instskip(SKIP_3) | instid1(VALU_DEP_1)
	s_or_b32 exec_lo, exec_lo, s30
	v_and_b32_e32 v9, 0xff, v11
	s_mov_b32 s13, 0
	s_mov_b32 s31, exec_lo
                                        ; implicit-def: $sgpr30
	v_cmpx_lt_i16_e32 0x7f, v9
	s_xor_b32 s31, exec_lo, s31
	s_cbranch_execnz .LBB6_14522
; %bb.12829:                            ;   in Loop: Header=BB6_12675 Depth=3
	s_or_saveexec_b32 s31, s31
	v_mov_b32_e32 v8, s30
	s_xor_b32 exec_lo, exec_lo, s31
	s_cbranch_execnz .LBB6_14525
.LBB6_12830:                            ;   in Loop: Header=BB6_12675 Depth=3
	s_or_b32 exec_lo, exec_lo, s31
	s_and_saveexec_b32 s30, s13
	s_cbranch_execz .LBB6_12832
.LBB6_12831:                            ;   in Loop: Header=BB6_12675 Depth=3
	v_bfe_u32 v12, v11, 2, 5
	s_delay_alu instid0(VALU_DEP_1) | instskip(SKIP_1) | instid1(VALU_DEP_1)
	v_cmp_eq_u32_e32 vcc_lo, 0, v12
	v_and_b32_e32 v8, 3, v11
	v_clz_i32_u32_e32 v9, v8
	s_delay_alu instid0(VALU_DEP_1) | instskip(NEXT) | instid1(VALU_DEP_1)
	v_min_u32_e32 v9, 32, v9
	v_subrev_nc_u32_e32 v10, 29, v9
	v_sub_nc_u32_e32 v9, 30, v9
	s_delay_alu instid0(VALU_DEP_1) | instskip(NEXT) | instid1(VALU_DEP_1)
	v_dual_cndmask_b32 v9, v12, v9 :: v_dual_lshlrev_b32 v10, v10, v11
	v_and_b32_e32 v10, 3, v10
	v_lshlrev_b32_e32 v13, 24, v11
	s_delay_alu instid0(VALU_DEP_3) | instskip(NEXT) | instid1(VALU_DEP_3)
	v_lshl_add_u32 v9, v9, 23, 0x37800000
	v_cndmask_b32_e32 v8, v8, v10, vcc_lo
	s_delay_alu instid0(VALU_DEP_3) | instskip(NEXT) | instid1(VALU_DEP_2)
	v_and_b32_e32 v10, 0x80000000, v13
	v_lshlrev_b32_e32 v8, 21, v8
	s_delay_alu instid0(VALU_DEP_1)
	v_or3_b32 v8, v10, v9, v8
.LBB6_12832:                            ;   in Loop: Header=BB6_12675 Depth=3
	s_or_b32 exec_lo, exec_lo, s30
	s_delay_alu instid0(VALU_DEP_1) | instskip(SKIP_2) | instid1(VALU_DEP_2)
	v_mul_f32_e32 v8, s17, v8
	v_mov_b32_e32 v104, 0x80
	s_mov_b32 s30, exec_lo
	v_and_b32_e32 v9, 0x7f800000, v8
	s_delay_alu instid0(VALU_DEP_1)
	v_cmpx_ne_u32_e32 0x7f800000, v9
	s_cbranch_execz .LBB6_12840
; %bb.12833:                            ;   in Loop: Header=BB6_12675 Depth=3
	v_mov_b32_e32 v104, 0
	s_mov_b32 s31, exec_lo
	v_cmpx_ne_u32_e32 0, v8
	s_cbranch_execz .LBB6_12839
; %bb.12834:                            ;   in Loop: Header=BB6_12675 Depth=3
	v_bfe_u32 v9, v8, 23, 8
	v_and_b32_e32 v10, 0x7fffff, v8
	s_delay_alu instid0(VALU_DEP_2) | instskip(SKIP_1) | instid1(VALU_DEP_3)
	v_sub_nc_u32_e32 v12, 0x70, v9
	v_cmp_gt_u32_e32 vcc_lo, 0x71, v9
	v_or_b32_e32 v13, 0x800000, v10
	s_delay_alu instid0(VALU_DEP_3) | instskip(SKIP_2) | instid1(VALU_DEP_3)
	v_cndmask_b32_e32 v12, 0, v12, vcc_lo
	v_cmp_eq_u32_e32 vcc_lo, 0, v9
	v_add_nc_u32_e32 v9, 0xffffff91, v9
	v_cndmask_b32_e64 v12, v12, 0x6f, vcc_lo
	v_cndmask_b32_e32 v10, v13, v10, vcc_lo
	s_delay_alu instid0(VALU_DEP_3) | instskip(NEXT) | instid1(VALU_DEP_3)
	v_cndmask_b32_e64 v9, v9, 0xffffff92, vcc_lo
	v_lshl_add_u32 v13, 0x200000, v12, -1
	s_delay_alu instid0(VALU_DEP_3) | instskip(SKIP_1) | instid1(VALU_DEP_4)
	v_lshrrev_b32_e32 v14, v12, v10
	v_lshlrev_b32_e64 v16, v12, 0x100000
	v_add_nc_u32_e32 v12, v12, v9
	s_delay_alu instid0(VALU_DEP_4) | instskip(NEXT) | instid1(VALU_DEP_4)
	v_and_b32_e32 v10, v13, v10
	v_bfe_u32 v15, v14, 21, 1
	s_delay_alu instid0(VALU_DEP_2) | instskip(NEXT) | instid1(VALU_DEP_2)
	v_cmp_eq_u32_e64 s13, v10, v16
	v_add_nc_u32_e32 v13, -1, v15
	s_delay_alu instid0(VALU_DEP_1) | instskip(SKIP_2) | instid1(VALU_DEP_2)
	v_cndmask_b32_e64 v10, 0, v13, s13
	v_lshrrev_b32_e32 v13, 23, v14
	s_mov_b32 s13, exec_lo
	v_add_nc_u32_e32 v10, v10, v14
	s_delay_alu instid0(VALU_DEP_2) | instskip(NEXT) | instid1(VALU_DEP_2)
	v_xor_b32_e32 v13, 1, v13
	v_and_b32_e32 v9, 0x1fffff, v10
	s_delay_alu instid0(VALU_DEP_1) | instskip(NEXT) | instid1(VALU_DEP_3)
	v_add_nc_u32_e32 v10, v9, v14
                                        ; implicit-def: $vgpr9
	v_cmpx_ne_u32_e64 v12, v13
	s_xor_b32 s13, exec_lo, s13
; %bb.12835:                            ;   in Loop: Header=BB6_12675 Depth=3
	s_delay_alu instid0(VALU_DEP_2) | instskip(SKIP_2) | instid1(VALU_DEP_2)
	v_cmp_lt_u32_e32 vcc_lo, 0xffffff, v10
	v_sub_nc_u32_e32 v9, v12, v13
	v_cndmask_b32_e64 v12, 0, 1, vcc_lo
	v_add_co_ci_u32_e32 v9, vcc_lo, 0, v9, vcc_lo
	s_delay_alu instid0(VALU_DEP_2)
	v_lshrrev_b32_e32 v10, v12, v10
; %bb.12836:                            ;   in Loop: Header=BB6_12675 Depth=3
	s_and_not1_saveexec_b32 s13, s13
; %bb.12837:                            ;   in Loop: Header=BB6_12675 Depth=3
	s_delay_alu instid0(VALU_DEP_1)
	v_bfe_u32 v9, v10, 23, 1
; %bb.12838:                            ;   in Loop: Header=BB6_12675 Depth=3
	s_or_b32 exec_lo, exec_lo, s13
	v_lshrrev_b32_e32 v10, 21, v10
	s_delay_alu instid0(VALU_DEP_2) | instskip(SKIP_2) | instid1(VALU_DEP_4)
	v_cmp_gt_i32_e32 vcc_lo, 32, v9
	v_min_i32_e32 v12, 31, v9
	v_lshrrev_b32_e32 v8, 24, v8
	v_cndmask_b32_e32 v10, 3, v10, vcc_lo
	s_delay_alu instid0(VALU_DEP_3) | instskip(NEXT) | instid1(VALU_DEP_3)
	v_lshlrev_b32_e32 v12, 2, v12
	v_and_b32_e32 v8, 0x80, v8
	s_delay_alu instid0(VALU_DEP_3) | instskip(NEXT) | instid1(VALU_DEP_3)
	v_or_b32_e32 v9, v9, v10
	v_and_b32_e32 v12, 0xfc, v12
	s_delay_alu instid0(VALU_DEP_2) | instskip(SKIP_1) | instid1(VALU_DEP_1)
	v_cmp_ne_u32_e32 vcc_lo, 0, v9
	v_and_b32_e32 v13, 3, v10
	v_or3_b32 v8, v12, v8, v13
	s_delay_alu instid0(VALU_DEP_1)
	v_cndmask_b32_e32 v104, 0, v8, vcc_lo
.LBB6_12839:                            ;   in Loop: Header=BB6_12675 Depth=3
	s_or_b32 exec_lo, exec_lo, s31
.LBB6_12840:                            ;   in Loop: Header=BB6_12675 Depth=3
	s_delay_alu instid0(SALU_CYCLE_1) | instskip(SKIP_3) | instid1(VALU_DEP_1)
	s_or_b32 exec_lo, exec_lo, s30
	v_lshrrev_b16 v8, 8, v11
	s_mov_b32 s13, 0
	s_mov_b32 s31, exec_lo
                                        ; implicit-def: $sgpr30
	v_cmpx_lt_i16_e32 0x7f, v8
	s_xor_b32 s31, exec_lo, s31
	s_cbranch_execnz .LBB6_14526
; %bb.12841:                            ;   in Loop: Header=BB6_12675 Depth=3
	s_or_saveexec_b32 s31, s31
	v_mov_b32_e32 v9, s30
	s_xor_b32 exec_lo, exec_lo, s31
	s_cbranch_execnz .LBB6_14529
.LBB6_12842:                            ;   in Loop: Header=BB6_12675 Depth=3
	s_or_b32 exec_lo, exec_lo, s31
	s_and_saveexec_b32 s30, s13
	s_cbranch_execz .LBB6_12844
.LBB6_12843:                            ;   in Loop: Header=BB6_12675 Depth=3
	v_and_b32_e32 v9, 0xffff, v8
	v_lshlrev_b32_e32 v8, 24, v8
	s_delay_alu instid0(VALU_DEP_2) | instskip(NEXT) | instid1(VALU_DEP_2)
	v_and_b32_e32 v10, 3, v9
	v_and_b32_e32 v8, 0x80000000, v8
	s_delay_alu instid0(VALU_DEP_2) | instskip(NEXT) | instid1(VALU_DEP_1)
	v_clz_i32_u32_e32 v12, v10
	v_min_u32_e32 v12, 32, v12
	s_delay_alu instid0(VALU_DEP_1) | instskip(SKIP_1) | instid1(VALU_DEP_2)
	v_subrev_nc_u32_e32 v13, 29, v12
	v_sub_nc_u32_e32 v12, 30, v12
	v_lshlrev_b32_e32 v13, v13, v9
	v_bfe_u32 v9, v9, 2, 5
	s_delay_alu instid0(VALU_DEP_2) | instskip(NEXT) | instid1(VALU_DEP_2)
	v_and_b32_e32 v13, 3, v13
	v_cmp_eq_u32_e32 vcc_lo, 0, v9
	s_delay_alu instid0(VALU_DEP_2) | instskip(NEXT) | instid1(VALU_DEP_1)
	v_dual_cndmask_b32 v9, v9, v12 :: v_dual_cndmask_b32 v10, v10, v13
	v_lshl_add_u32 v9, v9, 23, 0x37800000
	s_delay_alu instid0(VALU_DEP_2) | instskip(NEXT) | instid1(VALU_DEP_1)
	v_lshlrev_b32_e32 v10, 21, v10
	v_or3_b32 v9, v8, v9, v10
.LBB6_12844:                            ;   in Loop: Header=BB6_12675 Depth=3
	s_or_b32 exec_lo, exec_lo, s30
	s_delay_alu instid0(VALU_DEP_1) | instskip(SKIP_2) | instid1(VALU_DEP_2)
	v_mul_f32_e32 v8, s17, v9
	v_mov_b32_e32 v124, 0x8000
	s_mov_b32 s30, exec_lo
	v_and_b32_e32 v9, 0x7f800000, v8
	s_delay_alu instid0(VALU_DEP_1)
	v_cmpx_ne_u32_e32 0x7f800000, v9
	s_cbranch_execz .LBB6_12852
; %bb.12845:                            ;   in Loop: Header=BB6_12675 Depth=3
	v_mov_b32_e32 v124, 0
	s_mov_b32 s31, exec_lo
	v_cmpx_ne_u32_e32 0, v8
	s_cbranch_execz .LBB6_12851
; %bb.12846:                            ;   in Loop: Header=BB6_12675 Depth=3
	v_bfe_u32 v9, v8, 23, 8
	v_and_b32_e32 v10, 0x7fffff, v8
	s_delay_alu instid0(VALU_DEP_2) | instskip(SKIP_1) | instid1(VALU_DEP_3)
	v_sub_nc_u32_e32 v12, 0x70, v9
	v_cmp_gt_u32_e32 vcc_lo, 0x71, v9
	v_or_b32_e32 v13, 0x800000, v10
	s_delay_alu instid0(VALU_DEP_3) | instskip(SKIP_2) | instid1(VALU_DEP_3)
	v_cndmask_b32_e32 v12, 0, v12, vcc_lo
	v_cmp_eq_u32_e32 vcc_lo, 0, v9
	v_add_nc_u32_e32 v9, 0xffffff91, v9
	v_cndmask_b32_e64 v12, v12, 0x6f, vcc_lo
	v_cndmask_b32_e32 v10, v13, v10, vcc_lo
	s_delay_alu instid0(VALU_DEP_3) | instskip(NEXT) | instid1(VALU_DEP_3)
	v_cndmask_b32_e64 v9, v9, 0xffffff92, vcc_lo
	v_lshl_add_u32 v13, 0x200000, v12, -1
	s_delay_alu instid0(VALU_DEP_3) | instskip(SKIP_1) | instid1(VALU_DEP_4)
	v_lshrrev_b32_e32 v14, v12, v10
	v_lshlrev_b32_e64 v16, v12, 0x100000
	v_add_nc_u32_e32 v12, v12, v9
	s_delay_alu instid0(VALU_DEP_4) | instskip(NEXT) | instid1(VALU_DEP_4)
	v_and_b32_e32 v10, v13, v10
	v_bfe_u32 v15, v14, 21, 1
	s_delay_alu instid0(VALU_DEP_2) | instskip(NEXT) | instid1(VALU_DEP_2)
	v_cmp_eq_u32_e64 s13, v10, v16
	v_add_nc_u32_e32 v13, -1, v15
	s_delay_alu instid0(VALU_DEP_1) | instskip(SKIP_2) | instid1(VALU_DEP_2)
	v_cndmask_b32_e64 v10, 0, v13, s13
	v_lshrrev_b32_e32 v13, 23, v14
	s_mov_b32 s13, exec_lo
	v_add_nc_u32_e32 v10, v10, v14
	s_delay_alu instid0(VALU_DEP_2) | instskip(NEXT) | instid1(VALU_DEP_2)
	v_xor_b32_e32 v13, 1, v13
	v_and_b32_e32 v9, 0x1fffff, v10
	s_delay_alu instid0(VALU_DEP_1) | instskip(NEXT) | instid1(VALU_DEP_3)
	v_add_nc_u32_e32 v10, v9, v14
                                        ; implicit-def: $vgpr9
	v_cmpx_ne_u32_e64 v12, v13
	s_xor_b32 s13, exec_lo, s13
; %bb.12847:                            ;   in Loop: Header=BB6_12675 Depth=3
	s_delay_alu instid0(VALU_DEP_2) | instskip(SKIP_2) | instid1(VALU_DEP_2)
	v_cmp_lt_u32_e32 vcc_lo, 0xffffff, v10
	v_sub_nc_u32_e32 v9, v12, v13
	v_cndmask_b32_e64 v12, 0, 1, vcc_lo
	v_add_co_ci_u32_e32 v9, vcc_lo, 0, v9, vcc_lo
	s_delay_alu instid0(VALU_DEP_2)
	v_lshrrev_b32_e32 v10, v12, v10
; %bb.12848:                            ;   in Loop: Header=BB6_12675 Depth=3
	s_and_not1_saveexec_b32 s13, s13
; %bb.12849:                            ;   in Loop: Header=BB6_12675 Depth=3
	s_delay_alu instid0(VALU_DEP_1)
	v_bfe_u32 v9, v10, 23, 1
; %bb.12850:                            ;   in Loop: Header=BB6_12675 Depth=3
	s_or_b32 exec_lo, exec_lo, s13
	v_lshrrev_b32_e32 v10, 21, v10
	s_delay_alu instid0(VALU_DEP_2) | instskip(SKIP_2) | instid1(VALU_DEP_4)
	v_cmp_gt_i32_e32 vcc_lo, 32, v9
	v_min_i32_e32 v12, 31, v9
	v_lshrrev_b32_e32 v8, 24, v8
	v_cndmask_b32_e32 v10, 3, v10, vcc_lo
	s_delay_alu instid0(VALU_DEP_3) | instskip(NEXT) | instid1(VALU_DEP_3)
	v_lshlrev_b32_e32 v12, 2, v12
	v_and_b32_e32 v8, 0x80, v8
	s_delay_alu instid0(VALU_DEP_3) | instskip(NEXT) | instid1(VALU_DEP_3)
	v_or_b32_e32 v9, v9, v10
	v_and_b32_e32 v12, 0xfc, v12
	s_delay_alu instid0(VALU_DEP_2) | instskip(SKIP_1) | instid1(VALU_DEP_1)
	v_cmp_ne_u32_e32 vcc_lo, 0, v9
	v_and_b32_e32 v13, 3, v10
	v_or3_b32 v8, v8, v12, v13
	s_delay_alu instid0(VALU_DEP_1) | instskip(NEXT) | instid1(VALU_DEP_1)
	v_lshlrev_b32_e32 v8, 8, v8
	v_cndmask_b32_e32 v124, 0, v8, vcc_lo
.LBB6_12851:                            ;   in Loop: Header=BB6_12675 Depth=3
	s_or_b32 exec_lo, exec_lo, s31
.LBB6_12852:                            ;   in Loop: Header=BB6_12675 Depth=3
	s_delay_alu instid0(SALU_CYCLE_1) | instskip(SKIP_3) | instid1(VALU_DEP_1)
	s_or_b32 exec_lo, exec_lo, s30
	v_lshrrev_b32_e32 v8, 16, v11
	s_mov_b32 s13, 0
	s_mov_b32 s31, exec_lo
                                        ; implicit-def: $sgpr30
	v_and_b32_e32 v10, 0xff, v8
	s_delay_alu instid0(VALU_DEP_1)
	v_cmpx_lt_i16_e32 0x7f, v10
	s_xor_b32 s31, exec_lo, s31
	s_cbranch_execnz .LBB6_14530
; %bb.12853:                            ;   in Loop: Header=BB6_12675 Depth=3
	s_or_saveexec_b32 s31, s31
	v_mov_b32_e32 v9, s30
	s_xor_b32 exec_lo, exec_lo, s31
	s_cbranch_execnz .LBB6_14533
.LBB6_12854:                            ;   in Loop: Header=BB6_12675 Depth=3
	s_or_b32 exec_lo, exec_lo, s31
	s_and_saveexec_b32 s30, s13
	s_cbranch_execz .LBB6_12856
.LBB6_12855:                            ;   in Loop: Header=BB6_12675 Depth=3
	v_bfe_u32 v9, v11, 16, 2
	s_delay_alu instid0(VALU_DEP_1) | instskip(NEXT) | instid1(VALU_DEP_1)
	v_clz_i32_u32_e32 v10, v9
	v_min_u32_e32 v10, 32, v10
	s_delay_alu instid0(VALU_DEP_1) | instskip(SKIP_1) | instid1(VALU_DEP_2)
	v_subrev_nc_u32_e32 v12, 29, v10
	v_sub_nc_u32_e32 v10, 30, v10
	v_lshlrev_b32_e32 v8, v12, v8
	v_bfe_u32 v12, v11, 18, 5
	s_delay_alu instid0(VALU_DEP_2) | instskip(NEXT) | instid1(VALU_DEP_2)
	v_and_b32_e32 v8, 3, v8
	v_cmp_eq_u32_e32 vcc_lo, 0, v12
	v_dual_cndmask_b32 v10, v12, v10 :: v_dual_lshlrev_b32 v13, 8, v11
	s_delay_alu instid0(VALU_DEP_1) | instskip(NEXT) | instid1(VALU_DEP_2)
	v_dual_cndmask_b32 v8, v9, v8 :: v_dual_and_b32 v9, 0x80000000, v13
	v_lshl_add_u32 v10, v10, 23, 0x37800000
	s_delay_alu instid0(VALU_DEP_2) | instskip(NEXT) | instid1(VALU_DEP_1)
	v_lshlrev_b32_e32 v8, 21, v8
	v_or3_b32 v9, v9, v10, v8
.LBB6_12856:                            ;   in Loop: Header=BB6_12675 Depth=3
	s_or_b32 exec_lo, exec_lo, s30
	s_delay_alu instid0(VALU_DEP_1) | instskip(SKIP_1) | instid1(VALU_DEP_1)
	v_dual_mul_f32 v8, s17, v9 :: v_dual_mov_b32 v121, 0x80
	s_mov_b32 s30, exec_lo
	v_and_b32_e32 v9, 0x7f800000, v8
	s_delay_alu instid0(VALU_DEP_1)
	v_cmpx_ne_u32_e32 0x7f800000, v9
	s_cbranch_execz .LBB6_12864
; %bb.12857:                            ;   in Loop: Header=BB6_12675 Depth=3
	v_mov_b32_e32 v121, 0
	s_mov_b32 s31, exec_lo
	v_cmpx_ne_u32_e32 0, v8
	s_cbranch_execz .LBB6_12863
; %bb.12858:                            ;   in Loop: Header=BB6_12675 Depth=3
	v_bfe_u32 v9, v8, 23, 8
	v_and_b32_e32 v10, 0x7fffff, v8
	s_delay_alu instid0(VALU_DEP_2) | instskip(SKIP_1) | instid1(VALU_DEP_3)
	v_sub_nc_u32_e32 v12, 0x70, v9
	v_cmp_gt_u32_e32 vcc_lo, 0x71, v9
	v_or_b32_e32 v13, 0x800000, v10
	s_delay_alu instid0(VALU_DEP_3) | instskip(SKIP_2) | instid1(VALU_DEP_3)
	v_cndmask_b32_e32 v12, 0, v12, vcc_lo
	v_cmp_eq_u32_e32 vcc_lo, 0, v9
	v_add_nc_u32_e32 v9, 0xffffff91, v9
	v_cndmask_b32_e64 v12, v12, 0x6f, vcc_lo
	v_cndmask_b32_e32 v10, v13, v10, vcc_lo
	s_delay_alu instid0(VALU_DEP_3) | instskip(NEXT) | instid1(VALU_DEP_3)
	v_cndmask_b32_e64 v9, v9, 0xffffff92, vcc_lo
	v_lshl_add_u32 v13, 0x200000, v12, -1
	s_delay_alu instid0(VALU_DEP_3) | instskip(SKIP_1) | instid1(VALU_DEP_4)
	v_lshrrev_b32_e32 v14, v12, v10
	v_lshlrev_b32_e64 v16, v12, 0x100000
	v_add_nc_u32_e32 v12, v12, v9
	s_delay_alu instid0(VALU_DEP_4) | instskip(NEXT) | instid1(VALU_DEP_4)
	v_and_b32_e32 v10, v13, v10
	v_bfe_u32 v15, v14, 21, 1
	s_delay_alu instid0(VALU_DEP_2) | instskip(NEXT) | instid1(VALU_DEP_2)
	v_cmp_eq_u32_e64 s13, v10, v16
	v_add_nc_u32_e32 v13, -1, v15
	s_delay_alu instid0(VALU_DEP_1) | instskip(SKIP_2) | instid1(VALU_DEP_2)
	v_cndmask_b32_e64 v10, 0, v13, s13
	v_lshrrev_b32_e32 v13, 23, v14
	s_mov_b32 s13, exec_lo
	v_add_nc_u32_e32 v10, v10, v14
	s_delay_alu instid0(VALU_DEP_2) | instskip(NEXT) | instid1(VALU_DEP_2)
	v_xor_b32_e32 v13, 1, v13
	v_and_b32_e32 v9, 0x1fffff, v10
	s_delay_alu instid0(VALU_DEP_1) | instskip(NEXT) | instid1(VALU_DEP_3)
	v_add_nc_u32_e32 v10, v9, v14
                                        ; implicit-def: $vgpr9
	v_cmpx_ne_u32_e64 v12, v13
	s_xor_b32 s13, exec_lo, s13
; %bb.12859:                            ;   in Loop: Header=BB6_12675 Depth=3
	s_delay_alu instid0(VALU_DEP_2) | instskip(SKIP_2) | instid1(VALU_DEP_2)
	v_cmp_lt_u32_e32 vcc_lo, 0xffffff, v10
	v_sub_nc_u32_e32 v9, v12, v13
	v_cndmask_b32_e64 v12, 0, 1, vcc_lo
	v_add_co_ci_u32_e32 v9, vcc_lo, 0, v9, vcc_lo
	s_delay_alu instid0(VALU_DEP_2)
	v_lshrrev_b32_e32 v10, v12, v10
; %bb.12860:                            ;   in Loop: Header=BB6_12675 Depth=3
	s_and_not1_saveexec_b32 s13, s13
; %bb.12861:                            ;   in Loop: Header=BB6_12675 Depth=3
	s_delay_alu instid0(VALU_DEP_1)
	v_bfe_u32 v9, v10, 23, 1
; %bb.12862:                            ;   in Loop: Header=BB6_12675 Depth=3
	s_or_b32 exec_lo, exec_lo, s13
	v_lshrrev_b32_e32 v10, 21, v10
	s_delay_alu instid0(VALU_DEP_2) | instskip(SKIP_2) | instid1(VALU_DEP_3)
	v_min_i32_e32 v12, 31, v9
	v_cmp_gt_i32_e32 vcc_lo, 32, v9
	v_lshrrev_b32_e32 v8, 24, v8
	v_lshlrev_b32_e32 v12, 2, v12
	v_cndmask_b32_e32 v10, 3, v10, vcc_lo
	s_delay_alu instid0(VALU_DEP_3) | instskip(NEXT) | instid1(VALU_DEP_3)
	v_and_b32_e32 v8, 0x80, v8
	v_and_b32_e32 v12, 0xfc, v12
	s_delay_alu instid0(VALU_DEP_3) | instskip(SKIP_1) | instid1(VALU_DEP_2)
	v_and_b32_e32 v13, 3, v10
	v_or_b32_e32 v9, v9, v10
	v_or3_b32 v8, v12, v8, v13
	s_delay_alu instid0(VALU_DEP_2) | instskip(NEXT) | instid1(VALU_DEP_2)
	v_cmp_ne_u32_e32 vcc_lo, 0, v9
	v_cndmask_b32_e32 v121, 0, v8, vcc_lo
.LBB6_12863:                            ;   in Loop: Header=BB6_12675 Depth=3
	s_or_b32 exec_lo, exec_lo, s31
.LBB6_12864:                            ;   in Loop: Header=BB6_12675 Depth=3
	s_delay_alu instid0(SALU_CYCLE_1) | instskip(SKIP_3) | instid1(VALU_DEP_1)
	s_or_b32 exec_lo, exec_lo, s30
	v_lshrrev_b32_e32 v8, 24, v11
	s_mov_b32 s13, 0
	s_mov_b32 s31, exec_lo
                                        ; implicit-def: $sgpr30
	v_cmpx_lt_i16_e32 0x7f, v8
	s_xor_b32 s31, exec_lo, s31
	s_cbranch_execnz .LBB6_14534
; %bb.12865:                            ;   in Loop: Header=BB6_12675 Depth=3
	s_or_saveexec_b32 s31, s31
	v_mov_b32_e32 v9, s30
	s_xor_b32 exec_lo, exec_lo, s31
	s_cbranch_execnz .LBB6_14537
.LBB6_12866:                            ;   in Loop: Header=BB6_12675 Depth=3
	s_or_b32 exec_lo, exec_lo, s31
	s_and_saveexec_b32 s30, s13
	s_cbranch_execz .LBB6_12868
.LBB6_12867:                            ;   in Loop: Header=BB6_12675 Depth=3
	v_bfe_u32 v9, v11, 24, 2
	s_delay_alu instid0(VALU_DEP_1) | instskip(NEXT) | instid1(VALU_DEP_1)
	v_clz_i32_u32_e32 v10, v9
	v_min_u32_e32 v10, 32, v10
	s_delay_alu instid0(VALU_DEP_1) | instskip(SKIP_1) | instid1(VALU_DEP_2)
	v_subrev_nc_u32_e32 v12, 29, v10
	v_sub_nc_u32_e32 v10, 30, v10
	v_lshlrev_b32_e32 v8, v12, v8
	v_bfe_u32 v12, v11, 26, 5
	s_delay_alu instid0(VALU_DEP_2) | instskip(NEXT) | instid1(VALU_DEP_2)
	v_and_b32_e32 v8, 3, v8
	v_cmp_eq_u32_e32 vcc_lo, 0, v12
	v_cndmask_b32_e32 v10, v12, v10, vcc_lo
	s_delay_alu instid0(VALU_DEP_3) | instskip(NEXT) | instid1(VALU_DEP_2)
	v_dual_cndmask_b32 v8, v9, v8 :: v_dual_and_b32 v9, 0x80000000, v11
	v_lshl_add_u32 v10, v10, 23, 0x37800000
	s_delay_alu instid0(VALU_DEP_2) | instskip(NEXT) | instid1(VALU_DEP_1)
	v_lshlrev_b32_e32 v8, 21, v8
	v_or3_b32 v9, v9, v10, v8
.LBB6_12868:                            ;   in Loop: Header=BB6_12675 Depth=3
	s_or_b32 exec_lo, exec_lo, s30
	s_delay_alu instid0(VALU_DEP_1) | instskip(SKIP_1) | instid1(VALU_DEP_1)
	v_dual_mul_f32 v8, s17, v9 :: v_dual_mov_b32 v123, 0x8000
	s_mov_b32 s30, exec_lo
	v_and_b32_e32 v9, 0x7f800000, v8
	s_delay_alu instid0(VALU_DEP_1)
	v_cmpx_ne_u32_e32 0x7f800000, v9
	s_cbranch_execz .LBB6_12876
; %bb.12869:                            ;   in Loop: Header=BB6_12675 Depth=3
	v_mov_b32_e32 v123, 0
	s_mov_b32 s31, exec_lo
	v_cmpx_ne_u32_e32 0, v8
	s_cbranch_execz .LBB6_12875
; %bb.12870:                            ;   in Loop: Header=BB6_12675 Depth=3
	v_bfe_u32 v9, v8, 23, 8
	s_delay_alu instid0(VALU_DEP_1) | instskip(SKIP_1) | instid1(VALU_DEP_2)
	v_sub_nc_u32_e32 v11, 0x70, v9
	v_cmp_gt_u32_e32 vcc_lo, 0x71, v9
	v_dual_cndmask_b32 v11, 0, v11 :: v_dual_and_b32 v10, 0x7fffff, v8
	s_delay_alu instid0(VALU_DEP_1) | instskip(SKIP_2) | instid1(VALU_DEP_4)
	v_or_b32_e32 v12, 0x800000, v10
	v_cmp_eq_u32_e32 vcc_lo, 0, v9
	v_add_nc_u32_e32 v9, 0xffffff91, v9
	v_cndmask_b32_e64 v11, v11, 0x6f, vcc_lo
	s_delay_alu instid0(VALU_DEP_4) | instskip(NEXT) | instid1(VALU_DEP_3)
	v_cndmask_b32_e32 v10, v12, v10, vcc_lo
	v_cndmask_b32_e64 v9, v9, 0xffffff92, vcc_lo
	s_delay_alu instid0(VALU_DEP_3) | instskip(NEXT) | instid1(VALU_DEP_3)
	v_lshl_add_u32 v12, 0x200000, v11, -1
	v_lshrrev_b32_e32 v13, v11, v10
	v_lshlrev_b32_e64 v15, v11, 0x100000
	s_delay_alu instid0(VALU_DEP_4) | instskip(NEXT) | instid1(VALU_DEP_4)
	v_add_nc_u32_e32 v11, v11, v9
	v_and_b32_e32 v10, v12, v10
	s_delay_alu instid0(VALU_DEP_4) | instskip(NEXT) | instid1(VALU_DEP_2)
	v_bfe_u32 v14, v13, 21, 1
	v_cmp_eq_u32_e64 s13, v10, v15
	s_delay_alu instid0(VALU_DEP_2) | instskip(NEXT) | instid1(VALU_DEP_1)
	v_add_nc_u32_e32 v12, -1, v14
	v_cndmask_b32_e64 v10, 0, v12, s13
	v_lshrrev_b32_e32 v12, 23, v13
	s_mov_b32 s13, exec_lo
	s_delay_alu instid0(VALU_DEP_2) | instskip(NEXT) | instid1(VALU_DEP_2)
	v_add_nc_u32_e32 v10, v10, v13
	v_xor_b32_e32 v12, 1, v12
	s_delay_alu instid0(VALU_DEP_2) | instskip(NEXT) | instid1(VALU_DEP_1)
	v_and_b32_e32 v9, 0x1fffff, v10
	v_add_nc_u32_e32 v10, v9, v13
                                        ; implicit-def: $vgpr9
	s_delay_alu instid0(VALU_DEP_3)
	v_cmpx_ne_u32_e64 v11, v12
	s_xor_b32 s13, exec_lo, s13
; %bb.12871:                            ;   in Loop: Header=BB6_12675 Depth=3
	s_delay_alu instid0(VALU_DEP_2) | instskip(SKIP_2) | instid1(VALU_DEP_2)
	v_cmp_lt_u32_e32 vcc_lo, 0xffffff, v10
	v_sub_nc_u32_e32 v9, v11, v12
	v_cndmask_b32_e64 v11, 0, 1, vcc_lo
	v_add_co_ci_u32_e32 v9, vcc_lo, 0, v9, vcc_lo
	s_delay_alu instid0(VALU_DEP_2)
	v_lshrrev_b32_e32 v10, v11, v10
; %bb.12872:                            ;   in Loop: Header=BB6_12675 Depth=3
	s_and_not1_saveexec_b32 s13, s13
; %bb.12873:                            ;   in Loop: Header=BB6_12675 Depth=3
	s_delay_alu instid0(VALU_DEP_1)
	v_bfe_u32 v9, v10, 23, 1
; %bb.12874:                            ;   in Loop: Header=BB6_12675 Depth=3
	s_or_b32 exec_lo, exec_lo, s13
	v_lshrrev_b32_e32 v10, 21, v10
	s_delay_alu instid0(VALU_DEP_2) | instskip(SKIP_2) | instid1(VALU_DEP_2)
	v_cmp_gt_i32_e32 vcc_lo, 32, v9
	v_min_i32_e32 v11, 31, v9
	v_lshrrev_b32_e32 v8, 24, v8
	v_dual_cndmask_b32 v10, 3, v10 :: v_dual_lshlrev_b32 v11, 2, v11
	s_delay_alu instid0(VALU_DEP_2) | instskip(NEXT) | instid1(VALU_DEP_2)
	v_and_b32_e32 v8, 0x80, v8
	v_or_b32_e32 v9, v9, v10
	s_delay_alu instid0(VALU_DEP_3) | instskip(NEXT) | instid1(VALU_DEP_2)
	v_and_b32_e32 v11, 0xfc, v11
	v_cmp_ne_u32_e32 vcc_lo, 0, v9
	v_and_b32_e32 v12, 3, v10
	s_delay_alu instid0(VALU_DEP_1) | instskip(NEXT) | instid1(VALU_DEP_1)
	v_or3_b32 v8, v8, v11, v12
	v_lshlrev_b32_e32 v8, 8, v8
	s_delay_alu instid0(VALU_DEP_1)
	v_cndmask_b32_e32 v123, 0, v8, vcc_lo
.LBB6_12875:                            ;   in Loop: Header=BB6_12675 Depth=3
	s_or_b32 exec_lo, exec_lo, s31
.LBB6_12876:                            ;   in Loop: Header=BB6_12675 Depth=3
	s_delay_alu instid0(SALU_CYCLE_1)
	s_or_b32 exec_lo, exec_lo, s30
	global_load_b128 v[8:11], v[69:70], off offset:512 slc dlc
	s_mov_b32 s13, 0
	s_mov_b32 s31, exec_lo
                                        ; implicit-def: $sgpr30
	s_waitcnt vmcnt(0)
	v_and_b32_e32 v13, 0xff, v8
	s_delay_alu instid0(VALU_DEP_1)
	v_cmpx_lt_i16_e32 0x7f, v13
	s_xor_b32 s31, exec_lo, s31
	s_cbranch_execnz .LBB6_14538
; %bb.12877:                            ;   in Loop: Header=BB6_12675 Depth=3
	s_or_saveexec_b32 s31, s31
	v_mov_b32_e32 v12, s30
	s_xor_b32 exec_lo, exec_lo, s31
	s_cbranch_execnz .LBB6_14541
.LBB6_12878:                            ;   in Loop: Header=BB6_12675 Depth=3
	s_or_b32 exec_lo, exec_lo, s31
	s_and_saveexec_b32 s30, s13
	s_cbranch_execz .LBB6_12880
.LBB6_12879:                            ;   in Loop: Header=BB6_12675 Depth=3
	v_bfe_u32 v15, v8, 2, 5
	v_lshlrev_b32_e32 v16, 24, v8
	s_delay_alu instid0(VALU_DEP_2) | instskip(SKIP_1) | instid1(VALU_DEP_1)
	v_cmp_eq_u32_e32 vcc_lo, 0, v15
	v_and_b32_e32 v12, 3, v8
	v_clz_i32_u32_e32 v13, v12
	s_delay_alu instid0(VALU_DEP_1) | instskip(NEXT) | instid1(VALU_DEP_1)
	v_min_u32_e32 v13, 32, v13
	v_subrev_nc_u32_e32 v14, 29, v13
	v_sub_nc_u32_e32 v13, 30, v13
	s_delay_alu instid0(VALU_DEP_1) | instskip(NEXT) | instid1(VALU_DEP_1)
	v_dual_cndmask_b32 v13, v15, v13 :: v_dual_lshlrev_b32 v14, v14, v8
	v_and_b32_e32 v14, 3, v14
	s_delay_alu instid0(VALU_DEP_2) | instskip(NEXT) | instid1(VALU_DEP_2)
	v_lshl_add_u32 v13, v13, 23, 0x37800000
	v_cndmask_b32_e32 v12, v12, v14, vcc_lo
	v_and_b32_e32 v14, 0x80000000, v16
	s_delay_alu instid0(VALU_DEP_2) | instskip(NEXT) | instid1(VALU_DEP_1)
	v_lshlrev_b32_e32 v12, 21, v12
	v_or3_b32 v12, v14, v13, v12
.LBB6_12880:                            ;   in Loop: Header=BB6_12675 Depth=3
	s_or_b32 exec_lo, exec_lo, s30
	s_delay_alu instid0(VALU_DEP_1) | instskip(SKIP_2) | instid1(VALU_DEP_2)
	v_mul_f32_e32 v12, s17, v12
	v_mov_b32_e32 v122, 0x80
	s_mov_b32 s30, exec_lo
	v_and_b32_e32 v13, 0x7f800000, v12
	s_delay_alu instid0(VALU_DEP_1)
	v_cmpx_ne_u32_e32 0x7f800000, v13
	s_cbranch_execz .LBB6_12888
; %bb.12881:                            ;   in Loop: Header=BB6_12675 Depth=3
	v_mov_b32_e32 v122, 0
	s_mov_b32 s31, exec_lo
	v_cmpx_ne_u32_e32 0, v12
	s_cbranch_execz .LBB6_12887
; %bb.12882:                            ;   in Loop: Header=BB6_12675 Depth=3
	v_bfe_u32 v13, v12, 23, 8
	s_delay_alu instid0(VALU_DEP_1) | instskip(SKIP_1) | instid1(VALU_DEP_2)
	v_sub_nc_u32_e32 v15, 0x70, v13
	v_cmp_gt_u32_e32 vcc_lo, 0x71, v13
	v_dual_cndmask_b32 v15, 0, v15 :: v_dual_and_b32 v14, 0x7fffff, v12
	s_delay_alu instid0(VALU_DEP_1) | instskip(SKIP_2) | instid1(VALU_DEP_4)
	v_or_b32_e32 v16, 0x800000, v14
	v_cmp_eq_u32_e32 vcc_lo, 0, v13
	v_add_nc_u32_e32 v13, 0xffffff91, v13
	v_cndmask_b32_e64 v15, v15, 0x6f, vcc_lo
	s_delay_alu instid0(VALU_DEP_4) | instskip(NEXT) | instid1(VALU_DEP_3)
	v_cndmask_b32_e32 v14, v16, v14, vcc_lo
	v_cndmask_b32_e64 v13, v13, 0xffffff92, vcc_lo
	s_delay_alu instid0(VALU_DEP_3) | instskip(NEXT) | instid1(VALU_DEP_3)
	v_lshl_add_u32 v16, 0x200000, v15, -1
	v_lshrrev_b32_e32 v17, v15, v14
	v_lshlrev_b32_e64 v19, v15, 0x100000
	s_delay_alu instid0(VALU_DEP_4) | instskip(NEXT) | instid1(VALU_DEP_4)
	v_add_nc_u32_e32 v15, v15, v13
	v_and_b32_e32 v14, v16, v14
	s_delay_alu instid0(VALU_DEP_4) | instskip(NEXT) | instid1(VALU_DEP_2)
	v_bfe_u32 v18, v17, 21, 1
	v_cmp_eq_u32_e64 s13, v14, v19
	s_delay_alu instid0(VALU_DEP_2) | instskip(NEXT) | instid1(VALU_DEP_1)
	v_add_nc_u32_e32 v16, -1, v18
	v_cndmask_b32_e64 v14, 0, v16, s13
	v_lshrrev_b32_e32 v16, 23, v17
	s_mov_b32 s13, exec_lo
	s_delay_alu instid0(VALU_DEP_2) | instskip(NEXT) | instid1(VALU_DEP_2)
	v_add_nc_u32_e32 v14, v14, v17
	v_xor_b32_e32 v16, 1, v16
	s_delay_alu instid0(VALU_DEP_2) | instskip(NEXT) | instid1(VALU_DEP_1)
	v_and_b32_e32 v13, 0x1fffff, v14
	v_add_nc_u32_e32 v14, v13, v17
                                        ; implicit-def: $vgpr13
	s_delay_alu instid0(VALU_DEP_3)
	v_cmpx_ne_u32_e64 v15, v16
	s_xor_b32 s13, exec_lo, s13
; %bb.12883:                            ;   in Loop: Header=BB6_12675 Depth=3
	s_delay_alu instid0(VALU_DEP_2) | instskip(SKIP_2) | instid1(VALU_DEP_2)
	v_cmp_lt_u32_e32 vcc_lo, 0xffffff, v14
	v_sub_nc_u32_e32 v13, v15, v16
	v_cndmask_b32_e64 v15, 0, 1, vcc_lo
	v_add_co_ci_u32_e32 v13, vcc_lo, 0, v13, vcc_lo
	s_delay_alu instid0(VALU_DEP_2)
	v_lshrrev_b32_e32 v14, v15, v14
; %bb.12884:                            ;   in Loop: Header=BB6_12675 Depth=3
	s_and_not1_saveexec_b32 s13, s13
; %bb.12885:                            ;   in Loop: Header=BB6_12675 Depth=3
	s_delay_alu instid0(VALU_DEP_1)
	v_bfe_u32 v13, v14, 23, 1
; %bb.12886:                            ;   in Loop: Header=BB6_12675 Depth=3
	s_or_b32 exec_lo, exec_lo, s13
	v_lshrrev_b32_e32 v14, 21, v14
	s_delay_alu instid0(VALU_DEP_2) | instskip(SKIP_2) | instid1(VALU_DEP_4)
	v_cmp_gt_i32_e32 vcc_lo, 32, v13
	v_lshrrev_b32_e32 v12, 24, v12
	v_min_i32_e32 v15, 31, v13
	v_cndmask_b32_e32 v14, 3, v14, vcc_lo
	s_delay_alu instid0(VALU_DEP_3) | instskip(NEXT) | instid1(VALU_DEP_3)
	v_and_b32_e32 v12, 0x80, v12
	v_lshlrev_b32_e32 v15, 2, v15
	s_delay_alu instid0(VALU_DEP_3) | instskip(SKIP_1) | instid1(VALU_DEP_2)
	v_and_b32_e32 v16, 3, v14
	v_or_b32_e32 v13, v13, v14
	v_or3_b32 v12, v15, v12, v16
	s_delay_alu instid0(VALU_DEP_2) | instskip(NEXT) | instid1(VALU_DEP_2)
	v_cmp_ne_u32_e32 vcc_lo, 0, v13
	v_cndmask_b32_e32 v122, 0, v12, vcc_lo
.LBB6_12887:                            ;   in Loop: Header=BB6_12675 Depth=3
	s_or_b32 exec_lo, exec_lo, s31
.LBB6_12888:                            ;   in Loop: Header=BB6_12675 Depth=3
	s_delay_alu instid0(SALU_CYCLE_1) | instskip(SKIP_3) | instid1(VALU_DEP_1)
	s_or_b32 exec_lo, exec_lo, s30
	v_lshrrev_b16 v12, 8, v8
	s_mov_b32 s13, 0
	s_mov_b32 s31, exec_lo
                                        ; implicit-def: $sgpr30
	v_cmpx_lt_i16_e32 0x7f, v12
	s_xor_b32 s31, exec_lo, s31
	s_cbranch_execnz .LBB6_14542
; %bb.12889:                            ;   in Loop: Header=BB6_12675 Depth=3
	s_or_saveexec_b32 s31, s31
	v_mov_b32_e32 v13, s30
	s_xor_b32 exec_lo, exec_lo, s31
	s_cbranch_execnz .LBB6_14545
.LBB6_12890:                            ;   in Loop: Header=BB6_12675 Depth=3
	s_or_b32 exec_lo, exec_lo, s31
	s_and_saveexec_b32 s30, s13
	s_cbranch_execz .LBB6_12892
.LBB6_12891:                            ;   in Loop: Header=BB6_12675 Depth=3
	v_and_b32_e32 v13, 0xffff, v12
	v_lshlrev_b32_e32 v12, 24, v12
	s_delay_alu instid0(VALU_DEP_2) | instskip(NEXT) | instid1(VALU_DEP_2)
	v_and_b32_e32 v14, 3, v13
	v_and_b32_e32 v12, 0x80000000, v12
	s_delay_alu instid0(VALU_DEP_2) | instskip(NEXT) | instid1(VALU_DEP_1)
	v_clz_i32_u32_e32 v15, v14
	v_min_u32_e32 v15, 32, v15
	s_delay_alu instid0(VALU_DEP_1) | instskip(SKIP_1) | instid1(VALU_DEP_2)
	v_subrev_nc_u32_e32 v16, 29, v15
	v_sub_nc_u32_e32 v15, 30, v15
	v_lshlrev_b32_e32 v16, v16, v13
	v_bfe_u32 v13, v13, 2, 5
	s_delay_alu instid0(VALU_DEP_2) | instskip(NEXT) | instid1(VALU_DEP_2)
	v_and_b32_e32 v16, 3, v16
	v_cmp_eq_u32_e32 vcc_lo, 0, v13
	s_delay_alu instid0(VALU_DEP_2) | instskip(NEXT) | instid1(VALU_DEP_1)
	v_dual_cndmask_b32 v13, v13, v15 :: v_dual_cndmask_b32 v14, v14, v16
	v_lshl_add_u32 v13, v13, 23, 0x37800000
	s_delay_alu instid0(VALU_DEP_2) | instskip(NEXT) | instid1(VALU_DEP_1)
	v_lshlrev_b32_e32 v14, 21, v14
	v_or3_b32 v13, v12, v13, v14
.LBB6_12892:                            ;   in Loop: Header=BB6_12675 Depth=3
	s_or_b32 exec_lo, exec_lo, s30
	s_delay_alu instid0(VALU_DEP_1) | instskip(SKIP_1) | instid1(VALU_DEP_1)
	v_dual_mul_f32 v12, s17, v13 :: v_dual_mov_b32 v111, 0x80
	s_mov_b32 s30, exec_lo
	v_and_b32_e32 v13, 0x7f800000, v12
	s_delay_alu instid0(VALU_DEP_1)
	v_cmpx_ne_u32_e32 0x7f800000, v13
	s_cbranch_execz .LBB6_12900
; %bb.12893:                            ;   in Loop: Header=BB6_12675 Depth=3
	v_mov_b32_e32 v111, 0
	s_mov_b32 s31, exec_lo
	v_cmpx_ne_u32_e32 0, v12
	s_cbranch_execz .LBB6_12899
; %bb.12894:                            ;   in Loop: Header=BB6_12675 Depth=3
	v_bfe_u32 v13, v12, 23, 8
	s_delay_alu instid0(VALU_DEP_1) | instskip(SKIP_1) | instid1(VALU_DEP_2)
	v_sub_nc_u32_e32 v15, 0x70, v13
	v_cmp_gt_u32_e32 vcc_lo, 0x71, v13
	v_dual_cndmask_b32 v15, 0, v15 :: v_dual_and_b32 v14, 0x7fffff, v12
	s_delay_alu instid0(VALU_DEP_1) | instskip(SKIP_2) | instid1(VALU_DEP_4)
	v_or_b32_e32 v16, 0x800000, v14
	v_cmp_eq_u32_e32 vcc_lo, 0, v13
	v_add_nc_u32_e32 v13, 0xffffff91, v13
	v_cndmask_b32_e64 v15, v15, 0x6f, vcc_lo
	s_delay_alu instid0(VALU_DEP_4) | instskip(NEXT) | instid1(VALU_DEP_3)
	v_cndmask_b32_e32 v14, v16, v14, vcc_lo
	v_cndmask_b32_e64 v13, v13, 0xffffff92, vcc_lo
	s_delay_alu instid0(VALU_DEP_3) | instskip(NEXT) | instid1(VALU_DEP_3)
	v_lshl_add_u32 v16, 0x200000, v15, -1
	v_lshrrev_b32_e32 v17, v15, v14
	v_lshlrev_b32_e64 v19, v15, 0x100000
	s_delay_alu instid0(VALU_DEP_4) | instskip(NEXT) | instid1(VALU_DEP_4)
	v_add_nc_u32_e32 v15, v15, v13
	v_and_b32_e32 v14, v16, v14
	s_delay_alu instid0(VALU_DEP_4) | instskip(NEXT) | instid1(VALU_DEP_2)
	v_bfe_u32 v18, v17, 21, 1
	v_cmp_eq_u32_e64 s13, v14, v19
	s_delay_alu instid0(VALU_DEP_2) | instskip(NEXT) | instid1(VALU_DEP_1)
	v_add_nc_u32_e32 v16, -1, v18
	v_cndmask_b32_e64 v14, 0, v16, s13
	v_lshrrev_b32_e32 v16, 23, v17
	s_mov_b32 s13, exec_lo
	s_delay_alu instid0(VALU_DEP_2) | instskip(NEXT) | instid1(VALU_DEP_2)
	v_add_nc_u32_e32 v14, v14, v17
	v_xor_b32_e32 v16, 1, v16
	s_delay_alu instid0(VALU_DEP_2) | instskip(NEXT) | instid1(VALU_DEP_1)
	v_and_b32_e32 v13, 0x1fffff, v14
	v_add_nc_u32_e32 v14, v13, v17
                                        ; implicit-def: $vgpr13
	s_delay_alu instid0(VALU_DEP_3)
	v_cmpx_ne_u32_e64 v15, v16
	s_xor_b32 s13, exec_lo, s13
; %bb.12895:                            ;   in Loop: Header=BB6_12675 Depth=3
	s_delay_alu instid0(VALU_DEP_2) | instskip(SKIP_2) | instid1(VALU_DEP_2)
	v_cmp_lt_u32_e32 vcc_lo, 0xffffff, v14
	v_sub_nc_u32_e32 v13, v15, v16
	v_cndmask_b32_e64 v15, 0, 1, vcc_lo
	v_add_co_ci_u32_e32 v13, vcc_lo, 0, v13, vcc_lo
	s_delay_alu instid0(VALU_DEP_2)
	v_lshrrev_b32_e32 v14, v15, v14
; %bb.12896:                            ;   in Loop: Header=BB6_12675 Depth=3
	s_and_not1_saveexec_b32 s13, s13
; %bb.12897:                            ;   in Loop: Header=BB6_12675 Depth=3
	s_delay_alu instid0(VALU_DEP_1)
	v_bfe_u32 v13, v14, 23, 1
; %bb.12898:                            ;   in Loop: Header=BB6_12675 Depth=3
	s_or_b32 exec_lo, exec_lo, s13
	v_lshrrev_b32_e32 v14, 21, v14
	s_delay_alu instid0(VALU_DEP_2) | instskip(SKIP_2) | instid1(VALU_DEP_2)
	v_cmp_gt_i32_e32 vcc_lo, 32, v13
	v_min_i32_e32 v15, 31, v13
	v_lshrrev_b32_e32 v12, 24, v12
	v_dual_cndmask_b32 v14, 3, v14 :: v_dual_lshlrev_b32 v15, 2, v15
	s_delay_alu instid0(VALU_DEP_2) | instskip(NEXT) | instid1(VALU_DEP_2)
	v_and_b32_e32 v12, 0x80, v12
	v_or_b32_e32 v13, v13, v14
	s_delay_alu instid0(VALU_DEP_1) | instskip(SKIP_1) | instid1(VALU_DEP_1)
	v_cmp_ne_u32_e32 vcc_lo, 0, v13
	v_and_b32_e32 v16, 3, v14
	v_or3_b32 v12, v15, v12, v16
	s_delay_alu instid0(VALU_DEP_1)
	v_cndmask_b32_e32 v111, 0, v12, vcc_lo
.LBB6_12899:                            ;   in Loop: Header=BB6_12675 Depth=3
	s_or_b32 exec_lo, exec_lo, s31
.LBB6_12900:                            ;   in Loop: Header=BB6_12675 Depth=3
	s_delay_alu instid0(SALU_CYCLE_1) | instskip(SKIP_3) | instid1(VALU_DEP_1)
	s_or_b32 exec_lo, exec_lo, s30
	v_lshrrev_b32_e32 v12, 16, v8
	s_mov_b32 s13, 0
	s_mov_b32 s31, exec_lo
                                        ; implicit-def: $sgpr30
	v_and_b32_e32 v14, 0xff, v12
	s_delay_alu instid0(VALU_DEP_1)
	v_cmpx_lt_i16_e32 0x7f, v14
	s_xor_b32 s31, exec_lo, s31
	s_cbranch_execnz .LBB6_14546
; %bb.12901:                            ;   in Loop: Header=BB6_12675 Depth=3
	s_or_saveexec_b32 s31, s31
	v_mov_b32_e32 v13, s30
	s_xor_b32 exec_lo, exec_lo, s31
	s_cbranch_execnz .LBB6_14549
.LBB6_12902:                            ;   in Loop: Header=BB6_12675 Depth=3
	s_or_b32 exec_lo, exec_lo, s31
	s_and_saveexec_b32 s30, s13
	s_cbranch_execz .LBB6_12904
.LBB6_12903:                            ;   in Loop: Header=BB6_12675 Depth=3
	v_bfe_u32 v13, v8, 16, 2
	v_lshlrev_b32_e32 v16, 8, v8
	s_delay_alu instid0(VALU_DEP_2) | instskip(NEXT) | instid1(VALU_DEP_1)
	v_clz_i32_u32_e32 v14, v13
	v_min_u32_e32 v14, 32, v14
	s_delay_alu instid0(VALU_DEP_1) | instskip(SKIP_1) | instid1(VALU_DEP_2)
	v_subrev_nc_u32_e32 v15, 29, v14
	v_sub_nc_u32_e32 v14, 30, v14
	v_lshlrev_b32_e32 v12, v15, v12
	v_bfe_u32 v15, v8, 18, 5
	s_delay_alu instid0(VALU_DEP_2) | instskip(NEXT) | instid1(VALU_DEP_2)
	v_and_b32_e32 v12, 3, v12
	v_cmp_eq_u32_e32 vcc_lo, 0, v15
	v_cndmask_b32_e32 v14, v15, v14, vcc_lo
	s_delay_alu instid0(VALU_DEP_3) | instskip(SKIP_1) | instid1(VALU_DEP_3)
	v_cndmask_b32_e32 v12, v13, v12, vcc_lo
	v_and_b32_e32 v13, 0x80000000, v16
	v_lshl_add_u32 v14, v14, 23, 0x37800000
	s_delay_alu instid0(VALU_DEP_3) | instskip(NEXT) | instid1(VALU_DEP_1)
	v_lshlrev_b32_e32 v12, 21, v12
	v_or3_b32 v13, v13, v14, v12
.LBB6_12904:                            ;   in Loop: Header=BB6_12675 Depth=3
	s_or_b32 exec_lo, exec_lo, s30
	s_delay_alu instid0(VALU_DEP_1) | instskip(SKIP_2) | instid1(VALU_DEP_2)
	v_mul_f32_e32 v12, s17, v13
	v_mov_b32_e32 v110, 0x80
	s_mov_b32 s30, exec_lo
	v_and_b32_e32 v13, 0x7f800000, v12
	s_delay_alu instid0(VALU_DEP_1)
	v_cmpx_ne_u32_e32 0x7f800000, v13
	s_cbranch_execz .LBB6_12912
; %bb.12905:                            ;   in Loop: Header=BB6_12675 Depth=3
	v_mov_b32_e32 v110, 0
	s_mov_b32 s31, exec_lo
	v_cmpx_ne_u32_e32 0, v12
	s_cbranch_execz .LBB6_12911
; %bb.12906:                            ;   in Loop: Header=BB6_12675 Depth=3
	v_bfe_u32 v13, v12, 23, 8
	s_delay_alu instid0(VALU_DEP_1) | instskip(SKIP_1) | instid1(VALU_DEP_2)
	v_sub_nc_u32_e32 v15, 0x70, v13
	v_cmp_gt_u32_e32 vcc_lo, 0x71, v13
	v_dual_cndmask_b32 v15, 0, v15 :: v_dual_and_b32 v14, 0x7fffff, v12
	s_delay_alu instid0(VALU_DEP_1) | instskip(SKIP_2) | instid1(VALU_DEP_4)
	v_or_b32_e32 v16, 0x800000, v14
	v_cmp_eq_u32_e32 vcc_lo, 0, v13
	v_add_nc_u32_e32 v13, 0xffffff91, v13
	v_cndmask_b32_e64 v15, v15, 0x6f, vcc_lo
	s_delay_alu instid0(VALU_DEP_4) | instskip(NEXT) | instid1(VALU_DEP_3)
	v_cndmask_b32_e32 v14, v16, v14, vcc_lo
	v_cndmask_b32_e64 v13, v13, 0xffffff92, vcc_lo
	s_delay_alu instid0(VALU_DEP_3) | instskip(NEXT) | instid1(VALU_DEP_3)
	v_lshl_add_u32 v16, 0x200000, v15, -1
	v_lshrrev_b32_e32 v17, v15, v14
	v_lshlrev_b32_e64 v19, v15, 0x100000
	s_delay_alu instid0(VALU_DEP_4) | instskip(NEXT) | instid1(VALU_DEP_4)
	v_add_nc_u32_e32 v15, v15, v13
	v_and_b32_e32 v14, v16, v14
	s_delay_alu instid0(VALU_DEP_4) | instskip(NEXT) | instid1(VALU_DEP_2)
	v_bfe_u32 v18, v17, 21, 1
	v_cmp_eq_u32_e64 s13, v14, v19
	s_delay_alu instid0(VALU_DEP_2) | instskip(NEXT) | instid1(VALU_DEP_1)
	v_add_nc_u32_e32 v16, -1, v18
	v_cndmask_b32_e64 v14, 0, v16, s13
	v_lshrrev_b32_e32 v16, 23, v17
	s_mov_b32 s13, exec_lo
	s_delay_alu instid0(VALU_DEP_2) | instskip(NEXT) | instid1(VALU_DEP_2)
	v_add_nc_u32_e32 v14, v14, v17
	v_xor_b32_e32 v16, 1, v16
	s_delay_alu instid0(VALU_DEP_2) | instskip(NEXT) | instid1(VALU_DEP_1)
	v_and_b32_e32 v13, 0x1fffff, v14
	v_add_nc_u32_e32 v14, v13, v17
                                        ; implicit-def: $vgpr13
	s_delay_alu instid0(VALU_DEP_3)
	v_cmpx_ne_u32_e64 v15, v16
	s_xor_b32 s13, exec_lo, s13
; %bb.12907:                            ;   in Loop: Header=BB6_12675 Depth=3
	s_delay_alu instid0(VALU_DEP_2) | instskip(SKIP_2) | instid1(VALU_DEP_2)
	v_cmp_lt_u32_e32 vcc_lo, 0xffffff, v14
	v_sub_nc_u32_e32 v13, v15, v16
	v_cndmask_b32_e64 v15, 0, 1, vcc_lo
	v_add_co_ci_u32_e32 v13, vcc_lo, 0, v13, vcc_lo
	s_delay_alu instid0(VALU_DEP_2)
	v_lshrrev_b32_e32 v14, v15, v14
; %bb.12908:                            ;   in Loop: Header=BB6_12675 Depth=3
	s_and_not1_saveexec_b32 s13, s13
; %bb.12909:                            ;   in Loop: Header=BB6_12675 Depth=3
	s_delay_alu instid0(VALU_DEP_1)
	v_bfe_u32 v13, v14, 23, 1
; %bb.12910:                            ;   in Loop: Header=BB6_12675 Depth=3
	s_or_b32 exec_lo, exec_lo, s13
	v_lshrrev_b32_e32 v14, 21, v14
	s_delay_alu instid0(VALU_DEP_2) | instskip(SKIP_2) | instid1(VALU_DEP_4)
	v_cmp_gt_i32_e32 vcc_lo, 32, v13
	v_lshrrev_b32_e32 v12, 24, v12
	v_min_i32_e32 v15, 31, v13
	v_cndmask_b32_e32 v14, 3, v14, vcc_lo
	s_delay_alu instid0(VALU_DEP_3) | instskip(NEXT) | instid1(VALU_DEP_3)
	v_and_b32_e32 v12, 0x80, v12
	v_lshlrev_b32_e32 v15, 2, v15
	s_delay_alu instid0(VALU_DEP_3) | instskip(SKIP_1) | instid1(VALU_DEP_2)
	v_and_b32_e32 v16, 3, v14
	v_or_b32_e32 v13, v13, v14
	v_or3_b32 v12, v15, v12, v16
	s_delay_alu instid0(VALU_DEP_2) | instskip(NEXT) | instid1(VALU_DEP_2)
	v_cmp_ne_u32_e32 vcc_lo, 0, v13
	v_cndmask_b32_e32 v110, 0, v12, vcc_lo
.LBB6_12911:                            ;   in Loop: Header=BB6_12675 Depth=3
	s_or_b32 exec_lo, exec_lo, s31
.LBB6_12912:                            ;   in Loop: Header=BB6_12675 Depth=3
	s_delay_alu instid0(SALU_CYCLE_1) | instskip(SKIP_3) | instid1(VALU_DEP_1)
	s_or_b32 exec_lo, exec_lo, s30
	v_lshrrev_b32_e32 v12, 24, v8
	s_mov_b32 s13, 0
	s_mov_b32 s31, exec_lo
                                        ; implicit-def: $sgpr30
	v_cmpx_lt_i16_e32 0x7f, v12
	s_xor_b32 s31, exec_lo, s31
	s_cbranch_execnz .LBB6_14550
; %bb.12913:                            ;   in Loop: Header=BB6_12675 Depth=3
	s_or_saveexec_b32 s31, s31
	v_mov_b32_e32 v13, s30
	s_xor_b32 exec_lo, exec_lo, s31
	s_cbranch_execnz .LBB6_14553
.LBB6_12914:                            ;   in Loop: Header=BB6_12675 Depth=3
	s_or_b32 exec_lo, exec_lo, s31
	s_and_saveexec_b32 s30, s13
	s_cbranch_execz .LBB6_12916
.LBB6_12915:                            ;   in Loop: Header=BB6_12675 Depth=3
	v_bfe_u32 v13, v8, 24, 2
	s_delay_alu instid0(VALU_DEP_1) | instskip(NEXT) | instid1(VALU_DEP_1)
	v_clz_i32_u32_e32 v14, v13
	v_min_u32_e32 v14, 32, v14
	s_delay_alu instid0(VALU_DEP_1) | instskip(SKIP_1) | instid1(VALU_DEP_2)
	v_subrev_nc_u32_e32 v15, 29, v14
	v_sub_nc_u32_e32 v14, 30, v14
	v_lshlrev_b32_e32 v12, v15, v12
	v_bfe_u32 v15, v8, 26, 5
	v_and_b32_e32 v8, 0x80000000, v8
	s_delay_alu instid0(VALU_DEP_3) | instskip(NEXT) | instid1(VALU_DEP_3)
	v_and_b32_e32 v12, 3, v12
	v_cmp_eq_u32_e32 vcc_lo, 0, v15
	v_cndmask_b32_e32 v14, v15, v14, vcc_lo
	s_delay_alu instid0(VALU_DEP_3) | instskip(NEXT) | instid1(VALU_DEP_2)
	v_cndmask_b32_e32 v12, v13, v12, vcc_lo
	v_lshl_add_u32 v13, v14, 23, 0x37800000
	s_delay_alu instid0(VALU_DEP_2) | instskip(NEXT) | instid1(VALU_DEP_1)
	v_lshlrev_b32_e32 v12, 21, v12
	v_or3_b32 v13, v8, v13, v12
.LBB6_12916:                            ;   in Loop: Header=BB6_12675 Depth=3
	s_or_b32 exec_lo, exec_lo, s30
	s_delay_alu instid0(VALU_DEP_1) | instskip(SKIP_2) | instid1(VALU_DEP_2)
	v_mul_f32_e32 v8, s17, v13
	v_mov_b32_e32 v108, 0x80
	s_mov_b32 s30, exec_lo
	v_and_b32_e32 v12, 0x7f800000, v8
	s_delay_alu instid0(VALU_DEP_1)
	v_cmpx_ne_u32_e32 0x7f800000, v12
	s_cbranch_execz .LBB6_12924
; %bb.12917:                            ;   in Loop: Header=BB6_12675 Depth=3
	v_mov_b32_e32 v108, 0
	s_mov_b32 s31, exec_lo
	v_cmpx_ne_u32_e32 0, v8
	s_cbranch_execz .LBB6_12923
; %bb.12918:                            ;   in Loop: Header=BB6_12675 Depth=3
	v_bfe_u32 v12, v8, 23, 8
	s_delay_alu instid0(VALU_DEP_1) | instskip(SKIP_1) | instid1(VALU_DEP_2)
	v_sub_nc_u32_e32 v14, 0x70, v12
	v_cmp_gt_u32_e32 vcc_lo, 0x71, v12
	v_dual_cndmask_b32 v14, 0, v14 :: v_dual_and_b32 v13, 0x7fffff, v8
	s_delay_alu instid0(VALU_DEP_1) | instskip(SKIP_2) | instid1(VALU_DEP_4)
	v_or_b32_e32 v15, 0x800000, v13
	v_cmp_eq_u32_e32 vcc_lo, 0, v12
	v_add_nc_u32_e32 v12, 0xffffff91, v12
	v_cndmask_b32_e64 v14, v14, 0x6f, vcc_lo
	s_delay_alu instid0(VALU_DEP_4) | instskip(NEXT) | instid1(VALU_DEP_3)
	v_cndmask_b32_e32 v13, v15, v13, vcc_lo
	v_cndmask_b32_e64 v12, v12, 0xffffff92, vcc_lo
	s_delay_alu instid0(VALU_DEP_3) | instskip(NEXT) | instid1(VALU_DEP_3)
	v_lshl_add_u32 v15, 0x200000, v14, -1
	v_lshrrev_b32_e32 v16, v14, v13
	v_lshlrev_b32_e64 v18, v14, 0x100000
	s_delay_alu instid0(VALU_DEP_4) | instskip(NEXT) | instid1(VALU_DEP_4)
	v_add_nc_u32_e32 v14, v14, v12
	v_and_b32_e32 v13, v15, v13
	s_delay_alu instid0(VALU_DEP_4) | instskip(NEXT) | instid1(VALU_DEP_2)
	v_bfe_u32 v17, v16, 21, 1
	v_cmp_eq_u32_e64 s13, v13, v18
	s_delay_alu instid0(VALU_DEP_2) | instskip(NEXT) | instid1(VALU_DEP_1)
	v_add_nc_u32_e32 v15, -1, v17
	v_cndmask_b32_e64 v13, 0, v15, s13
	v_lshrrev_b32_e32 v15, 23, v16
	s_mov_b32 s13, exec_lo
	s_delay_alu instid0(VALU_DEP_2) | instskip(NEXT) | instid1(VALU_DEP_2)
	v_add_nc_u32_e32 v13, v13, v16
	v_xor_b32_e32 v15, 1, v15
	s_delay_alu instid0(VALU_DEP_2) | instskip(NEXT) | instid1(VALU_DEP_1)
	v_and_b32_e32 v12, 0x1fffff, v13
	v_add_nc_u32_e32 v13, v12, v16
                                        ; implicit-def: $vgpr12
	s_delay_alu instid0(VALU_DEP_3)
	v_cmpx_ne_u32_e64 v14, v15
	s_xor_b32 s13, exec_lo, s13
; %bb.12919:                            ;   in Loop: Header=BB6_12675 Depth=3
	s_delay_alu instid0(VALU_DEP_2) | instskip(SKIP_2) | instid1(VALU_DEP_2)
	v_cmp_lt_u32_e32 vcc_lo, 0xffffff, v13
	v_sub_nc_u32_e32 v12, v14, v15
	v_cndmask_b32_e64 v14, 0, 1, vcc_lo
	v_add_co_ci_u32_e32 v12, vcc_lo, 0, v12, vcc_lo
	s_delay_alu instid0(VALU_DEP_2)
	v_lshrrev_b32_e32 v13, v14, v13
; %bb.12920:                            ;   in Loop: Header=BB6_12675 Depth=3
	s_and_not1_saveexec_b32 s13, s13
; %bb.12921:                            ;   in Loop: Header=BB6_12675 Depth=3
	s_delay_alu instid0(VALU_DEP_1)
	v_bfe_u32 v12, v13, 23, 1
; %bb.12922:                            ;   in Loop: Header=BB6_12675 Depth=3
	s_or_b32 exec_lo, exec_lo, s13
	v_lshrrev_b32_e32 v13, 21, v13
	s_delay_alu instid0(VALU_DEP_2) | instskip(SKIP_2) | instid1(VALU_DEP_2)
	v_cmp_gt_i32_e32 vcc_lo, 32, v12
	v_lshrrev_b32_e32 v8, 24, v8
	v_min_i32_e32 v14, 31, v12
	v_dual_cndmask_b32 v13, 3, v13 :: v_dual_and_b32 v8, 0x80, v8
	s_delay_alu instid0(VALU_DEP_2) | instskip(NEXT) | instid1(VALU_DEP_2)
	v_lshlrev_b32_e32 v14, 2, v14
	v_or_b32_e32 v12, v12, v13
	s_delay_alu instid0(VALU_DEP_1) | instskip(SKIP_1) | instid1(VALU_DEP_1)
	v_cmp_ne_u32_e32 vcc_lo, 0, v12
	v_and_b32_e32 v15, 3, v13
	v_or3_b32 v8, v14, v8, v15
	s_delay_alu instid0(VALU_DEP_1)
	v_cndmask_b32_e32 v108, 0, v8, vcc_lo
.LBB6_12923:                            ;   in Loop: Header=BB6_12675 Depth=3
	s_or_b32 exec_lo, exec_lo, s31
.LBB6_12924:                            ;   in Loop: Header=BB6_12675 Depth=3
	s_delay_alu instid0(SALU_CYCLE_1) | instskip(SKIP_3) | instid1(VALU_DEP_1)
	s_or_b32 exec_lo, exec_lo, s30
	v_and_b32_e32 v12, 0xff, v9
	s_mov_b32 s13, 0
	s_mov_b32 s31, exec_lo
                                        ; implicit-def: $sgpr30
	v_cmpx_lt_i16_e32 0x7f, v12
	s_xor_b32 s31, exec_lo, s31
	s_cbranch_execnz .LBB6_14554
; %bb.12925:                            ;   in Loop: Header=BB6_12675 Depth=3
	s_or_saveexec_b32 s31, s31
	v_mov_b32_e32 v8, s30
	s_xor_b32 exec_lo, exec_lo, s31
	s_cbranch_execnz .LBB6_14557
.LBB6_12926:                            ;   in Loop: Header=BB6_12675 Depth=3
	s_or_b32 exec_lo, exec_lo, s31
	s_and_saveexec_b32 s30, s13
	s_cbranch_execz .LBB6_12928
.LBB6_12927:                            ;   in Loop: Header=BB6_12675 Depth=3
	v_and_b32_e32 v8, 3, v9
	v_bfe_u32 v14, v9, 2, 5
	v_lshlrev_b32_e32 v15, 24, v9
	s_delay_alu instid0(VALU_DEP_3) | instskip(NEXT) | instid1(VALU_DEP_3)
	v_clz_i32_u32_e32 v12, v8
	v_cmp_eq_u32_e32 vcc_lo, 0, v14
	s_delay_alu instid0(VALU_DEP_2) | instskip(NEXT) | instid1(VALU_DEP_1)
	v_min_u32_e32 v12, 32, v12
	v_subrev_nc_u32_e32 v13, 29, v12
	v_sub_nc_u32_e32 v12, 30, v12
	s_delay_alu instid0(VALU_DEP_1) | instskip(NEXT) | instid1(VALU_DEP_1)
	v_dual_cndmask_b32 v12, v14, v12 :: v_dual_lshlrev_b32 v13, v13, v9
	v_and_b32_e32 v13, 3, v13
	s_delay_alu instid0(VALU_DEP_2) | instskip(NEXT) | instid1(VALU_DEP_2)
	v_lshl_add_u32 v12, v12, 23, 0x37800000
	v_dual_cndmask_b32 v8, v8, v13 :: v_dual_and_b32 v13, 0x80000000, v15
	s_delay_alu instid0(VALU_DEP_1) | instskip(NEXT) | instid1(VALU_DEP_1)
	v_lshlrev_b32_e32 v8, 21, v8
	v_or3_b32 v8, v13, v12, v8
.LBB6_12928:                            ;   in Loop: Header=BB6_12675 Depth=3
	s_or_b32 exec_lo, exec_lo, s30
	s_delay_alu instid0(VALU_DEP_1) | instskip(SKIP_1) | instid1(VALU_DEP_1)
	v_dual_mul_f32 v8, s17, v8 :: v_dual_mov_b32 v107, 0x80
	s_mov_b32 s30, exec_lo
	v_and_b32_e32 v12, 0x7f800000, v8
	s_delay_alu instid0(VALU_DEP_1)
	v_cmpx_ne_u32_e32 0x7f800000, v12
	s_cbranch_execz .LBB6_12936
; %bb.12929:                            ;   in Loop: Header=BB6_12675 Depth=3
	v_mov_b32_e32 v107, 0
	s_mov_b32 s31, exec_lo
	v_cmpx_ne_u32_e32 0, v8
	s_cbranch_execz .LBB6_12935
; %bb.12930:                            ;   in Loop: Header=BB6_12675 Depth=3
	v_bfe_u32 v12, v8, 23, 8
	s_delay_alu instid0(VALU_DEP_1) | instskip(SKIP_1) | instid1(VALU_DEP_2)
	v_sub_nc_u32_e32 v14, 0x70, v12
	v_cmp_gt_u32_e32 vcc_lo, 0x71, v12
	v_dual_cndmask_b32 v14, 0, v14 :: v_dual_and_b32 v13, 0x7fffff, v8
	s_delay_alu instid0(VALU_DEP_1) | instskip(SKIP_2) | instid1(VALU_DEP_4)
	v_or_b32_e32 v15, 0x800000, v13
	v_cmp_eq_u32_e32 vcc_lo, 0, v12
	v_add_nc_u32_e32 v12, 0xffffff91, v12
	v_cndmask_b32_e64 v14, v14, 0x6f, vcc_lo
	s_delay_alu instid0(VALU_DEP_4) | instskip(NEXT) | instid1(VALU_DEP_3)
	v_cndmask_b32_e32 v13, v15, v13, vcc_lo
	v_cndmask_b32_e64 v12, v12, 0xffffff92, vcc_lo
	s_delay_alu instid0(VALU_DEP_3) | instskip(NEXT) | instid1(VALU_DEP_3)
	v_lshl_add_u32 v15, 0x200000, v14, -1
	v_lshrrev_b32_e32 v16, v14, v13
	v_lshlrev_b32_e64 v18, v14, 0x100000
	s_delay_alu instid0(VALU_DEP_4) | instskip(NEXT) | instid1(VALU_DEP_4)
	v_add_nc_u32_e32 v14, v14, v12
	v_and_b32_e32 v13, v15, v13
	s_delay_alu instid0(VALU_DEP_4) | instskip(NEXT) | instid1(VALU_DEP_2)
	v_bfe_u32 v17, v16, 21, 1
	v_cmp_eq_u32_e64 s13, v13, v18
	s_delay_alu instid0(VALU_DEP_2) | instskip(NEXT) | instid1(VALU_DEP_1)
	v_add_nc_u32_e32 v15, -1, v17
	v_cndmask_b32_e64 v13, 0, v15, s13
	v_lshrrev_b32_e32 v15, 23, v16
	s_mov_b32 s13, exec_lo
	s_delay_alu instid0(VALU_DEP_2) | instskip(NEXT) | instid1(VALU_DEP_2)
	v_add_nc_u32_e32 v13, v13, v16
	v_xor_b32_e32 v15, 1, v15
	s_delay_alu instid0(VALU_DEP_2) | instskip(NEXT) | instid1(VALU_DEP_1)
	v_and_b32_e32 v12, 0x1fffff, v13
	v_add_nc_u32_e32 v13, v12, v16
                                        ; implicit-def: $vgpr12
	s_delay_alu instid0(VALU_DEP_3)
	v_cmpx_ne_u32_e64 v14, v15
	s_xor_b32 s13, exec_lo, s13
; %bb.12931:                            ;   in Loop: Header=BB6_12675 Depth=3
	s_delay_alu instid0(VALU_DEP_2) | instskip(SKIP_2) | instid1(VALU_DEP_2)
	v_cmp_lt_u32_e32 vcc_lo, 0xffffff, v13
	v_sub_nc_u32_e32 v12, v14, v15
	v_cndmask_b32_e64 v14, 0, 1, vcc_lo
	v_add_co_ci_u32_e32 v12, vcc_lo, 0, v12, vcc_lo
	s_delay_alu instid0(VALU_DEP_2)
	v_lshrrev_b32_e32 v13, v14, v13
; %bb.12932:                            ;   in Loop: Header=BB6_12675 Depth=3
	s_and_not1_saveexec_b32 s13, s13
; %bb.12933:                            ;   in Loop: Header=BB6_12675 Depth=3
	s_delay_alu instid0(VALU_DEP_1)
	v_bfe_u32 v12, v13, 23, 1
; %bb.12934:                            ;   in Loop: Header=BB6_12675 Depth=3
	s_or_b32 exec_lo, exec_lo, s13
	v_lshrrev_b32_e32 v13, 21, v13
	s_delay_alu instid0(VALU_DEP_2) | instskip(SKIP_2) | instid1(VALU_DEP_2)
	v_cmp_gt_i32_e32 vcc_lo, 32, v12
	v_min_i32_e32 v14, 31, v12
	v_lshrrev_b32_e32 v8, 24, v8
	v_dual_cndmask_b32 v13, 3, v13 :: v_dual_lshlrev_b32 v14, 2, v14
	s_delay_alu instid0(VALU_DEP_2) | instskip(NEXT) | instid1(VALU_DEP_2)
	v_and_b32_e32 v8, 0x80, v8
	v_or_b32_e32 v12, v12, v13
	v_and_b32_e32 v15, 3, v13
	s_delay_alu instid0(VALU_DEP_2) | instskip(SKIP_1) | instid1(VALU_DEP_1)
	v_cmp_ne_u32_e32 vcc_lo, 0, v12
	v_and_b32_e32 v14, 0xfc, v14
	v_or3_b32 v8, v14, v8, v15
	s_delay_alu instid0(VALU_DEP_1)
	v_cndmask_b32_e32 v107, 0, v8, vcc_lo
.LBB6_12935:                            ;   in Loop: Header=BB6_12675 Depth=3
	s_or_b32 exec_lo, exec_lo, s31
.LBB6_12936:                            ;   in Loop: Header=BB6_12675 Depth=3
	s_delay_alu instid0(SALU_CYCLE_1) | instskip(SKIP_3) | instid1(VALU_DEP_1)
	s_or_b32 exec_lo, exec_lo, s30
	v_lshrrev_b16 v8, 8, v9
	s_mov_b32 s13, 0
	s_mov_b32 s31, exec_lo
                                        ; implicit-def: $sgpr30
	v_cmpx_lt_i16_e32 0x7f, v8
	s_xor_b32 s31, exec_lo, s31
	s_cbranch_execnz .LBB6_14558
; %bb.12937:                            ;   in Loop: Header=BB6_12675 Depth=3
	s_or_saveexec_b32 s31, s31
	v_mov_b32_e32 v12, s30
	s_xor_b32 exec_lo, exec_lo, s31
	s_cbranch_execnz .LBB6_14561
.LBB6_12938:                            ;   in Loop: Header=BB6_12675 Depth=3
	s_or_b32 exec_lo, exec_lo, s31
	s_and_saveexec_b32 s30, s13
	s_cbranch_execz .LBB6_12940
.LBB6_12939:                            ;   in Loop: Header=BB6_12675 Depth=3
	v_and_b32_e32 v12, 0xffff, v8
	v_lshlrev_b32_e32 v8, 24, v8
	s_delay_alu instid0(VALU_DEP_2) | instskip(NEXT) | instid1(VALU_DEP_2)
	v_and_b32_e32 v13, 3, v12
	v_and_b32_e32 v8, 0x80000000, v8
	s_delay_alu instid0(VALU_DEP_2) | instskip(NEXT) | instid1(VALU_DEP_1)
	v_clz_i32_u32_e32 v14, v13
	v_min_u32_e32 v14, 32, v14
	s_delay_alu instid0(VALU_DEP_1) | instskip(SKIP_1) | instid1(VALU_DEP_2)
	v_subrev_nc_u32_e32 v15, 29, v14
	v_sub_nc_u32_e32 v14, 30, v14
	v_lshlrev_b32_e32 v15, v15, v12
	v_bfe_u32 v12, v12, 2, 5
	s_delay_alu instid0(VALU_DEP_2) | instskip(NEXT) | instid1(VALU_DEP_2)
	v_and_b32_e32 v15, 3, v15
	v_cmp_eq_u32_e32 vcc_lo, 0, v12
	s_delay_alu instid0(VALU_DEP_2) | instskip(NEXT) | instid1(VALU_DEP_1)
	v_dual_cndmask_b32 v12, v12, v14 :: v_dual_cndmask_b32 v13, v13, v15
	v_lshl_add_u32 v12, v12, 23, 0x37800000
	s_delay_alu instid0(VALU_DEP_2) | instskip(NEXT) | instid1(VALU_DEP_1)
	v_lshlrev_b32_e32 v13, 21, v13
	v_or3_b32 v12, v8, v12, v13
.LBB6_12940:                            ;   in Loop: Header=BB6_12675 Depth=3
	s_or_b32 exec_lo, exec_lo, s30
	s_delay_alu instid0(VALU_DEP_1) | instskip(SKIP_2) | instid1(VALU_DEP_2)
	v_mul_f32_e32 v8, s17, v12
	v_mov_b32_e32 v120, 0x8000
	s_mov_b32 s30, exec_lo
	v_and_b32_e32 v12, 0x7f800000, v8
	s_delay_alu instid0(VALU_DEP_1)
	v_cmpx_ne_u32_e32 0x7f800000, v12
	s_cbranch_execz .LBB6_12948
; %bb.12941:                            ;   in Loop: Header=BB6_12675 Depth=3
	v_mov_b32_e32 v120, 0
	s_mov_b32 s31, exec_lo
	v_cmpx_ne_u32_e32 0, v8
	s_cbranch_execz .LBB6_12947
; %bb.12942:                            ;   in Loop: Header=BB6_12675 Depth=3
	v_bfe_u32 v12, v8, 23, 8
	s_delay_alu instid0(VALU_DEP_1) | instskip(SKIP_1) | instid1(VALU_DEP_2)
	v_sub_nc_u32_e32 v14, 0x70, v12
	v_cmp_gt_u32_e32 vcc_lo, 0x71, v12
	v_dual_cndmask_b32 v14, 0, v14 :: v_dual_and_b32 v13, 0x7fffff, v8
	s_delay_alu instid0(VALU_DEP_1) | instskip(SKIP_2) | instid1(VALU_DEP_4)
	v_or_b32_e32 v15, 0x800000, v13
	v_cmp_eq_u32_e32 vcc_lo, 0, v12
	v_add_nc_u32_e32 v12, 0xffffff91, v12
	v_cndmask_b32_e64 v14, v14, 0x6f, vcc_lo
	s_delay_alu instid0(VALU_DEP_4) | instskip(NEXT) | instid1(VALU_DEP_3)
	v_cndmask_b32_e32 v13, v15, v13, vcc_lo
	v_cndmask_b32_e64 v12, v12, 0xffffff92, vcc_lo
	s_delay_alu instid0(VALU_DEP_3) | instskip(NEXT) | instid1(VALU_DEP_3)
	v_lshl_add_u32 v15, 0x200000, v14, -1
	v_lshrrev_b32_e32 v16, v14, v13
	v_lshlrev_b32_e64 v18, v14, 0x100000
	s_delay_alu instid0(VALU_DEP_4) | instskip(NEXT) | instid1(VALU_DEP_4)
	v_add_nc_u32_e32 v14, v14, v12
	v_and_b32_e32 v13, v15, v13
	s_delay_alu instid0(VALU_DEP_4) | instskip(NEXT) | instid1(VALU_DEP_2)
	v_bfe_u32 v17, v16, 21, 1
	v_cmp_eq_u32_e64 s13, v13, v18
	s_delay_alu instid0(VALU_DEP_2) | instskip(NEXT) | instid1(VALU_DEP_1)
	v_add_nc_u32_e32 v15, -1, v17
	v_cndmask_b32_e64 v13, 0, v15, s13
	v_lshrrev_b32_e32 v15, 23, v16
	s_mov_b32 s13, exec_lo
	s_delay_alu instid0(VALU_DEP_2) | instskip(NEXT) | instid1(VALU_DEP_2)
	v_add_nc_u32_e32 v13, v13, v16
	v_xor_b32_e32 v15, 1, v15
	s_delay_alu instid0(VALU_DEP_2) | instskip(NEXT) | instid1(VALU_DEP_1)
	v_and_b32_e32 v12, 0x1fffff, v13
	v_add_nc_u32_e32 v13, v12, v16
                                        ; implicit-def: $vgpr12
	s_delay_alu instid0(VALU_DEP_3)
	v_cmpx_ne_u32_e64 v14, v15
	s_xor_b32 s13, exec_lo, s13
; %bb.12943:                            ;   in Loop: Header=BB6_12675 Depth=3
	s_delay_alu instid0(VALU_DEP_2) | instskip(SKIP_2) | instid1(VALU_DEP_2)
	v_cmp_lt_u32_e32 vcc_lo, 0xffffff, v13
	v_sub_nc_u32_e32 v12, v14, v15
	v_cndmask_b32_e64 v14, 0, 1, vcc_lo
	v_add_co_ci_u32_e32 v12, vcc_lo, 0, v12, vcc_lo
	s_delay_alu instid0(VALU_DEP_2)
	v_lshrrev_b32_e32 v13, v14, v13
; %bb.12944:                            ;   in Loop: Header=BB6_12675 Depth=3
	s_and_not1_saveexec_b32 s13, s13
; %bb.12945:                            ;   in Loop: Header=BB6_12675 Depth=3
	s_delay_alu instid0(VALU_DEP_1)
	v_bfe_u32 v12, v13, 23, 1
; %bb.12946:                            ;   in Loop: Header=BB6_12675 Depth=3
	s_or_b32 exec_lo, exec_lo, s13
	v_lshrrev_b32_e32 v13, 21, v13
	s_delay_alu instid0(VALU_DEP_2) | instskip(SKIP_2) | instid1(VALU_DEP_2)
	v_cmp_gt_i32_e32 vcc_lo, 32, v12
	v_min_i32_e32 v14, 31, v12
	v_lshrrev_b32_e32 v8, 24, v8
	v_dual_cndmask_b32 v13, 3, v13 :: v_dual_lshlrev_b32 v14, 2, v14
	s_delay_alu instid0(VALU_DEP_2) | instskip(NEXT) | instid1(VALU_DEP_2)
	v_and_b32_e32 v8, 0x80, v8
	v_or_b32_e32 v12, v12, v13
	s_delay_alu instid0(VALU_DEP_3) | instskip(NEXT) | instid1(VALU_DEP_2)
	v_and_b32_e32 v14, 0xfc, v14
	v_cmp_ne_u32_e32 vcc_lo, 0, v12
	v_and_b32_e32 v15, 3, v13
	s_delay_alu instid0(VALU_DEP_1) | instskip(NEXT) | instid1(VALU_DEP_1)
	v_or3_b32 v8, v8, v14, v15
	v_lshlrev_b32_e32 v8, 8, v8
	s_delay_alu instid0(VALU_DEP_1)
	v_cndmask_b32_e32 v120, 0, v8, vcc_lo
.LBB6_12947:                            ;   in Loop: Header=BB6_12675 Depth=3
	s_or_b32 exec_lo, exec_lo, s31
.LBB6_12948:                            ;   in Loop: Header=BB6_12675 Depth=3
	s_delay_alu instid0(SALU_CYCLE_1) | instskip(SKIP_3) | instid1(VALU_DEP_1)
	s_or_b32 exec_lo, exec_lo, s30
	v_lshrrev_b32_e32 v8, 16, v9
	s_mov_b32 s13, 0
	s_mov_b32 s31, exec_lo
                                        ; implicit-def: $sgpr30
	v_and_b32_e32 v13, 0xff, v8
	s_delay_alu instid0(VALU_DEP_1)
	v_cmpx_lt_i16_e32 0x7f, v13
	s_xor_b32 s31, exec_lo, s31
	s_cbranch_execnz .LBB6_14562
; %bb.12949:                            ;   in Loop: Header=BB6_12675 Depth=3
	s_or_saveexec_b32 s31, s31
	v_mov_b32_e32 v12, s30
	s_xor_b32 exec_lo, exec_lo, s31
	s_cbranch_execnz .LBB6_14565
.LBB6_12950:                            ;   in Loop: Header=BB6_12675 Depth=3
	s_or_b32 exec_lo, exec_lo, s31
	s_and_saveexec_b32 s30, s13
	s_cbranch_execz .LBB6_12952
.LBB6_12951:                            ;   in Loop: Header=BB6_12675 Depth=3
	v_bfe_u32 v12, v9, 16, 2
	s_delay_alu instid0(VALU_DEP_1) | instskip(NEXT) | instid1(VALU_DEP_1)
	v_clz_i32_u32_e32 v13, v12
	v_min_u32_e32 v13, 32, v13
	s_delay_alu instid0(VALU_DEP_1) | instskip(SKIP_1) | instid1(VALU_DEP_2)
	v_subrev_nc_u32_e32 v14, 29, v13
	v_sub_nc_u32_e32 v13, 30, v13
	v_lshlrev_b32_e32 v8, v14, v8
	v_bfe_u32 v14, v9, 18, 5
	s_delay_alu instid0(VALU_DEP_1) | instskip(NEXT) | instid1(VALU_DEP_3)
	v_cmp_eq_u32_e32 vcc_lo, 0, v14
	v_dual_cndmask_b32 v13, v14, v13 :: v_dual_and_b32 v8, 3, v8
	s_delay_alu instid0(VALU_DEP_1) | instskip(NEXT) | instid1(VALU_DEP_2)
	v_dual_cndmask_b32 v8, v12, v8 :: v_dual_lshlrev_b32 v15, 8, v9
	v_lshl_add_u32 v13, v13, 23, 0x37800000
	s_delay_alu instid0(VALU_DEP_2) | instskip(NEXT) | instid1(VALU_DEP_3)
	v_and_b32_e32 v12, 0x80000000, v15
	v_lshlrev_b32_e32 v8, 21, v8
	s_delay_alu instid0(VALU_DEP_1)
	v_or3_b32 v12, v12, v13, v8
.LBB6_12952:                            ;   in Loop: Header=BB6_12675 Depth=3
	s_or_b32 exec_lo, exec_lo, s30
	s_delay_alu instid0(VALU_DEP_1) | instskip(SKIP_1) | instid1(VALU_DEP_1)
	v_dual_mul_f32 v8, s17, v12 :: v_dual_mov_b32 v105, 0x80
	s_mov_b32 s30, exec_lo
	v_and_b32_e32 v12, 0x7f800000, v8
	s_delay_alu instid0(VALU_DEP_1)
	v_cmpx_ne_u32_e32 0x7f800000, v12
	s_cbranch_execz .LBB6_12960
; %bb.12953:                            ;   in Loop: Header=BB6_12675 Depth=3
	v_mov_b32_e32 v105, 0
	s_mov_b32 s31, exec_lo
	v_cmpx_ne_u32_e32 0, v8
	s_cbranch_execz .LBB6_12959
; %bb.12954:                            ;   in Loop: Header=BB6_12675 Depth=3
	v_bfe_u32 v12, v8, 23, 8
	s_delay_alu instid0(VALU_DEP_1) | instskip(SKIP_1) | instid1(VALU_DEP_2)
	v_sub_nc_u32_e32 v14, 0x70, v12
	v_cmp_gt_u32_e32 vcc_lo, 0x71, v12
	v_dual_cndmask_b32 v14, 0, v14 :: v_dual_and_b32 v13, 0x7fffff, v8
	s_delay_alu instid0(VALU_DEP_1) | instskip(SKIP_2) | instid1(VALU_DEP_4)
	v_or_b32_e32 v15, 0x800000, v13
	v_cmp_eq_u32_e32 vcc_lo, 0, v12
	v_add_nc_u32_e32 v12, 0xffffff91, v12
	v_cndmask_b32_e64 v14, v14, 0x6f, vcc_lo
	s_delay_alu instid0(VALU_DEP_4) | instskip(NEXT) | instid1(VALU_DEP_3)
	v_cndmask_b32_e32 v13, v15, v13, vcc_lo
	v_cndmask_b32_e64 v12, v12, 0xffffff92, vcc_lo
	s_delay_alu instid0(VALU_DEP_3) | instskip(NEXT) | instid1(VALU_DEP_3)
	v_lshl_add_u32 v15, 0x200000, v14, -1
	v_lshrrev_b32_e32 v16, v14, v13
	v_lshlrev_b32_e64 v18, v14, 0x100000
	s_delay_alu instid0(VALU_DEP_4) | instskip(NEXT) | instid1(VALU_DEP_4)
	v_add_nc_u32_e32 v14, v14, v12
	v_and_b32_e32 v13, v15, v13
	s_delay_alu instid0(VALU_DEP_4) | instskip(NEXT) | instid1(VALU_DEP_2)
	v_bfe_u32 v17, v16, 21, 1
	v_cmp_eq_u32_e64 s13, v13, v18
	s_delay_alu instid0(VALU_DEP_2) | instskip(NEXT) | instid1(VALU_DEP_1)
	v_add_nc_u32_e32 v15, -1, v17
	v_cndmask_b32_e64 v13, 0, v15, s13
	v_lshrrev_b32_e32 v15, 23, v16
	s_mov_b32 s13, exec_lo
	s_delay_alu instid0(VALU_DEP_2) | instskip(NEXT) | instid1(VALU_DEP_2)
	v_add_nc_u32_e32 v13, v13, v16
	v_xor_b32_e32 v15, 1, v15
	s_delay_alu instid0(VALU_DEP_2) | instskip(NEXT) | instid1(VALU_DEP_1)
	v_and_b32_e32 v12, 0x1fffff, v13
	v_add_nc_u32_e32 v13, v12, v16
                                        ; implicit-def: $vgpr12
	s_delay_alu instid0(VALU_DEP_3)
	v_cmpx_ne_u32_e64 v14, v15
	s_xor_b32 s13, exec_lo, s13
; %bb.12955:                            ;   in Loop: Header=BB6_12675 Depth=3
	s_delay_alu instid0(VALU_DEP_2) | instskip(SKIP_2) | instid1(VALU_DEP_2)
	v_cmp_lt_u32_e32 vcc_lo, 0xffffff, v13
	v_sub_nc_u32_e32 v12, v14, v15
	v_cndmask_b32_e64 v14, 0, 1, vcc_lo
	v_add_co_ci_u32_e32 v12, vcc_lo, 0, v12, vcc_lo
	s_delay_alu instid0(VALU_DEP_2)
	v_lshrrev_b32_e32 v13, v14, v13
; %bb.12956:                            ;   in Loop: Header=BB6_12675 Depth=3
	s_and_not1_saveexec_b32 s13, s13
; %bb.12957:                            ;   in Loop: Header=BB6_12675 Depth=3
	s_delay_alu instid0(VALU_DEP_1)
	v_bfe_u32 v12, v13, 23, 1
; %bb.12958:                            ;   in Loop: Header=BB6_12675 Depth=3
	s_or_b32 exec_lo, exec_lo, s13
	v_lshrrev_b32_e32 v13, 21, v13
	s_delay_alu instid0(VALU_DEP_2) | instskip(SKIP_2) | instid1(VALU_DEP_2)
	v_cmp_gt_i32_e32 vcc_lo, 32, v12
	v_min_i32_e32 v14, 31, v12
	v_lshrrev_b32_e32 v8, 24, v8
	v_dual_cndmask_b32 v13, 3, v13 :: v_dual_lshlrev_b32 v14, 2, v14
	s_delay_alu instid0(VALU_DEP_2) | instskip(NEXT) | instid1(VALU_DEP_2)
	v_and_b32_e32 v8, 0x80, v8
	v_or_b32_e32 v12, v12, v13
	v_and_b32_e32 v15, 3, v13
	s_delay_alu instid0(VALU_DEP_2) | instskip(SKIP_1) | instid1(VALU_DEP_1)
	v_cmp_ne_u32_e32 vcc_lo, 0, v12
	v_and_b32_e32 v14, 0xfc, v14
	v_or3_b32 v8, v14, v8, v15
	s_delay_alu instid0(VALU_DEP_1)
	v_cndmask_b32_e32 v105, 0, v8, vcc_lo
.LBB6_12959:                            ;   in Loop: Header=BB6_12675 Depth=3
	s_or_b32 exec_lo, exec_lo, s31
.LBB6_12960:                            ;   in Loop: Header=BB6_12675 Depth=3
	s_delay_alu instid0(SALU_CYCLE_1) | instskip(SKIP_3) | instid1(VALU_DEP_1)
	s_or_b32 exec_lo, exec_lo, s30
	v_lshrrev_b32_e32 v8, 24, v9
	s_mov_b32 s13, 0
	s_mov_b32 s31, exec_lo
                                        ; implicit-def: $sgpr30
	v_cmpx_lt_i16_e32 0x7f, v8
	s_xor_b32 s31, exec_lo, s31
	s_cbranch_execnz .LBB6_14566
; %bb.12961:                            ;   in Loop: Header=BB6_12675 Depth=3
	s_or_saveexec_b32 s31, s31
	v_mov_b32_e32 v12, s30
	s_xor_b32 exec_lo, exec_lo, s31
	s_cbranch_execnz .LBB6_14569
.LBB6_12962:                            ;   in Loop: Header=BB6_12675 Depth=3
	s_or_b32 exec_lo, exec_lo, s31
	s_and_saveexec_b32 s30, s13
	s_cbranch_execz .LBB6_12964
.LBB6_12963:                            ;   in Loop: Header=BB6_12675 Depth=3
	v_bfe_u32 v12, v9, 24, 2
	s_delay_alu instid0(VALU_DEP_1) | instskip(NEXT) | instid1(VALU_DEP_1)
	v_clz_i32_u32_e32 v13, v12
	v_min_u32_e32 v13, 32, v13
	s_delay_alu instid0(VALU_DEP_1) | instskip(SKIP_1) | instid1(VALU_DEP_2)
	v_subrev_nc_u32_e32 v14, 29, v13
	v_sub_nc_u32_e32 v13, 30, v13
	v_lshlrev_b32_e32 v8, v14, v8
	v_bfe_u32 v14, v9, 26, 5
	v_and_b32_e32 v9, 0x80000000, v9
	s_delay_alu instid0(VALU_DEP_2) | instskip(NEXT) | instid1(VALU_DEP_4)
	v_cmp_eq_u32_e32 vcc_lo, 0, v14
	v_dual_cndmask_b32 v13, v14, v13 :: v_dual_and_b32 v8, 3, v8
	s_delay_alu instid0(VALU_DEP_1) | instskip(NEXT) | instid1(VALU_DEP_2)
	v_cndmask_b32_e32 v8, v12, v8, vcc_lo
	v_lshl_add_u32 v12, v13, 23, 0x37800000
	s_delay_alu instid0(VALU_DEP_2) | instskip(NEXT) | instid1(VALU_DEP_1)
	v_lshlrev_b32_e32 v8, 21, v8
	v_or3_b32 v12, v9, v12, v8
.LBB6_12964:                            ;   in Loop: Header=BB6_12675 Depth=3
	s_or_b32 exec_lo, exec_lo, s30
	s_delay_alu instid0(VALU_DEP_1) | instskip(SKIP_1) | instid1(VALU_DEP_1)
	v_dual_mul_f32 v8, s17, v12 :: v_dual_mov_b32 v109, 0x8000
	s_mov_b32 s30, exec_lo
	v_and_b32_e32 v9, 0x7f800000, v8
	s_delay_alu instid0(VALU_DEP_1)
	v_cmpx_ne_u32_e32 0x7f800000, v9
	s_cbranch_execz .LBB6_12972
; %bb.12965:                            ;   in Loop: Header=BB6_12675 Depth=3
	v_mov_b32_e32 v109, 0
	s_mov_b32 s31, exec_lo
	v_cmpx_ne_u32_e32 0, v8
	s_cbranch_execz .LBB6_12971
; %bb.12966:                            ;   in Loop: Header=BB6_12675 Depth=3
	v_bfe_u32 v9, v8, 23, 8
	s_delay_alu instid0(VALU_DEP_1) | instskip(SKIP_1) | instid1(VALU_DEP_2)
	v_sub_nc_u32_e32 v13, 0x70, v9
	v_cmp_gt_u32_e32 vcc_lo, 0x71, v9
	v_dual_cndmask_b32 v13, 0, v13 :: v_dual_and_b32 v12, 0x7fffff, v8
	s_delay_alu instid0(VALU_DEP_1) | instskip(SKIP_2) | instid1(VALU_DEP_4)
	v_or_b32_e32 v14, 0x800000, v12
	v_cmp_eq_u32_e32 vcc_lo, 0, v9
	v_add_nc_u32_e32 v9, 0xffffff91, v9
	v_cndmask_b32_e64 v13, v13, 0x6f, vcc_lo
	s_delay_alu instid0(VALU_DEP_4) | instskip(NEXT) | instid1(VALU_DEP_3)
	v_cndmask_b32_e32 v12, v14, v12, vcc_lo
	v_cndmask_b32_e64 v9, v9, 0xffffff92, vcc_lo
	s_delay_alu instid0(VALU_DEP_3) | instskip(NEXT) | instid1(VALU_DEP_3)
	v_lshl_add_u32 v14, 0x200000, v13, -1
	v_lshrrev_b32_e32 v15, v13, v12
	v_lshlrev_b32_e64 v17, v13, 0x100000
	s_delay_alu instid0(VALU_DEP_4) | instskip(NEXT) | instid1(VALU_DEP_4)
	v_add_nc_u32_e32 v13, v13, v9
	v_and_b32_e32 v12, v14, v12
	s_delay_alu instid0(VALU_DEP_4) | instskip(NEXT) | instid1(VALU_DEP_2)
	v_bfe_u32 v16, v15, 21, 1
	v_cmp_eq_u32_e64 s13, v12, v17
	s_delay_alu instid0(VALU_DEP_2) | instskip(NEXT) | instid1(VALU_DEP_1)
	v_add_nc_u32_e32 v14, -1, v16
	v_cndmask_b32_e64 v12, 0, v14, s13
	v_lshrrev_b32_e32 v14, 23, v15
	s_mov_b32 s13, exec_lo
	s_delay_alu instid0(VALU_DEP_2) | instskip(NEXT) | instid1(VALU_DEP_2)
	v_add_nc_u32_e32 v12, v12, v15
	v_xor_b32_e32 v14, 1, v14
	s_delay_alu instid0(VALU_DEP_2) | instskip(NEXT) | instid1(VALU_DEP_1)
	v_and_b32_e32 v9, 0x1fffff, v12
	v_add_nc_u32_e32 v12, v9, v15
                                        ; implicit-def: $vgpr9
	s_delay_alu instid0(VALU_DEP_3)
	v_cmpx_ne_u32_e64 v13, v14
	s_xor_b32 s13, exec_lo, s13
; %bb.12967:                            ;   in Loop: Header=BB6_12675 Depth=3
	s_delay_alu instid0(VALU_DEP_2) | instskip(SKIP_2) | instid1(VALU_DEP_2)
	v_cmp_lt_u32_e32 vcc_lo, 0xffffff, v12
	v_sub_nc_u32_e32 v9, v13, v14
	v_cndmask_b32_e64 v13, 0, 1, vcc_lo
	v_add_co_ci_u32_e32 v9, vcc_lo, 0, v9, vcc_lo
	s_delay_alu instid0(VALU_DEP_2)
	v_lshrrev_b32_e32 v12, v13, v12
; %bb.12968:                            ;   in Loop: Header=BB6_12675 Depth=3
	s_and_not1_saveexec_b32 s13, s13
; %bb.12969:                            ;   in Loop: Header=BB6_12675 Depth=3
	s_delay_alu instid0(VALU_DEP_1)
	v_bfe_u32 v9, v12, 23, 1
; %bb.12970:                            ;   in Loop: Header=BB6_12675 Depth=3
	s_or_b32 exec_lo, exec_lo, s13
	v_lshrrev_b32_e32 v12, 21, v12
	s_delay_alu instid0(VALU_DEP_2) | instskip(SKIP_2) | instid1(VALU_DEP_3)
	v_min_i32_e32 v13, 31, v9
	v_cmp_gt_i32_e32 vcc_lo, 32, v9
	v_lshrrev_b32_e32 v8, 24, v8
	v_dual_cndmask_b32 v12, 3, v12 :: v_dual_lshlrev_b32 v13, 2, v13
	s_delay_alu instid0(VALU_DEP_2) | instskip(NEXT) | instid1(VALU_DEP_2)
	v_and_b32_e32 v8, 0x80, v8
	v_and_b32_e32 v13, 0xfc, v13
	s_delay_alu instid0(VALU_DEP_3) | instskip(SKIP_1) | instid1(VALU_DEP_2)
	v_and_b32_e32 v14, 3, v12
	v_or_b32_e32 v9, v9, v12
	v_or3_b32 v8, v8, v13, v14
	s_delay_alu instid0(VALU_DEP_2) | instskip(NEXT) | instid1(VALU_DEP_2)
	v_cmp_ne_u32_e32 vcc_lo, 0, v9
	v_lshlrev_b32_e32 v8, 8, v8
	s_delay_alu instid0(VALU_DEP_1)
	v_cndmask_b32_e32 v109, 0, v8, vcc_lo
.LBB6_12971:                            ;   in Loop: Header=BB6_12675 Depth=3
	s_or_b32 exec_lo, exec_lo, s31
.LBB6_12972:                            ;   in Loop: Header=BB6_12675 Depth=3
	s_delay_alu instid0(SALU_CYCLE_1) | instskip(SKIP_3) | instid1(VALU_DEP_1)
	s_or_b32 exec_lo, exec_lo, s30
	v_and_b32_e32 v9, 0xff, v10
	s_mov_b32 s13, 0
	s_mov_b32 s31, exec_lo
                                        ; implicit-def: $sgpr30
	v_cmpx_lt_i16_e32 0x7f, v9
	s_xor_b32 s31, exec_lo, s31
	s_cbranch_execnz .LBB6_14570
; %bb.12973:                            ;   in Loop: Header=BB6_12675 Depth=3
	s_or_saveexec_b32 s31, s31
	v_mov_b32_e32 v8, s30
	s_xor_b32 exec_lo, exec_lo, s31
	s_cbranch_execnz .LBB6_14573
.LBB6_12974:                            ;   in Loop: Header=BB6_12675 Depth=3
	s_or_b32 exec_lo, exec_lo, s31
	s_and_saveexec_b32 s30, s13
	s_cbranch_execz .LBB6_12976
.LBB6_12975:                            ;   in Loop: Header=BB6_12675 Depth=3
	v_bfe_u32 v13, v10, 2, 5
	v_lshlrev_b32_e32 v14, 24, v10
	s_delay_alu instid0(VALU_DEP_2) | instskip(SKIP_1) | instid1(VALU_DEP_1)
	v_cmp_eq_u32_e32 vcc_lo, 0, v13
	v_and_b32_e32 v8, 3, v10
	v_clz_i32_u32_e32 v9, v8
	s_delay_alu instid0(VALU_DEP_1) | instskip(NEXT) | instid1(VALU_DEP_1)
	v_min_u32_e32 v9, 32, v9
	v_subrev_nc_u32_e32 v12, 29, v9
	v_sub_nc_u32_e32 v9, 30, v9
	s_delay_alu instid0(VALU_DEP_1) | instskip(NEXT) | instid1(VALU_DEP_1)
	v_dual_cndmask_b32 v9, v13, v9 :: v_dual_lshlrev_b32 v12, v12, v10
	v_and_b32_e32 v12, 3, v12
	s_delay_alu instid0(VALU_DEP_2) | instskip(NEXT) | instid1(VALU_DEP_2)
	v_lshl_add_u32 v9, v9, 23, 0x37800000
	v_cndmask_b32_e32 v8, v8, v12, vcc_lo
	v_and_b32_e32 v12, 0x80000000, v14
	s_delay_alu instid0(VALU_DEP_2) | instskip(NEXT) | instid1(VALU_DEP_1)
	v_lshlrev_b32_e32 v8, 21, v8
	v_or3_b32 v8, v12, v9, v8
.LBB6_12976:                            ;   in Loop: Header=BB6_12675 Depth=3
	s_or_b32 exec_lo, exec_lo, s30
	s_delay_alu instid0(VALU_DEP_1) | instskip(SKIP_1) | instid1(VALU_DEP_1)
	v_dual_mul_f32 v8, s17, v8 :: v_dual_mov_b32 v95, 0x80
	s_mov_b32 s30, exec_lo
	v_and_b32_e32 v9, 0x7f800000, v8
	s_delay_alu instid0(VALU_DEP_1)
	v_cmpx_ne_u32_e32 0x7f800000, v9
	s_cbranch_execz .LBB6_12984
; %bb.12977:                            ;   in Loop: Header=BB6_12675 Depth=3
	v_mov_b32_e32 v95, 0
	s_mov_b32 s31, exec_lo
	v_cmpx_ne_u32_e32 0, v8
	s_cbranch_execz .LBB6_12983
; %bb.12978:                            ;   in Loop: Header=BB6_12675 Depth=3
	v_bfe_u32 v9, v8, 23, 8
	s_delay_alu instid0(VALU_DEP_1) | instskip(SKIP_1) | instid1(VALU_DEP_2)
	v_sub_nc_u32_e32 v13, 0x70, v9
	v_cmp_gt_u32_e32 vcc_lo, 0x71, v9
	v_dual_cndmask_b32 v13, 0, v13 :: v_dual_and_b32 v12, 0x7fffff, v8
	s_delay_alu instid0(VALU_DEP_1) | instskip(SKIP_2) | instid1(VALU_DEP_4)
	v_or_b32_e32 v14, 0x800000, v12
	v_cmp_eq_u32_e32 vcc_lo, 0, v9
	v_add_nc_u32_e32 v9, 0xffffff91, v9
	v_cndmask_b32_e64 v13, v13, 0x6f, vcc_lo
	s_delay_alu instid0(VALU_DEP_4) | instskip(NEXT) | instid1(VALU_DEP_3)
	v_cndmask_b32_e32 v12, v14, v12, vcc_lo
	v_cndmask_b32_e64 v9, v9, 0xffffff92, vcc_lo
	s_delay_alu instid0(VALU_DEP_3) | instskip(NEXT) | instid1(VALU_DEP_3)
	v_lshl_add_u32 v14, 0x200000, v13, -1
	v_lshrrev_b32_e32 v15, v13, v12
	v_lshlrev_b32_e64 v17, v13, 0x100000
	s_delay_alu instid0(VALU_DEP_4) | instskip(NEXT) | instid1(VALU_DEP_4)
	v_add_nc_u32_e32 v13, v13, v9
	v_and_b32_e32 v12, v14, v12
	s_delay_alu instid0(VALU_DEP_4) | instskip(NEXT) | instid1(VALU_DEP_2)
	v_bfe_u32 v16, v15, 21, 1
	v_cmp_eq_u32_e64 s13, v12, v17
	s_delay_alu instid0(VALU_DEP_2) | instskip(NEXT) | instid1(VALU_DEP_1)
	v_add_nc_u32_e32 v14, -1, v16
	v_cndmask_b32_e64 v12, 0, v14, s13
	v_lshrrev_b32_e32 v14, 23, v15
	s_mov_b32 s13, exec_lo
	s_delay_alu instid0(VALU_DEP_2) | instskip(NEXT) | instid1(VALU_DEP_2)
	v_add_nc_u32_e32 v12, v12, v15
	v_xor_b32_e32 v14, 1, v14
	s_delay_alu instid0(VALU_DEP_2) | instskip(NEXT) | instid1(VALU_DEP_1)
	v_and_b32_e32 v9, 0x1fffff, v12
	v_add_nc_u32_e32 v12, v9, v15
                                        ; implicit-def: $vgpr9
	s_delay_alu instid0(VALU_DEP_3)
	v_cmpx_ne_u32_e64 v13, v14
	s_xor_b32 s13, exec_lo, s13
; %bb.12979:                            ;   in Loop: Header=BB6_12675 Depth=3
	s_delay_alu instid0(VALU_DEP_2) | instskip(SKIP_2) | instid1(VALU_DEP_2)
	v_cmp_lt_u32_e32 vcc_lo, 0xffffff, v12
	v_sub_nc_u32_e32 v9, v13, v14
	v_cndmask_b32_e64 v13, 0, 1, vcc_lo
	v_add_co_ci_u32_e32 v9, vcc_lo, 0, v9, vcc_lo
	s_delay_alu instid0(VALU_DEP_2)
	v_lshrrev_b32_e32 v12, v13, v12
; %bb.12980:                            ;   in Loop: Header=BB6_12675 Depth=3
	s_and_not1_saveexec_b32 s13, s13
; %bb.12981:                            ;   in Loop: Header=BB6_12675 Depth=3
	s_delay_alu instid0(VALU_DEP_1)
	v_bfe_u32 v9, v12, 23, 1
; %bb.12982:                            ;   in Loop: Header=BB6_12675 Depth=3
	s_or_b32 exec_lo, exec_lo, s13
	v_lshrrev_b32_e32 v12, 21, v12
	s_delay_alu instid0(VALU_DEP_2) | instskip(SKIP_2) | instid1(VALU_DEP_4)
	v_cmp_gt_i32_e32 vcc_lo, 32, v9
	v_lshrrev_b32_e32 v8, 24, v8
	v_min_i32_e32 v13, 31, v9
	v_cndmask_b32_e32 v12, 3, v12, vcc_lo
	s_delay_alu instid0(VALU_DEP_3) | instskip(NEXT) | instid1(VALU_DEP_3)
	v_and_b32_e32 v8, 0x80, v8
	v_lshlrev_b32_e32 v13, 2, v13
	s_delay_alu instid0(VALU_DEP_3) | instskip(SKIP_1) | instid1(VALU_DEP_2)
	v_and_b32_e32 v14, 3, v12
	v_or_b32_e32 v9, v9, v12
	v_or3_b32 v8, v13, v8, v14
	s_delay_alu instid0(VALU_DEP_2) | instskip(NEXT) | instid1(VALU_DEP_2)
	v_cmp_ne_u32_e32 vcc_lo, 0, v9
	v_cndmask_b32_e32 v95, 0, v8, vcc_lo
.LBB6_12983:                            ;   in Loop: Header=BB6_12675 Depth=3
	s_or_b32 exec_lo, exec_lo, s31
.LBB6_12984:                            ;   in Loop: Header=BB6_12675 Depth=3
	s_delay_alu instid0(SALU_CYCLE_1) | instskip(SKIP_3) | instid1(VALU_DEP_1)
	s_or_b32 exec_lo, exec_lo, s30
	v_lshrrev_b16 v8, 8, v10
	s_mov_b32 s13, 0
	s_mov_b32 s31, exec_lo
                                        ; implicit-def: $sgpr30
	v_cmpx_lt_i16_e32 0x7f, v8
	s_xor_b32 s31, exec_lo, s31
	s_cbranch_execnz .LBB6_14574
; %bb.12985:                            ;   in Loop: Header=BB6_12675 Depth=3
	s_or_saveexec_b32 s31, s31
	v_mov_b32_e32 v9, s30
	s_xor_b32 exec_lo, exec_lo, s31
	s_cbranch_execnz .LBB6_14577
.LBB6_12986:                            ;   in Loop: Header=BB6_12675 Depth=3
	s_or_b32 exec_lo, exec_lo, s31
	s_and_saveexec_b32 s30, s13
	s_cbranch_execz .LBB6_12988
.LBB6_12987:                            ;   in Loop: Header=BB6_12675 Depth=3
	v_and_b32_e32 v9, 0xffff, v8
	v_lshlrev_b32_e32 v8, 24, v8
	s_delay_alu instid0(VALU_DEP_2) | instskip(NEXT) | instid1(VALU_DEP_2)
	v_and_b32_e32 v12, 3, v9
	v_and_b32_e32 v8, 0x80000000, v8
	s_delay_alu instid0(VALU_DEP_2) | instskip(NEXT) | instid1(VALU_DEP_1)
	v_clz_i32_u32_e32 v13, v12
	v_min_u32_e32 v13, 32, v13
	s_delay_alu instid0(VALU_DEP_1) | instskip(SKIP_1) | instid1(VALU_DEP_2)
	v_subrev_nc_u32_e32 v14, 29, v13
	v_sub_nc_u32_e32 v13, 30, v13
	v_lshlrev_b32_e32 v14, v14, v9
	v_bfe_u32 v9, v9, 2, 5
	s_delay_alu instid0(VALU_DEP_1) | instskip(NEXT) | instid1(VALU_DEP_3)
	v_cmp_eq_u32_e32 vcc_lo, 0, v9
	v_dual_cndmask_b32 v9, v9, v13 :: v_dual_and_b32 v14, 3, v14
	s_delay_alu instid0(VALU_DEP_1) | instskip(NEXT) | instid1(VALU_DEP_2)
	v_cndmask_b32_e32 v12, v12, v14, vcc_lo
	v_lshl_add_u32 v9, v9, 23, 0x37800000
	s_delay_alu instid0(VALU_DEP_2) | instskip(NEXT) | instid1(VALU_DEP_1)
	v_lshlrev_b32_e32 v12, 21, v12
	v_or3_b32 v9, v8, v9, v12
.LBB6_12988:                            ;   in Loop: Header=BB6_12675 Depth=3
	s_or_b32 exec_lo, exec_lo, s30
	s_delay_alu instid0(VALU_DEP_1) | instskip(SKIP_1) | instid1(VALU_DEP_1)
	v_dual_mul_f32 v8, s17, v9 :: v_dual_mov_b32 v93, 0x80
	s_mov_b32 s30, exec_lo
	v_and_b32_e32 v9, 0x7f800000, v8
	s_delay_alu instid0(VALU_DEP_1)
	v_cmpx_ne_u32_e32 0x7f800000, v9
	s_cbranch_execz .LBB6_12996
; %bb.12989:                            ;   in Loop: Header=BB6_12675 Depth=3
	v_mov_b32_e32 v93, 0
	s_mov_b32 s31, exec_lo
	v_cmpx_ne_u32_e32 0, v8
	s_cbranch_execz .LBB6_12995
; %bb.12990:                            ;   in Loop: Header=BB6_12675 Depth=3
	v_bfe_u32 v9, v8, 23, 8
	s_delay_alu instid0(VALU_DEP_1) | instskip(SKIP_1) | instid1(VALU_DEP_2)
	v_sub_nc_u32_e32 v13, 0x70, v9
	v_cmp_gt_u32_e32 vcc_lo, 0x71, v9
	v_dual_cndmask_b32 v13, 0, v13 :: v_dual_and_b32 v12, 0x7fffff, v8
	s_delay_alu instid0(VALU_DEP_1) | instskip(SKIP_2) | instid1(VALU_DEP_4)
	v_or_b32_e32 v14, 0x800000, v12
	v_cmp_eq_u32_e32 vcc_lo, 0, v9
	v_add_nc_u32_e32 v9, 0xffffff91, v9
	v_cndmask_b32_e64 v13, v13, 0x6f, vcc_lo
	s_delay_alu instid0(VALU_DEP_4) | instskip(NEXT) | instid1(VALU_DEP_3)
	v_cndmask_b32_e32 v12, v14, v12, vcc_lo
	v_cndmask_b32_e64 v9, v9, 0xffffff92, vcc_lo
	s_delay_alu instid0(VALU_DEP_3) | instskip(NEXT) | instid1(VALU_DEP_3)
	v_lshl_add_u32 v14, 0x200000, v13, -1
	v_lshrrev_b32_e32 v15, v13, v12
	v_lshlrev_b32_e64 v17, v13, 0x100000
	s_delay_alu instid0(VALU_DEP_4) | instskip(NEXT) | instid1(VALU_DEP_4)
	v_add_nc_u32_e32 v13, v13, v9
	v_and_b32_e32 v12, v14, v12
	s_delay_alu instid0(VALU_DEP_4) | instskip(NEXT) | instid1(VALU_DEP_2)
	v_bfe_u32 v16, v15, 21, 1
	v_cmp_eq_u32_e64 s13, v12, v17
	s_delay_alu instid0(VALU_DEP_2) | instskip(NEXT) | instid1(VALU_DEP_1)
	v_add_nc_u32_e32 v14, -1, v16
	v_cndmask_b32_e64 v12, 0, v14, s13
	v_lshrrev_b32_e32 v14, 23, v15
	s_mov_b32 s13, exec_lo
	s_delay_alu instid0(VALU_DEP_2) | instskip(NEXT) | instid1(VALU_DEP_2)
	v_add_nc_u32_e32 v12, v12, v15
	v_xor_b32_e32 v14, 1, v14
	s_delay_alu instid0(VALU_DEP_2) | instskip(NEXT) | instid1(VALU_DEP_1)
	v_and_b32_e32 v9, 0x1fffff, v12
	v_add_nc_u32_e32 v12, v9, v15
                                        ; implicit-def: $vgpr9
	s_delay_alu instid0(VALU_DEP_3)
	v_cmpx_ne_u32_e64 v13, v14
	s_xor_b32 s13, exec_lo, s13
; %bb.12991:                            ;   in Loop: Header=BB6_12675 Depth=3
	s_delay_alu instid0(VALU_DEP_2) | instskip(SKIP_2) | instid1(VALU_DEP_2)
	v_cmp_lt_u32_e32 vcc_lo, 0xffffff, v12
	v_sub_nc_u32_e32 v9, v13, v14
	v_cndmask_b32_e64 v13, 0, 1, vcc_lo
	v_add_co_ci_u32_e32 v9, vcc_lo, 0, v9, vcc_lo
	s_delay_alu instid0(VALU_DEP_2)
	v_lshrrev_b32_e32 v12, v13, v12
; %bb.12992:                            ;   in Loop: Header=BB6_12675 Depth=3
	s_and_not1_saveexec_b32 s13, s13
; %bb.12993:                            ;   in Loop: Header=BB6_12675 Depth=3
	s_delay_alu instid0(VALU_DEP_1)
	v_bfe_u32 v9, v12, 23, 1
; %bb.12994:                            ;   in Loop: Header=BB6_12675 Depth=3
	s_or_b32 exec_lo, exec_lo, s13
	v_lshrrev_b32_e32 v12, 21, v12
	s_delay_alu instid0(VALU_DEP_2) | instskip(SKIP_2) | instid1(VALU_DEP_4)
	v_cmp_gt_i32_e32 vcc_lo, 32, v9
	v_lshrrev_b32_e32 v8, 24, v8
	v_min_i32_e32 v13, 31, v9
	v_cndmask_b32_e32 v12, 3, v12, vcc_lo
	s_delay_alu instid0(VALU_DEP_3) | instskip(NEXT) | instid1(VALU_DEP_3)
	v_and_b32_e32 v8, 0x80, v8
	v_lshlrev_b32_e32 v13, 2, v13
	s_delay_alu instid0(VALU_DEP_3) | instskip(SKIP_1) | instid1(VALU_DEP_2)
	v_and_b32_e32 v14, 3, v12
	v_or_b32_e32 v9, v9, v12
	v_or3_b32 v8, v13, v8, v14
	s_delay_alu instid0(VALU_DEP_2) | instskip(NEXT) | instid1(VALU_DEP_2)
	v_cmp_ne_u32_e32 vcc_lo, 0, v9
	v_cndmask_b32_e32 v93, 0, v8, vcc_lo
.LBB6_12995:                            ;   in Loop: Header=BB6_12675 Depth=3
	s_or_b32 exec_lo, exec_lo, s31
.LBB6_12996:                            ;   in Loop: Header=BB6_12675 Depth=3
	s_delay_alu instid0(SALU_CYCLE_1) | instskip(SKIP_3) | instid1(VALU_DEP_1)
	s_or_b32 exec_lo, exec_lo, s30
	v_lshrrev_b32_e32 v8, 16, v10
	s_mov_b32 s13, 0
	s_mov_b32 s31, exec_lo
                                        ; implicit-def: $sgpr30
	v_and_b32_e32 v12, 0xff, v8
	s_delay_alu instid0(VALU_DEP_1)
	v_cmpx_lt_i16_e32 0x7f, v12
	s_xor_b32 s31, exec_lo, s31
	s_cbranch_execnz .LBB6_14578
; %bb.12997:                            ;   in Loop: Header=BB6_12675 Depth=3
	s_or_saveexec_b32 s31, s31
	v_mov_b32_e32 v9, s30
	s_xor_b32 exec_lo, exec_lo, s31
	s_cbranch_execnz .LBB6_14581
.LBB6_12998:                            ;   in Loop: Header=BB6_12675 Depth=3
	s_or_b32 exec_lo, exec_lo, s31
	s_and_saveexec_b32 s30, s13
	s_cbranch_execz .LBB6_13000
.LBB6_12999:                            ;   in Loop: Header=BB6_12675 Depth=3
	v_bfe_u32 v9, v10, 16, 2
	v_lshlrev_b32_e32 v14, 8, v10
	s_delay_alu instid0(VALU_DEP_2) | instskip(NEXT) | instid1(VALU_DEP_1)
	v_clz_i32_u32_e32 v12, v9
	v_min_u32_e32 v12, 32, v12
	s_delay_alu instid0(VALU_DEP_1) | instskip(SKIP_1) | instid1(VALU_DEP_2)
	v_subrev_nc_u32_e32 v13, 29, v12
	v_sub_nc_u32_e32 v12, 30, v12
	v_lshlrev_b32_e32 v8, v13, v8
	v_bfe_u32 v13, v10, 18, 5
	s_delay_alu instid0(VALU_DEP_2) | instskip(NEXT) | instid1(VALU_DEP_2)
	v_and_b32_e32 v8, 3, v8
	v_cmp_eq_u32_e32 vcc_lo, 0, v13
	v_cndmask_b32_e32 v12, v13, v12, vcc_lo
	s_delay_alu instid0(VALU_DEP_3) | instskip(NEXT) | instid1(VALU_DEP_2)
	v_dual_cndmask_b32 v8, v9, v8 :: v_dual_and_b32 v9, 0x80000000, v14
	v_lshl_add_u32 v12, v12, 23, 0x37800000
	s_delay_alu instid0(VALU_DEP_2) | instskip(NEXT) | instid1(VALU_DEP_1)
	v_lshlrev_b32_e32 v8, 21, v8
	v_or3_b32 v9, v9, v12, v8
.LBB6_13000:                            ;   in Loop: Header=BB6_12675 Depth=3
	s_or_b32 exec_lo, exec_lo, s30
	s_delay_alu instid0(VALU_DEP_1) | instskip(SKIP_2) | instid1(VALU_DEP_2)
	v_mul_f32_e32 v8, s17, v9
	v_mov_b32_e32 v92, 0x80
	s_mov_b32 s30, exec_lo
	v_and_b32_e32 v9, 0x7f800000, v8
	s_delay_alu instid0(VALU_DEP_1)
	v_cmpx_ne_u32_e32 0x7f800000, v9
	s_cbranch_execz .LBB6_13008
; %bb.13001:                            ;   in Loop: Header=BB6_12675 Depth=3
	v_mov_b32_e32 v92, 0
	s_mov_b32 s31, exec_lo
	v_cmpx_ne_u32_e32 0, v8
	s_cbranch_execz .LBB6_13007
; %bb.13002:                            ;   in Loop: Header=BB6_12675 Depth=3
	v_bfe_u32 v9, v8, 23, 8
	s_delay_alu instid0(VALU_DEP_1) | instskip(SKIP_1) | instid1(VALU_DEP_2)
	v_sub_nc_u32_e32 v13, 0x70, v9
	v_cmp_gt_u32_e32 vcc_lo, 0x71, v9
	v_dual_cndmask_b32 v13, 0, v13 :: v_dual_and_b32 v12, 0x7fffff, v8
	s_delay_alu instid0(VALU_DEP_1) | instskip(SKIP_2) | instid1(VALU_DEP_4)
	v_or_b32_e32 v14, 0x800000, v12
	v_cmp_eq_u32_e32 vcc_lo, 0, v9
	v_add_nc_u32_e32 v9, 0xffffff91, v9
	v_cndmask_b32_e64 v13, v13, 0x6f, vcc_lo
	s_delay_alu instid0(VALU_DEP_4) | instskip(NEXT) | instid1(VALU_DEP_3)
	v_cndmask_b32_e32 v12, v14, v12, vcc_lo
	v_cndmask_b32_e64 v9, v9, 0xffffff92, vcc_lo
	s_delay_alu instid0(VALU_DEP_3) | instskip(NEXT) | instid1(VALU_DEP_3)
	v_lshl_add_u32 v14, 0x200000, v13, -1
	v_lshrrev_b32_e32 v15, v13, v12
	v_lshlrev_b32_e64 v17, v13, 0x100000
	s_delay_alu instid0(VALU_DEP_4) | instskip(NEXT) | instid1(VALU_DEP_4)
	v_add_nc_u32_e32 v13, v13, v9
	v_and_b32_e32 v12, v14, v12
	s_delay_alu instid0(VALU_DEP_4) | instskip(NEXT) | instid1(VALU_DEP_2)
	v_bfe_u32 v16, v15, 21, 1
	v_cmp_eq_u32_e64 s13, v12, v17
	s_delay_alu instid0(VALU_DEP_2) | instskip(NEXT) | instid1(VALU_DEP_1)
	v_add_nc_u32_e32 v14, -1, v16
	v_cndmask_b32_e64 v12, 0, v14, s13
	v_lshrrev_b32_e32 v14, 23, v15
	s_mov_b32 s13, exec_lo
	s_delay_alu instid0(VALU_DEP_2) | instskip(NEXT) | instid1(VALU_DEP_2)
	v_add_nc_u32_e32 v12, v12, v15
	v_xor_b32_e32 v14, 1, v14
	s_delay_alu instid0(VALU_DEP_2) | instskip(NEXT) | instid1(VALU_DEP_1)
	v_and_b32_e32 v9, 0x1fffff, v12
	v_add_nc_u32_e32 v12, v9, v15
                                        ; implicit-def: $vgpr9
	s_delay_alu instid0(VALU_DEP_3)
	v_cmpx_ne_u32_e64 v13, v14
	s_xor_b32 s13, exec_lo, s13
; %bb.13003:                            ;   in Loop: Header=BB6_12675 Depth=3
	s_delay_alu instid0(VALU_DEP_2) | instskip(SKIP_2) | instid1(VALU_DEP_2)
	v_cmp_lt_u32_e32 vcc_lo, 0xffffff, v12
	v_sub_nc_u32_e32 v9, v13, v14
	v_cndmask_b32_e64 v13, 0, 1, vcc_lo
	v_add_co_ci_u32_e32 v9, vcc_lo, 0, v9, vcc_lo
	s_delay_alu instid0(VALU_DEP_2)
	v_lshrrev_b32_e32 v12, v13, v12
; %bb.13004:                            ;   in Loop: Header=BB6_12675 Depth=3
	s_and_not1_saveexec_b32 s13, s13
; %bb.13005:                            ;   in Loop: Header=BB6_12675 Depth=3
	s_delay_alu instid0(VALU_DEP_1)
	v_bfe_u32 v9, v12, 23, 1
; %bb.13006:                            ;   in Loop: Header=BB6_12675 Depth=3
	s_or_b32 exec_lo, exec_lo, s13
	v_lshrrev_b32_e32 v12, 21, v12
	s_delay_alu instid0(VALU_DEP_2) | instskip(SKIP_2) | instid1(VALU_DEP_4)
	v_cmp_gt_i32_e32 vcc_lo, 32, v9
	v_lshrrev_b32_e32 v8, 24, v8
	v_min_i32_e32 v13, 31, v9
	v_cndmask_b32_e32 v12, 3, v12, vcc_lo
	s_delay_alu instid0(VALU_DEP_3) | instskip(NEXT) | instid1(VALU_DEP_3)
	v_and_b32_e32 v8, 0x80, v8
	v_lshlrev_b32_e32 v13, 2, v13
	s_delay_alu instid0(VALU_DEP_3) | instskip(SKIP_1) | instid1(VALU_DEP_2)
	v_and_b32_e32 v14, 3, v12
	v_or_b32_e32 v9, v9, v12
	v_or3_b32 v8, v13, v8, v14
	s_delay_alu instid0(VALU_DEP_2) | instskip(NEXT) | instid1(VALU_DEP_2)
	v_cmp_ne_u32_e32 vcc_lo, 0, v9
	v_cndmask_b32_e32 v92, 0, v8, vcc_lo
.LBB6_13007:                            ;   in Loop: Header=BB6_12675 Depth=3
	s_or_b32 exec_lo, exec_lo, s31
.LBB6_13008:                            ;   in Loop: Header=BB6_12675 Depth=3
	s_delay_alu instid0(SALU_CYCLE_1) | instskip(SKIP_3) | instid1(VALU_DEP_1)
	s_or_b32 exec_lo, exec_lo, s30
	v_lshrrev_b32_e32 v8, 24, v10
	s_mov_b32 s13, 0
	s_mov_b32 s31, exec_lo
                                        ; implicit-def: $sgpr30
	v_cmpx_lt_i16_e32 0x7f, v8
	s_xor_b32 s31, exec_lo, s31
	s_cbranch_execnz .LBB6_14582
; %bb.13009:                            ;   in Loop: Header=BB6_12675 Depth=3
	s_or_saveexec_b32 s31, s31
	v_mov_b32_e32 v9, s30
	s_xor_b32 exec_lo, exec_lo, s31
	s_cbranch_execnz .LBB6_14585
.LBB6_13010:                            ;   in Loop: Header=BB6_12675 Depth=3
	s_or_b32 exec_lo, exec_lo, s31
	s_and_saveexec_b32 s30, s13
	s_cbranch_execz .LBB6_13012
.LBB6_13011:                            ;   in Loop: Header=BB6_12675 Depth=3
	v_bfe_u32 v9, v10, 24, 2
	s_delay_alu instid0(VALU_DEP_1) | instskip(NEXT) | instid1(VALU_DEP_1)
	v_clz_i32_u32_e32 v12, v9
	v_min_u32_e32 v12, 32, v12
	s_delay_alu instid0(VALU_DEP_1) | instskip(SKIP_1) | instid1(VALU_DEP_2)
	v_subrev_nc_u32_e32 v13, 29, v12
	v_sub_nc_u32_e32 v12, 30, v12
	v_lshlrev_b32_e32 v8, v13, v8
	v_bfe_u32 v13, v10, 26, 5
	s_delay_alu instid0(VALU_DEP_2) | instskip(NEXT) | instid1(VALU_DEP_2)
	v_and_b32_e32 v8, 3, v8
	v_cmp_eq_u32_e32 vcc_lo, 0, v13
	v_cndmask_b32_e32 v12, v13, v12, vcc_lo
	s_delay_alu instid0(VALU_DEP_3) | instskip(NEXT) | instid1(VALU_DEP_2)
	v_dual_cndmask_b32 v8, v9, v8 :: v_dual_and_b32 v9, 0x80000000, v10
	v_lshl_add_u32 v10, v12, 23, 0x37800000
	s_delay_alu instid0(VALU_DEP_2) | instskip(NEXT) | instid1(VALU_DEP_1)
	v_lshlrev_b32_e32 v8, 21, v8
	v_or3_b32 v9, v9, v10, v8
.LBB6_13012:                            ;   in Loop: Header=BB6_12675 Depth=3
	s_or_b32 exec_lo, exec_lo, s30
	s_delay_alu instid0(VALU_DEP_1) | instskip(SKIP_2) | instid1(VALU_DEP_2)
	v_mul_f32_e32 v8, s17, v9
	v_mov_b32_e32 v90, 0x80
	s_mov_b32 s30, exec_lo
	v_and_b32_e32 v9, 0x7f800000, v8
	s_delay_alu instid0(VALU_DEP_1)
	v_cmpx_ne_u32_e32 0x7f800000, v9
	s_cbranch_execz .LBB6_13020
; %bb.13013:                            ;   in Loop: Header=BB6_12675 Depth=3
	v_mov_b32_e32 v90, 0
	s_mov_b32 s31, exec_lo
	v_cmpx_ne_u32_e32 0, v8
	s_cbranch_execz .LBB6_13019
; %bb.13014:                            ;   in Loop: Header=BB6_12675 Depth=3
	v_bfe_u32 v9, v8, 23, 8
	v_and_b32_e32 v10, 0x7fffff, v8
	s_delay_alu instid0(VALU_DEP_2) | instskip(SKIP_1) | instid1(VALU_DEP_3)
	v_sub_nc_u32_e32 v12, 0x70, v9
	v_cmp_gt_u32_e32 vcc_lo, 0x71, v9
	v_or_b32_e32 v13, 0x800000, v10
	s_delay_alu instid0(VALU_DEP_3) | instskip(SKIP_2) | instid1(VALU_DEP_3)
	v_cndmask_b32_e32 v12, 0, v12, vcc_lo
	v_cmp_eq_u32_e32 vcc_lo, 0, v9
	v_add_nc_u32_e32 v9, 0xffffff91, v9
	v_cndmask_b32_e64 v12, v12, 0x6f, vcc_lo
	v_cndmask_b32_e32 v10, v13, v10, vcc_lo
	s_delay_alu instid0(VALU_DEP_3) | instskip(NEXT) | instid1(VALU_DEP_3)
	v_cndmask_b32_e64 v9, v9, 0xffffff92, vcc_lo
	v_lshl_add_u32 v13, 0x200000, v12, -1
	s_delay_alu instid0(VALU_DEP_3) | instskip(SKIP_1) | instid1(VALU_DEP_4)
	v_lshrrev_b32_e32 v14, v12, v10
	v_lshlrev_b32_e64 v16, v12, 0x100000
	v_add_nc_u32_e32 v12, v12, v9
	s_delay_alu instid0(VALU_DEP_4) | instskip(NEXT) | instid1(VALU_DEP_4)
	v_and_b32_e32 v10, v13, v10
	v_bfe_u32 v15, v14, 21, 1
	s_delay_alu instid0(VALU_DEP_2) | instskip(NEXT) | instid1(VALU_DEP_2)
	v_cmp_eq_u32_e64 s13, v10, v16
	v_add_nc_u32_e32 v13, -1, v15
	s_delay_alu instid0(VALU_DEP_1) | instskip(SKIP_2) | instid1(VALU_DEP_2)
	v_cndmask_b32_e64 v10, 0, v13, s13
	v_lshrrev_b32_e32 v13, 23, v14
	s_mov_b32 s13, exec_lo
	v_add_nc_u32_e32 v10, v10, v14
	s_delay_alu instid0(VALU_DEP_2) | instskip(NEXT) | instid1(VALU_DEP_2)
	v_xor_b32_e32 v13, 1, v13
	v_and_b32_e32 v9, 0x1fffff, v10
	s_delay_alu instid0(VALU_DEP_1) | instskip(NEXT) | instid1(VALU_DEP_3)
	v_add_nc_u32_e32 v10, v9, v14
                                        ; implicit-def: $vgpr9
	v_cmpx_ne_u32_e64 v12, v13
	s_xor_b32 s13, exec_lo, s13
; %bb.13015:                            ;   in Loop: Header=BB6_12675 Depth=3
	s_delay_alu instid0(VALU_DEP_2) | instskip(SKIP_2) | instid1(VALU_DEP_2)
	v_cmp_lt_u32_e32 vcc_lo, 0xffffff, v10
	v_sub_nc_u32_e32 v9, v12, v13
	v_cndmask_b32_e64 v12, 0, 1, vcc_lo
	v_add_co_ci_u32_e32 v9, vcc_lo, 0, v9, vcc_lo
	s_delay_alu instid0(VALU_DEP_2)
	v_lshrrev_b32_e32 v10, v12, v10
; %bb.13016:                            ;   in Loop: Header=BB6_12675 Depth=3
	s_and_not1_saveexec_b32 s13, s13
; %bb.13017:                            ;   in Loop: Header=BB6_12675 Depth=3
	s_delay_alu instid0(VALU_DEP_1)
	v_bfe_u32 v9, v10, 23, 1
; %bb.13018:                            ;   in Loop: Header=BB6_12675 Depth=3
	s_or_b32 exec_lo, exec_lo, s13
	v_lshrrev_b32_e32 v10, 21, v10
	s_delay_alu instid0(VALU_DEP_2) | instskip(SKIP_2) | instid1(VALU_DEP_4)
	v_cmp_gt_i32_e32 vcc_lo, 32, v9
	v_lshrrev_b32_e32 v8, 24, v8
	v_min_i32_e32 v12, 31, v9
	v_cndmask_b32_e32 v10, 3, v10, vcc_lo
	s_delay_alu instid0(VALU_DEP_3) | instskip(NEXT) | instid1(VALU_DEP_3)
	v_and_b32_e32 v8, 0x80, v8
	v_lshlrev_b32_e32 v12, 2, v12
	s_delay_alu instid0(VALU_DEP_3) | instskip(NEXT) | instid1(VALU_DEP_1)
	v_or_b32_e32 v9, v9, v10
	v_cmp_ne_u32_e32 vcc_lo, 0, v9
	v_and_b32_e32 v13, 3, v10
	s_delay_alu instid0(VALU_DEP_1) | instskip(NEXT) | instid1(VALU_DEP_1)
	v_or3_b32 v8, v12, v8, v13
	v_cndmask_b32_e32 v90, 0, v8, vcc_lo
.LBB6_13019:                            ;   in Loop: Header=BB6_12675 Depth=3
	s_or_b32 exec_lo, exec_lo, s31
.LBB6_13020:                            ;   in Loop: Header=BB6_12675 Depth=3
	s_delay_alu instid0(SALU_CYCLE_1) | instskip(SKIP_3) | instid1(VALU_DEP_1)
	s_or_b32 exec_lo, exec_lo, s30
	v_and_b32_e32 v9, 0xff, v11
	s_mov_b32 s13, 0
	s_mov_b32 s31, exec_lo
                                        ; implicit-def: $sgpr30
	v_cmpx_lt_i16_e32 0x7f, v9
	s_xor_b32 s31, exec_lo, s31
	s_cbranch_execnz .LBB6_14586
; %bb.13021:                            ;   in Loop: Header=BB6_12675 Depth=3
	s_or_saveexec_b32 s31, s31
	v_mov_b32_e32 v8, s30
	s_xor_b32 exec_lo, exec_lo, s31
	s_cbranch_execnz .LBB6_14589
.LBB6_13022:                            ;   in Loop: Header=BB6_12675 Depth=3
	s_or_b32 exec_lo, exec_lo, s31
	s_and_saveexec_b32 s30, s13
	s_cbranch_execz .LBB6_13024
.LBB6_13023:                            ;   in Loop: Header=BB6_12675 Depth=3
	v_bfe_u32 v12, v11, 2, 5
	s_delay_alu instid0(VALU_DEP_1) | instskip(SKIP_1) | instid1(VALU_DEP_1)
	v_cmp_eq_u32_e32 vcc_lo, 0, v12
	v_and_b32_e32 v8, 3, v11
	v_clz_i32_u32_e32 v9, v8
	s_delay_alu instid0(VALU_DEP_1) | instskip(NEXT) | instid1(VALU_DEP_1)
	v_min_u32_e32 v9, 32, v9
	v_subrev_nc_u32_e32 v10, 29, v9
	v_sub_nc_u32_e32 v9, 30, v9
	s_delay_alu instid0(VALU_DEP_1) | instskip(NEXT) | instid1(VALU_DEP_1)
	v_dual_cndmask_b32 v9, v12, v9 :: v_dual_lshlrev_b32 v10, v10, v11
	v_and_b32_e32 v10, 3, v10
	v_lshlrev_b32_e32 v13, 24, v11
	s_delay_alu instid0(VALU_DEP_3) | instskip(NEXT) | instid1(VALU_DEP_3)
	v_lshl_add_u32 v9, v9, 23, 0x37800000
	v_cndmask_b32_e32 v8, v8, v10, vcc_lo
	s_delay_alu instid0(VALU_DEP_3) | instskip(NEXT) | instid1(VALU_DEP_2)
	v_and_b32_e32 v10, 0x80000000, v13
	v_lshlrev_b32_e32 v8, 21, v8
	s_delay_alu instid0(VALU_DEP_1)
	v_or3_b32 v8, v10, v9, v8
.LBB6_13024:                            ;   in Loop: Header=BB6_12675 Depth=3
	s_or_b32 exec_lo, exec_lo, s30
	s_delay_alu instid0(VALU_DEP_1) | instskip(SKIP_1) | instid1(VALU_DEP_1)
	v_dual_mul_f32 v8, s17, v8 :: v_dual_mov_b32 v89, 0x80
	s_mov_b32 s30, exec_lo
	v_and_b32_e32 v9, 0x7f800000, v8
	s_delay_alu instid0(VALU_DEP_1)
	v_cmpx_ne_u32_e32 0x7f800000, v9
	s_cbranch_execz .LBB6_13032
; %bb.13025:                            ;   in Loop: Header=BB6_12675 Depth=3
	v_mov_b32_e32 v89, 0
	s_mov_b32 s31, exec_lo
	v_cmpx_ne_u32_e32 0, v8
	s_cbranch_execz .LBB6_13031
; %bb.13026:                            ;   in Loop: Header=BB6_12675 Depth=3
	v_bfe_u32 v9, v8, 23, 8
	v_and_b32_e32 v10, 0x7fffff, v8
	s_delay_alu instid0(VALU_DEP_2) | instskip(SKIP_1) | instid1(VALU_DEP_3)
	v_sub_nc_u32_e32 v12, 0x70, v9
	v_cmp_gt_u32_e32 vcc_lo, 0x71, v9
	v_or_b32_e32 v13, 0x800000, v10
	s_delay_alu instid0(VALU_DEP_3) | instskip(SKIP_2) | instid1(VALU_DEP_3)
	v_cndmask_b32_e32 v12, 0, v12, vcc_lo
	v_cmp_eq_u32_e32 vcc_lo, 0, v9
	v_add_nc_u32_e32 v9, 0xffffff91, v9
	v_cndmask_b32_e64 v12, v12, 0x6f, vcc_lo
	v_cndmask_b32_e32 v10, v13, v10, vcc_lo
	s_delay_alu instid0(VALU_DEP_3) | instskip(NEXT) | instid1(VALU_DEP_3)
	v_cndmask_b32_e64 v9, v9, 0xffffff92, vcc_lo
	v_lshl_add_u32 v13, 0x200000, v12, -1
	s_delay_alu instid0(VALU_DEP_3) | instskip(SKIP_1) | instid1(VALU_DEP_4)
	v_lshrrev_b32_e32 v14, v12, v10
	v_lshlrev_b32_e64 v16, v12, 0x100000
	v_add_nc_u32_e32 v12, v12, v9
	s_delay_alu instid0(VALU_DEP_4) | instskip(NEXT) | instid1(VALU_DEP_4)
	v_and_b32_e32 v10, v13, v10
	v_bfe_u32 v15, v14, 21, 1
	s_delay_alu instid0(VALU_DEP_2) | instskip(NEXT) | instid1(VALU_DEP_2)
	v_cmp_eq_u32_e64 s13, v10, v16
	v_add_nc_u32_e32 v13, -1, v15
	s_delay_alu instid0(VALU_DEP_1) | instskip(SKIP_2) | instid1(VALU_DEP_2)
	v_cndmask_b32_e64 v10, 0, v13, s13
	v_lshrrev_b32_e32 v13, 23, v14
	s_mov_b32 s13, exec_lo
	v_add_nc_u32_e32 v10, v10, v14
	s_delay_alu instid0(VALU_DEP_2) | instskip(NEXT) | instid1(VALU_DEP_2)
	v_xor_b32_e32 v13, 1, v13
	v_and_b32_e32 v9, 0x1fffff, v10
	s_delay_alu instid0(VALU_DEP_1) | instskip(NEXT) | instid1(VALU_DEP_3)
	v_add_nc_u32_e32 v10, v9, v14
                                        ; implicit-def: $vgpr9
	v_cmpx_ne_u32_e64 v12, v13
	s_xor_b32 s13, exec_lo, s13
; %bb.13027:                            ;   in Loop: Header=BB6_12675 Depth=3
	s_delay_alu instid0(VALU_DEP_2) | instskip(SKIP_2) | instid1(VALU_DEP_2)
	v_cmp_lt_u32_e32 vcc_lo, 0xffffff, v10
	v_sub_nc_u32_e32 v9, v12, v13
	v_cndmask_b32_e64 v12, 0, 1, vcc_lo
	v_add_co_ci_u32_e32 v9, vcc_lo, 0, v9, vcc_lo
	s_delay_alu instid0(VALU_DEP_2)
	v_lshrrev_b32_e32 v10, v12, v10
; %bb.13028:                            ;   in Loop: Header=BB6_12675 Depth=3
	s_and_not1_saveexec_b32 s13, s13
; %bb.13029:                            ;   in Loop: Header=BB6_12675 Depth=3
	s_delay_alu instid0(VALU_DEP_1)
	v_bfe_u32 v9, v10, 23, 1
; %bb.13030:                            ;   in Loop: Header=BB6_12675 Depth=3
	s_or_b32 exec_lo, exec_lo, s13
	v_lshrrev_b32_e32 v10, 21, v10
	s_delay_alu instid0(VALU_DEP_2) | instskip(SKIP_2) | instid1(VALU_DEP_3)
	v_min_i32_e32 v12, 31, v9
	v_cmp_gt_i32_e32 vcc_lo, 32, v9
	v_lshrrev_b32_e32 v8, 24, v8
	v_lshlrev_b32_e32 v12, 2, v12
	v_cndmask_b32_e32 v10, 3, v10, vcc_lo
	s_delay_alu instid0(VALU_DEP_3) | instskip(NEXT) | instid1(VALU_DEP_3)
	v_and_b32_e32 v8, 0x80, v8
	v_and_b32_e32 v12, 0xfc, v12
	s_delay_alu instid0(VALU_DEP_3) | instskip(SKIP_1) | instid1(VALU_DEP_2)
	v_and_b32_e32 v13, 3, v10
	v_or_b32_e32 v9, v9, v10
	v_or3_b32 v8, v12, v8, v13
	s_delay_alu instid0(VALU_DEP_2) | instskip(NEXT) | instid1(VALU_DEP_2)
	v_cmp_ne_u32_e32 vcc_lo, 0, v9
	v_cndmask_b32_e32 v89, 0, v8, vcc_lo
.LBB6_13031:                            ;   in Loop: Header=BB6_12675 Depth=3
	s_or_b32 exec_lo, exec_lo, s31
.LBB6_13032:                            ;   in Loop: Header=BB6_12675 Depth=3
	s_delay_alu instid0(SALU_CYCLE_1) | instskip(SKIP_3) | instid1(VALU_DEP_1)
	s_or_b32 exec_lo, exec_lo, s30
	v_lshrrev_b16 v8, 8, v11
	s_mov_b32 s13, 0
	s_mov_b32 s31, exec_lo
                                        ; implicit-def: $sgpr30
	v_cmpx_lt_i16_e32 0x7f, v8
	s_xor_b32 s31, exec_lo, s31
	s_cbranch_execnz .LBB6_14590
; %bb.13033:                            ;   in Loop: Header=BB6_12675 Depth=3
	s_or_saveexec_b32 s31, s31
	v_mov_b32_e32 v9, s30
	s_xor_b32 exec_lo, exec_lo, s31
	s_cbranch_execnz .LBB6_14593
.LBB6_13034:                            ;   in Loop: Header=BB6_12675 Depth=3
	s_or_b32 exec_lo, exec_lo, s31
	s_and_saveexec_b32 s30, s13
	s_cbranch_execz .LBB6_13036
.LBB6_13035:                            ;   in Loop: Header=BB6_12675 Depth=3
	v_and_b32_e32 v9, 0xffff, v8
	v_lshlrev_b32_e32 v8, 24, v8
	s_delay_alu instid0(VALU_DEP_2) | instskip(NEXT) | instid1(VALU_DEP_2)
	v_and_b32_e32 v10, 3, v9
	v_and_b32_e32 v8, 0x80000000, v8
	s_delay_alu instid0(VALU_DEP_2) | instskip(NEXT) | instid1(VALU_DEP_1)
	v_clz_i32_u32_e32 v12, v10
	v_min_u32_e32 v12, 32, v12
	s_delay_alu instid0(VALU_DEP_1) | instskip(SKIP_1) | instid1(VALU_DEP_2)
	v_subrev_nc_u32_e32 v13, 29, v12
	v_sub_nc_u32_e32 v12, 30, v12
	v_lshlrev_b32_e32 v13, v13, v9
	v_bfe_u32 v9, v9, 2, 5
	s_delay_alu instid0(VALU_DEP_2) | instskip(NEXT) | instid1(VALU_DEP_2)
	v_and_b32_e32 v13, 3, v13
	v_cmp_eq_u32_e32 vcc_lo, 0, v9
	s_delay_alu instid0(VALU_DEP_2) | instskip(NEXT) | instid1(VALU_DEP_1)
	v_dual_cndmask_b32 v9, v9, v12 :: v_dual_cndmask_b32 v10, v10, v13
	v_lshl_add_u32 v9, v9, 23, 0x37800000
	s_delay_alu instid0(VALU_DEP_2) | instskip(NEXT) | instid1(VALU_DEP_1)
	v_lshlrev_b32_e32 v10, 21, v10
	v_or3_b32 v9, v8, v9, v10
.LBB6_13036:                            ;   in Loop: Header=BB6_12675 Depth=3
	s_or_b32 exec_lo, exec_lo, s30
	s_delay_alu instid0(VALU_DEP_1) | instskip(SKIP_2) | instid1(VALU_DEP_2)
	v_mul_f32_e32 v8, s17, v9
	v_mov_b32_e32 v94, 0x8000
	s_mov_b32 s30, exec_lo
	v_and_b32_e32 v9, 0x7f800000, v8
	s_delay_alu instid0(VALU_DEP_1)
	v_cmpx_ne_u32_e32 0x7f800000, v9
	s_cbranch_execz .LBB6_13044
; %bb.13037:                            ;   in Loop: Header=BB6_12675 Depth=3
	v_mov_b32_e32 v94, 0
	s_mov_b32 s31, exec_lo
	v_cmpx_ne_u32_e32 0, v8
	s_cbranch_execz .LBB6_13043
; %bb.13038:                            ;   in Loop: Header=BB6_12675 Depth=3
	v_bfe_u32 v9, v8, 23, 8
	v_and_b32_e32 v10, 0x7fffff, v8
	s_delay_alu instid0(VALU_DEP_2) | instskip(SKIP_1) | instid1(VALU_DEP_3)
	v_sub_nc_u32_e32 v12, 0x70, v9
	v_cmp_gt_u32_e32 vcc_lo, 0x71, v9
	v_or_b32_e32 v13, 0x800000, v10
	s_delay_alu instid0(VALU_DEP_3) | instskip(SKIP_2) | instid1(VALU_DEP_3)
	v_cndmask_b32_e32 v12, 0, v12, vcc_lo
	v_cmp_eq_u32_e32 vcc_lo, 0, v9
	v_add_nc_u32_e32 v9, 0xffffff91, v9
	v_cndmask_b32_e64 v12, v12, 0x6f, vcc_lo
	v_cndmask_b32_e32 v10, v13, v10, vcc_lo
	s_delay_alu instid0(VALU_DEP_3) | instskip(NEXT) | instid1(VALU_DEP_3)
	v_cndmask_b32_e64 v9, v9, 0xffffff92, vcc_lo
	v_lshl_add_u32 v13, 0x200000, v12, -1
	s_delay_alu instid0(VALU_DEP_3) | instskip(SKIP_1) | instid1(VALU_DEP_4)
	v_lshrrev_b32_e32 v14, v12, v10
	v_lshlrev_b32_e64 v16, v12, 0x100000
	v_add_nc_u32_e32 v12, v12, v9
	s_delay_alu instid0(VALU_DEP_4) | instskip(NEXT) | instid1(VALU_DEP_4)
	v_and_b32_e32 v10, v13, v10
	v_bfe_u32 v15, v14, 21, 1
	s_delay_alu instid0(VALU_DEP_2) | instskip(NEXT) | instid1(VALU_DEP_2)
	v_cmp_eq_u32_e64 s13, v10, v16
	v_add_nc_u32_e32 v13, -1, v15
	s_delay_alu instid0(VALU_DEP_1) | instskip(SKIP_2) | instid1(VALU_DEP_2)
	v_cndmask_b32_e64 v10, 0, v13, s13
	v_lshrrev_b32_e32 v13, 23, v14
	s_mov_b32 s13, exec_lo
	v_add_nc_u32_e32 v10, v10, v14
	s_delay_alu instid0(VALU_DEP_2) | instskip(NEXT) | instid1(VALU_DEP_2)
	v_xor_b32_e32 v13, 1, v13
	v_and_b32_e32 v9, 0x1fffff, v10
	s_delay_alu instid0(VALU_DEP_1) | instskip(NEXT) | instid1(VALU_DEP_3)
	v_add_nc_u32_e32 v10, v9, v14
                                        ; implicit-def: $vgpr9
	v_cmpx_ne_u32_e64 v12, v13
	s_xor_b32 s13, exec_lo, s13
; %bb.13039:                            ;   in Loop: Header=BB6_12675 Depth=3
	s_delay_alu instid0(VALU_DEP_2) | instskip(SKIP_2) | instid1(VALU_DEP_2)
	v_cmp_lt_u32_e32 vcc_lo, 0xffffff, v10
	v_sub_nc_u32_e32 v9, v12, v13
	v_cndmask_b32_e64 v12, 0, 1, vcc_lo
	v_add_co_ci_u32_e32 v9, vcc_lo, 0, v9, vcc_lo
	s_delay_alu instid0(VALU_DEP_2)
	v_lshrrev_b32_e32 v10, v12, v10
; %bb.13040:                            ;   in Loop: Header=BB6_12675 Depth=3
	s_and_not1_saveexec_b32 s13, s13
; %bb.13041:                            ;   in Loop: Header=BB6_12675 Depth=3
	s_delay_alu instid0(VALU_DEP_1)
	v_bfe_u32 v9, v10, 23, 1
; %bb.13042:                            ;   in Loop: Header=BB6_12675 Depth=3
	s_or_b32 exec_lo, exec_lo, s13
	v_lshrrev_b32_e32 v10, 21, v10
	s_delay_alu instid0(VALU_DEP_2) | instskip(SKIP_2) | instid1(VALU_DEP_4)
	v_cmp_gt_i32_e32 vcc_lo, 32, v9
	v_min_i32_e32 v12, 31, v9
	v_lshrrev_b32_e32 v8, 24, v8
	v_cndmask_b32_e32 v10, 3, v10, vcc_lo
	s_delay_alu instid0(VALU_DEP_3) | instskip(NEXT) | instid1(VALU_DEP_3)
	v_lshlrev_b32_e32 v12, 2, v12
	v_and_b32_e32 v8, 0x80, v8
	s_delay_alu instid0(VALU_DEP_3) | instskip(NEXT) | instid1(VALU_DEP_3)
	v_or_b32_e32 v9, v9, v10
	v_and_b32_e32 v12, 0xfc, v12
	s_delay_alu instid0(VALU_DEP_2) | instskip(SKIP_1) | instid1(VALU_DEP_1)
	v_cmp_ne_u32_e32 vcc_lo, 0, v9
	v_and_b32_e32 v13, 3, v10
	v_or3_b32 v8, v8, v12, v13
	s_delay_alu instid0(VALU_DEP_1) | instskip(NEXT) | instid1(VALU_DEP_1)
	v_lshlrev_b32_e32 v8, 8, v8
	v_cndmask_b32_e32 v94, 0, v8, vcc_lo
.LBB6_13043:                            ;   in Loop: Header=BB6_12675 Depth=3
	s_or_b32 exec_lo, exec_lo, s31
.LBB6_13044:                            ;   in Loop: Header=BB6_12675 Depth=3
	s_delay_alu instid0(SALU_CYCLE_1) | instskip(SKIP_3) | instid1(VALU_DEP_1)
	s_or_b32 exec_lo, exec_lo, s30
	v_lshrrev_b32_e32 v8, 16, v11
	s_mov_b32 s13, 0
	s_mov_b32 s31, exec_lo
                                        ; implicit-def: $sgpr30
	v_and_b32_e32 v10, 0xff, v8
	s_delay_alu instid0(VALU_DEP_1)
	v_cmpx_lt_i16_e32 0x7f, v10
	s_xor_b32 s31, exec_lo, s31
	s_cbranch_execnz .LBB6_14594
; %bb.13045:                            ;   in Loop: Header=BB6_12675 Depth=3
	s_or_saveexec_b32 s31, s31
	v_mov_b32_e32 v9, s30
	s_xor_b32 exec_lo, exec_lo, s31
	s_cbranch_execnz .LBB6_14597
.LBB6_13046:                            ;   in Loop: Header=BB6_12675 Depth=3
	s_or_b32 exec_lo, exec_lo, s31
	s_and_saveexec_b32 s30, s13
	s_cbranch_execz .LBB6_13048
.LBB6_13047:                            ;   in Loop: Header=BB6_12675 Depth=3
	v_bfe_u32 v9, v11, 16, 2
	s_delay_alu instid0(VALU_DEP_1) | instskip(NEXT) | instid1(VALU_DEP_1)
	v_clz_i32_u32_e32 v10, v9
	v_min_u32_e32 v10, 32, v10
	s_delay_alu instid0(VALU_DEP_1) | instskip(SKIP_1) | instid1(VALU_DEP_2)
	v_subrev_nc_u32_e32 v12, 29, v10
	v_sub_nc_u32_e32 v10, 30, v10
	v_lshlrev_b32_e32 v8, v12, v8
	v_bfe_u32 v12, v11, 18, 5
	s_delay_alu instid0(VALU_DEP_2) | instskip(NEXT) | instid1(VALU_DEP_2)
	v_and_b32_e32 v8, 3, v8
	v_cmp_eq_u32_e32 vcc_lo, 0, v12
	v_dual_cndmask_b32 v10, v12, v10 :: v_dual_lshlrev_b32 v13, 8, v11
	s_delay_alu instid0(VALU_DEP_1) | instskip(NEXT) | instid1(VALU_DEP_2)
	v_dual_cndmask_b32 v8, v9, v8 :: v_dual_and_b32 v9, 0x80000000, v13
	v_lshl_add_u32 v10, v10, 23, 0x37800000
	s_delay_alu instid0(VALU_DEP_2) | instskip(NEXT) | instid1(VALU_DEP_1)
	v_lshlrev_b32_e32 v8, 21, v8
	v_or3_b32 v9, v9, v10, v8
.LBB6_13048:                            ;   in Loop: Header=BB6_12675 Depth=3
	s_or_b32 exec_lo, exec_lo, s30
	s_delay_alu instid0(VALU_DEP_1) | instskip(SKIP_2) | instid1(VALU_DEP_2)
	v_mul_f32_e32 v8, s17, v9
	v_mov_b32_e32 v88, 0x80
	s_mov_b32 s30, exec_lo
	v_and_b32_e32 v9, 0x7f800000, v8
	s_delay_alu instid0(VALU_DEP_1)
	v_cmpx_ne_u32_e32 0x7f800000, v9
	s_cbranch_execz .LBB6_13056
; %bb.13049:                            ;   in Loop: Header=BB6_12675 Depth=3
	v_mov_b32_e32 v88, 0
	s_mov_b32 s31, exec_lo
	v_cmpx_ne_u32_e32 0, v8
	s_cbranch_execz .LBB6_13055
; %bb.13050:                            ;   in Loop: Header=BB6_12675 Depth=3
	v_bfe_u32 v9, v8, 23, 8
	v_and_b32_e32 v10, 0x7fffff, v8
	s_delay_alu instid0(VALU_DEP_2) | instskip(SKIP_1) | instid1(VALU_DEP_3)
	v_sub_nc_u32_e32 v12, 0x70, v9
	v_cmp_gt_u32_e32 vcc_lo, 0x71, v9
	v_or_b32_e32 v13, 0x800000, v10
	s_delay_alu instid0(VALU_DEP_3) | instskip(SKIP_2) | instid1(VALU_DEP_3)
	v_cndmask_b32_e32 v12, 0, v12, vcc_lo
	v_cmp_eq_u32_e32 vcc_lo, 0, v9
	v_add_nc_u32_e32 v9, 0xffffff91, v9
	v_cndmask_b32_e64 v12, v12, 0x6f, vcc_lo
	v_cndmask_b32_e32 v10, v13, v10, vcc_lo
	s_delay_alu instid0(VALU_DEP_3) | instskip(NEXT) | instid1(VALU_DEP_3)
	v_cndmask_b32_e64 v9, v9, 0xffffff92, vcc_lo
	v_lshl_add_u32 v13, 0x200000, v12, -1
	s_delay_alu instid0(VALU_DEP_3) | instskip(SKIP_1) | instid1(VALU_DEP_4)
	v_lshrrev_b32_e32 v14, v12, v10
	v_lshlrev_b32_e64 v16, v12, 0x100000
	v_add_nc_u32_e32 v12, v12, v9
	s_delay_alu instid0(VALU_DEP_4) | instskip(NEXT) | instid1(VALU_DEP_4)
	v_and_b32_e32 v10, v13, v10
	v_bfe_u32 v15, v14, 21, 1
	s_delay_alu instid0(VALU_DEP_2) | instskip(NEXT) | instid1(VALU_DEP_2)
	v_cmp_eq_u32_e64 s13, v10, v16
	v_add_nc_u32_e32 v13, -1, v15
	s_delay_alu instid0(VALU_DEP_1) | instskip(SKIP_2) | instid1(VALU_DEP_2)
	v_cndmask_b32_e64 v10, 0, v13, s13
	v_lshrrev_b32_e32 v13, 23, v14
	s_mov_b32 s13, exec_lo
	v_add_nc_u32_e32 v10, v10, v14
	s_delay_alu instid0(VALU_DEP_2) | instskip(NEXT) | instid1(VALU_DEP_2)
	v_xor_b32_e32 v13, 1, v13
	v_and_b32_e32 v9, 0x1fffff, v10
	s_delay_alu instid0(VALU_DEP_1) | instskip(NEXT) | instid1(VALU_DEP_3)
	v_add_nc_u32_e32 v10, v9, v14
                                        ; implicit-def: $vgpr9
	v_cmpx_ne_u32_e64 v12, v13
	s_xor_b32 s13, exec_lo, s13
; %bb.13051:                            ;   in Loop: Header=BB6_12675 Depth=3
	s_delay_alu instid0(VALU_DEP_2) | instskip(SKIP_2) | instid1(VALU_DEP_2)
	v_cmp_lt_u32_e32 vcc_lo, 0xffffff, v10
	v_sub_nc_u32_e32 v9, v12, v13
	v_cndmask_b32_e64 v12, 0, 1, vcc_lo
	v_add_co_ci_u32_e32 v9, vcc_lo, 0, v9, vcc_lo
	s_delay_alu instid0(VALU_DEP_2)
	v_lshrrev_b32_e32 v10, v12, v10
; %bb.13052:                            ;   in Loop: Header=BB6_12675 Depth=3
	s_and_not1_saveexec_b32 s13, s13
; %bb.13053:                            ;   in Loop: Header=BB6_12675 Depth=3
	s_delay_alu instid0(VALU_DEP_1)
	v_bfe_u32 v9, v10, 23, 1
; %bb.13054:                            ;   in Loop: Header=BB6_12675 Depth=3
	s_or_b32 exec_lo, exec_lo, s13
	v_lshrrev_b32_e32 v10, 21, v10
	s_delay_alu instid0(VALU_DEP_2) | instskip(SKIP_2) | instid1(VALU_DEP_4)
	v_cmp_gt_i32_e32 vcc_lo, 32, v9
	v_min_i32_e32 v12, 31, v9
	v_lshrrev_b32_e32 v8, 24, v8
	v_cndmask_b32_e32 v10, 3, v10, vcc_lo
	s_delay_alu instid0(VALU_DEP_3) | instskip(NEXT) | instid1(VALU_DEP_3)
	v_lshlrev_b32_e32 v12, 2, v12
	v_and_b32_e32 v8, 0x80, v8
	s_delay_alu instid0(VALU_DEP_3) | instskip(NEXT) | instid1(VALU_DEP_3)
	v_or_b32_e32 v9, v9, v10
	v_and_b32_e32 v12, 0xfc, v12
	s_delay_alu instid0(VALU_DEP_2) | instskip(SKIP_1) | instid1(VALU_DEP_1)
	v_cmp_ne_u32_e32 vcc_lo, 0, v9
	v_and_b32_e32 v13, 3, v10
	v_or3_b32 v8, v12, v8, v13
	s_delay_alu instid0(VALU_DEP_1)
	v_cndmask_b32_e32 v88, 0, v8, vcc_lo
.LBB6_13055:                            ;   in Loop: Header=BB6_12675 Depth=3
	s_or_b32 exec_lo, exec_lo, s31
.LBB6_13056:                            ;   in Loop: Header=BB6_12675 Depth=3
	s_delay_alu instid0(SALU_CYCLE_1) | instskip(SKIP_3) | instid1(VALU_DEP_1)
	s_or_b32 exec_lo, exec_lo, s30
	v_lshrrev_b32_e32 v8, 24, v11
	s_mov_b32 s13, 0
	s_mov_b32 s31, exec_lo
                                        ; implicit-def: $sgpr30
	v_cmpx_lt_i16_e32 0x7f, v8
	s_xor_b32 s31, exec_lo, s31
	s_cbranch_execnz .LBB6_14598
; %bb.13057:                            ;   in Loop: Header=BB6_12675 Depth=3
	s_or_saveexec_b32 s31, s31
	v_mov_b32_e32 v9, s30
	s_xor_b32 exec_lo, exec_lo, s31
	s_cbranch_execnz .LBB6_14601
.LBB6_13058:                            ;   in Loop: Header=BB6_12675 Depth=3
	s_or_b32 exec_lo, exec_lo, s31
	s_and_saveexec_b32 s30, s13
	s_cbranch_execz .LBB6_13060
.LBB6_13059:                            ;   in Loop: Header=BB6_12675 Depth=3
	v_bfe_u32 v9, v11, 24, 2
	s_delay_alu instid0(VALU_DEP_1) | instskip(NEXT) | instid1(VALU_DEP_1)
	v_clz_i32_u32_e32 v10, v9
	v_min_u32_e32 v10, 32, v10
	s_delay_alu instid0(VALU_DEP_1) | instskip(SKIP_1) | instid1(VALU_DEP_2)
	v_subrev_nc_u32_e32 v12, 29, v10
	v_sub_nc_u32_e32 v10, 30, v10
	v_lshlrev_b32_e32 v8, v12, v8
	v_bfe_u32 v12, v11, 26, 5
	s_delay_alu instid0(VALU_DEP_2) | instskip(NEXT) | instid1(VALU_DEP_2)
	v_and_b32_e32 v8, 3, v8
	v_cmp_eq_u32_e32 vcc_lo, 0, v12
	v_cndmask_b32_e32 v10, v12, v10, vcc_lo
	s_delay_alu instid0(VALU_DEP_3) | instskip(NEXT) | instid1(VALU_DEP_2)
	v_dual_cndmask_b32 v8, v9, v8 :: v_dual_and_b32 v9, 0x80000000, v11
	v_lshl_add_u32 v10, v10, 23, 0x37800000
	s_delay_alu instid0(VALU_DEP_2) | instskip(NEXT) | instid1(VALU_DEP_1)
	v_lshlrev_b32_e32 v8, 21, v8
	v_or3_b32 v9, v9, v10, v8
.LBB6_13060:                            ;   in Loop: Header=BB6_12675 Depth=3
	s_or_b32 exec_lo, exec_lo, s30
	s_delay_alu instid0(VALU_DEP_1) | instskip(SKIP_1) | instid1(VALU_DEP_1)
	v_dual_mul_f32 v8, s17, v9 :: v_dual_mov_b32 v91, 0x8000
	s_mov_b32 s30, exec_lo
	v_and_b32_e32 v9, 0x7f800000, v8
	s_delay_alu instid0(VALU_DEP_1)
	v_cmpx_ne_u32_e32 0x7f800000, v9
	s_cbranch_execz .LBB6_13068
; %bb.13061:                            ;   in Loop: Header=BB6_12675 Depth=3
	v_mov_b32_e32 v91, 0
	s_mov_b32 s31, exec_lo
	v_cmpx_ne_u32_e32 0, v8
	s_cbranch_execz .LBB6_13067
; %bb.13062:                            ;   in Loop: Header=BB6_12675 Depth=3
	v_bfe_u32 v9, v8, 23, 8
	s_delay_alu instid0(VALU_DEP_1) | instskip(SKIP_1) | instid1(VALU_DEP_2)
	v_sub_nc_u32_e32 v11, 0x70, v9
	v_cmp_gt_u32_e32 vcc_lo, 0x71, v9
	v_dual_cndmask_b32 v11, 0, v11 :: v_dual_and_b32 v10, 0x7fffff, v8
	s_delay_alu instid0(VALU_DEP_1) | instskip(SKIP_2) | instid1(VALU_DEP_4)
	v_or_b32_e32 v12, 0x800000, v10
	v_cmp_eq_u32_e32 vcc_lo, 0, v9
	v_add_nc_u32_e32 v9, 0xffffff91, v9
	v_cndmask_b32_e64 v11, v11, 0x6f, vcc_lo
	s_delay_alu instid0(VALU_DEP_4) | instskip(NEXT) | instid1(VALU_DEP_3)
	v_cndmask_b32_e32 v10, v12, v10, vcc_lo
	v_cndmask_b32_e64 v9, v9, 0xffffff92, vcc_lo
	s_delay_alu instid0(VALU_DEP_3) | instskip(NEXT) | instid1(VALU_DEP_3)
	v_lshl_add_u32 v12, 0x200000, v11, -1
	v_lshrrev_b32_e32 v13, v11, v10
	v_lshlrev_b32_e64 v15, v11, 0x100000
	s_delay_alu instid0(VALU_DEP_4) | instskip(NEXT) | instid1(VALU_DEP_4)
	v_add_nc_u32_e32 v11, v11, v9
	v_and_b32_e32 v10, v12, v10
	s_delay_alu instid0(VALU_DEP_4) | instskip(NEXT) | instid1(VALU_DEP_2)
	v_bfe_u32 v14, v13, 21, 1
	v_cmp_eq_u32_e64 s13, v10, v15
	s_delay_alu instid0(VALU_DEP_2) | instskip(NEXT) | instid1(VALU_DEP_1)
	v_add_nc_u32_e32 v12, -1, v14
	v_cndmask_b32_e64 v10, 0, v12, s13
	v_lshrrev_b32_e32 v12, 23, v13
	s_mov_b32 s13, exec_lo
	s_delay_alu instid0(VALU_DEP_2) | instskip(NEXT) | instid1(VALU_DEP_2)
	v_add_nc_u32_e32 v10, v10, v13
	v_xor_b32_e32 v12, 1, v12
	s_delay_alu instid0(VALU_DEP_2) | instskip(NEXT) | instid1(VALU_DEP_1)
	v_and_b32_e32 v9, 0x1fffff, v10
	v_add_nc_u32_e32 v10, v9, v13
                                        ; implicit-def: $vgpr9
	s_delay_alu instid0(VALU_DEP_3)
	v_cmpx_ne_u32_e64 v11, v12
	s_xor_b32 s13, exec_lo, s13
; %bb.13063:                            ;   in Loop: Header=BB6_12675 Depth=3
	s_delay_alu instid0(VALU_DEP_2) | instskip(SKIP_2) | instid1(VALU_DEP_2)
	v_cmp_lt_u32_e32 vcc_lo, 0xffffff, v10
	v_sub_nc_u32_e32 v9, v11, v12
	v_cndmask_b32_e64 v11, 0, 1, vcc_lo
	v_add_co_ci_u32_e32 v9, vcc_lo, 0, v9, vcc_lo
	s_delay_alu instid0(VALU_DEP_2)
	v_lshrrev_b32_e32 v10, v11, v10
; %bb.13064:                            ;   in Loop: Header=BB6_12675 Depth=3
	s_and_not1_saveexec_b32 s13, s13
; %bb.13065:                            ;   in Loop: Header=BB6_12675 Depth=3
	s_delay_alu instid0(VALU_DEP_1)
	v_bfe_u32 v9, v10, 23, 1
; %bb.13066:                            ;   in Loop: Header=BB6_12675 Depth=3
	s_or_b32 exec_lo, exec_lo, s13
	v_lshrrev_b32_e32 v10, 21, v10
	s_delay_alu instid0(VALU_DEP_2) | instskip(SKIP_2) | instid1(VALU_DEP_2)
	v_cmp_gt_i32_e32 vcc_lo, 32, v9
	v_min_i32_e32 v11, 31, v9
	v_lshrrev_b32_e32 v8, 24, v8
	v_dual_cndmask_b32 v10, 3, v10 :: v_dual_lshlrev_b32 v11, 2, v11
	s_delay_alu instid0(VALU_DEP_2) | instskip(NEXT) | instid1(VALU_DEP_2)
	v_and_b32_e32 v8, 0x80, v8
	v_or_b32_e32 v9, v9, v10
	s_delay_alu instid0(VALU_DEP_3) | instskip(NEXT) | instid1(VALU_DEP_2)
	v_and_b32_e32 v11, 0xfc, v11
	v_cmp_ne_u32_e32 vcc_lo, 0, v9
	v_and_b32_e32 v12, 3, v10
	s_delay_alu instid0(VALU_DEP_1) | instskip(NEXT) | instid1(VALU_DEP_1)
	v_or3_b32 v8, v8, v11, v12
	v_lshlrev_b32_e32 v8, 8, v8
	s_delay_alu instid0(VALU_DEP_1)
	v_cndmask_b32_e32 v91, 0, v8, vcc_lo
.LBB6_13067:                            ;   in Loop: Header=BB6_12675 Depth=3
	s_or_b32 exec_lo, exec_lo, s31
.LBB6_13068:                            ;   in Loop: Header=BB6_12675 Depth=3
	s_delay_alu instid0(SALU_CYCLE_1)
	s_or_b32 exec_lo, exec_lo, s30
	global_load_b128 v[8:11], v[69:70], off offset:1024 slc dlc
	s_mov_b32 s13, 0
	s_mov_b32 s31, exec_lo
                                        ; implicit-def: $sgpr30
	s_waitcnt vmcnt(0)
	v_and_b32_e32 v13, 0xff, v8
	s_delay_alu instid0(VALU_DEP_1)
	v_cmpx_lt_i16_e32 0x7f, v13
	s_xor_b32 s31, exec_lo, s31
	s_cbranch_execnz .LBB6_14602
; %bb.13069:                            ;   in Loop: Header=BB6_12675 Depth=3
	s_or_saveexec_b32 s31, s31
	v_mov_b32_e32 v12, s30
	s_xor_b32 exec_lo, exec_lo, s31
	s_cbranch_execnz .LBB6_14605
.LBB6_13070:                            ;   in Loop: Header=BB6_12675 Depth=3
	s_or_b32 exec_lo, exec_lo, s31
	s_and_saveexec_b32 s30, s13
	s_cbranch_execz .LBB6_13072
.LBB6_13071:                            ;   in Loop: Header=BB6_12675 Depth=3
	v_bfe_u32 v15, v8, 2, 5
	v_lshlrev_b32_e32 v16, 24, v8
	s_delay_alu instid0(VALU_DEP_2) | instskip(SKIP_1) | instid1(VALU_DEP_1)
	v_cmp_eq_u32_e32 vcc_lo, 0, v15
	v_and_b32_e32 v12, 3, v8
	v_clz_i32_u32_e32 v13, v12
	s_delay_alu instid0(VALU_DEP_1) | instskip(NEXT) | instid1(VALU_DEP_1)
	v_min_u32_e32 v13, 32, v13
	v_subrev_nc_u32_e32 v14, 29, v13
	v_sub_nc_u32_e32 v13, 30, v13
	s_delay_alu instid0(VALU_DEP_1) | instskip(NEXT) | instid1(VALU_DEP_1)
	v_dual_cndmask_b32 v13, v15, v13 :: v_dual_lshlrev_b32 v14, v14, v8
	v_and_b32_e32 v14, 3, v14
	s_delay_alu instid0(VALU_DEP_2) | instskip(NEXT) | instid1(VALU_DEP_2)
	v_lshl_add_u32 v13, v13, 23, 0x37800000
	v_cndmask_b32_e32 v12, v12, v14, vcc_lo
	v_and_b32_e32 v14, 0x80000000, v16
	s_delay_alu instid0(VALU_DEP_2) | instskip(NEXT) | instid1(VALU_DEP_1)
	v_lshlrev_b32_e32 v12, 21, v12
	v_or3_b32 v12, v14, v13, v12
.LBB6_13072:                            ;   in Loop: Header=BB6_12675 Depth=3
	s_or_b32 exec_lo, exec_lo, s30
	s_delay_alu instid0(VALU_DEP_1) | instskip(SKIP_2) | instid1(VALU_DEP_2)
	v_mul_f32_e32 v12, s17, v12
	v_mov_b32_e32 v78, 0x80
	s_mov_b32 s30, exec_lo
	v_and_b32_e32 v13, 0x7f800000, v12
	s_delay_alu instid0(VALU_DEP_1)
	v_cmpx_ne_u32_e32 0x7f800000, v13
	s_cbranch_execz .LBB6_13080
; %bb.13073:                            ;   in Loop: Header=BB6_12675 Depth=3
	v_mov_b32_e32 v78, 0
	s_mov_b32 s31, exec_lo
	v_cmpx_ne_u32_e32 0, v12
	s_cbranch_execz .LBB6_13079
; %bb.13074:                            ;   in Loop: Header=BB6_12675 Depth=3
	v_bfe_u32 v13, v12, 23, 8
	s_delay_alu instid0(VALU_DEP_1) | instskip(SKIP_1) | instid1(VALU_DEP_2)
	v_sub_nc_u32_e32 v15, 0x70, v13
	v_cmp_gt_u32_e32 vcc_lo, 0x71, v13
	v_dual_cndmask_b32 v15, 0, v15 :: v_dual_and_b32 v14, 0x7fffff, v12
	s_delay_alu instid0(VALU_DEP_1) | instskip(SKIP_2) | instid1(VALU_DEP_4)
	v_or_b32_e32 v16, 0x800000, v14
	v_cmp_eq_u32_e32 vcc_lo, 0, v13
	v_add_nc_u32_e32 v13, 0xffffff91, v13
	v_cndmask_b32_e64 v15, v15, 0x6f, vcc_lo
	s_delay_alu instid0(VALU_DEP_4) | instskip(NEXT) | instid1(VALU_DEP_3)
	v_cndmask_b32_e32 v14, v16, v14, vcc_lo
	v_cndmask_b32_e64 v13, v13, 0xffffff92, vcc_lo
	s_delay_alu instid0(VALU_DEP_3) | instskip(NEXT) | instid1(VALU_DEP_3)
	v_lshl_add_u32 v16, 0x200000, v15, -1
	v_lshrrev_b32_e32 v17, v15, v14
	v_lshlrev_b32_e64 v19, v15, 0x100000
	s_delay_alu instid0(VALU_DEP_4) | instskip(NEXT) | instid1(VALU_DEP_4)
	v_add_nc_u32_e32 v15, v15, v13
	v_and_b32_e32 v14, v16, v14
	s_delay_alu instid0(VALU_DEP_4) | instskip(NEXT) | instid1(VALU_DEP_2)
	v_bfe_u32 v18, v17, 21, 1
	v_cmp_eq_u32_e64 s13, v14, v19
	s_delay_alu instid0(VALU_DEP_2) | instskip(NEXT) | instid1(VALU_DEP_1)
	v_add_nc_u32_e32 v16, -1, v18
	v_cndmask_b32_e64 v14, 0, v16, s13
	v_lshrrev_b32_e32 v16, 23, v17
	s_mov_b32 s13, exec_lo
	s_delay_alu instid0(VALU_DEP_2) | instskip(NEXT) | instid1(VALU_DEP_2)
	v_add_nc_u32_e32 v14, v14, v17
	v_xor_b32_e32 v16, 1, v16
	s_delay_alu instid0(VALU_DEP_2) | instskip(NEXT) | instid1(VALU_DEP_1)
	v_and_b32_e32 v13, 0x1fffff, v14
	v_add_nc_u32_e32 v14, v13, v17
                                        ; implicit-def: $vgpr13
	s_delay_alu instid0(VALU_DEP_3)
	v_cmpx_ne_u32_e64 v15, v16
	s_xor_b32 s13, exec_lo, s13
; %bb.13075:                            ;   in Loop: Header=BB6_12675 Depth=3
	s_delay_alu instid0(VALU_DEP_2) | instskip(SKIP_2) | instid1(VALU_DEP_2)
	v_cmp_lt_u32_e32 vcc_lo, 0xffffff, v14
	v_sub_nc_u32_e32 v13, v15, v16
	v_cndmask_b32_e64 v15, 0, 1, vcc_lo
	v_add_co_ci_u32_e32 v13, vcc_lo, 0, v13, vcc_lo
	s_delay_alu instid0(VALU_DEP_2)
	v_lshrrev_b32_e32 v14, v15, v14
; %bb.13076:                            ;   in Loop: Header=BB6_12675 Depth=3
	s_and_not1_saveexec_b32 s13, s13
; %bb.13077:                            ;   in Loop: Header=BB6_12675 Depth=3
	s_delay_alu instid0(VALU_DEP_1)
	v_bfe_u32 v13, v14, 23, 1
; %bb.13078:                            ;   in Loop: Header=BB6_12675 Depth=3
	s_or_b32 exec_lo, exec_lo, s13
	v_lshrrev_b32_e32 v14, 21, v14
	s_delay_alu instid0(VALU_DEP_2) | instskip(SKIP_2) | instid1(VALU_DEP_4)
	v_cmp_gt_i32_e32 vcc_lo, 32, v13
	v_lshrrev_b32_e32 v12, 24, v12
	v_min_i32_e32 v15, 31, v13
	v_cndmask_b32_e32 v14, 3, v14, vcc_lo
	s_delay_alu instid0(VALU_DEP_3) | instskip(NEXT) | instid1(VALU_DEP_3)
	v_and_b32_e32 v12, 0x80, v12
	v_lshlrev_b32_e32 v15, 2, v15
	s_delay_alu instid0(VALU_DEP_3) | instskip(SKIP_1) | instid1(VALU_DEP_2)
	v_and_b32_e32 v16, 3, v14
	v_or_b32_e32 v13, v13, v14
	v_or3_b32 v12, v15, v12, v16
	s_delay_alu instid0(VALU_DEP_2) | instskip(NEXT) | instid1(VALU_DEP_2)
	v_cmp_ne_u32_e32 vcc_lo, 0, v13
	v_cndmask_b32_e32 v78, 0, v12, vcc_lo
.LBB6_13079:                            ;   in Loop: Header=BB6_12675 Depth=3
	s_or_b32 exec_lo, exec_lo, s31
.LBB6_13080:                            ;   in Loop: Header=BB6_12675 Depth=3
	s_delay_alu instid0(SALU_CYCLE_1) | instskip(SKIP_3) | instid1(VALU_DEP_1)
	s_or_b32 exec_lo, exec_lo, s30
	v_lshrrev_b16 v12, 8, v8
	s_mov_b32 s13, 0
	s_mov_b32 s31, exec_lo
                                        ; implicit-def: $sgpr30
	v_cmpx_lt_i16_e32 0x7f, v12
	s_xor_b32 s31, exec_lo, s31
	s_cbranch_execnz .LBB6_14606
; %bb.13081:                            ;   in Loop: Header=BB6_12675 Depth=3
	s_or_saveexec_b32 s31, s31
	v_mov_b32_e32 v13, s30
	s_xor_b32 exec_lo, exec_lo, s31
	s_cbranch_execnz .LBB6_14609
.LBB6_13082:                            ;   in Loop: Header=BB6_12675 Depth=3
	s_or_b32 exec_lo, exec_lo, s31
	s_and_saveexec_b32 s30, s13
	s_cbranch_execz .LBB6_13084
.LBB6_13083:                            ;   in Loop: Header=BB6_12675 Depth=3
	v_and_b32_e32 v13, 0xffff, v12
	v_lshlrev_b32_e32 v12, 24, v12
	s_delay_alu instid0(VALU_DEP_2) | instskip(NEXT) | instid1(VALU_DEP_2)
	v_and_b32_e32 v14, 3, v13
	v_and_b32_e32 v12, 0x80000000, v12
	s_delay_alu instid0(VALU_DEP_2) | instskip(NEXT) | instid1(VALU_DEP_1)
	v_clz_i32_u32_e32 v15, v14
	v_min_u32_e32 v15, 32, v15
	s_delay_alu instid0(VALU_DEP_1) | instskip(SKIP_1) | instid1(VALU_DEP_2)
	v_subrev_nc_u32_e32 v16, 29, v15
	v_sub_nc_u32_e32 v15, 30, v15
	v_lshlrev_b32_e32 v16, v16, v13
	v_bfe_u32 v13, v13, 2, 5
	s_delay_alu instid0(VALU_DEP_2) | instskip(NEXT) | instid1(VALU_DEP_2)
	v_and_b32_e32 v16, 3, v16
	v_cmp_eq_u32_e32 vcc_lo, 0, v13
	s_delay_alu instid0(VALU_DEP_2) | instskip(NEXT) | instid1(VALU_DEP_1)
	v_dual_cndmask_b32 v13, v13, v15 :: v_dual_cndmask_b32 v14, v14, v16
	v_lshl_add_u32 v13, v13, 23, 0x37800000
	s_delay_alu instid0(VALU_DEP_2) | instskip(NEXT) | instid1(VALU_DEP_1)
	v_lshlrev_b32_e32 v14, 21, v14
	v_or3_b32 v13, v12, v13, v14
.LBB6_13084:                            ;   in Loop: Header=BB6_12675 Depth=3
	s_or_b32 exec_lo, exec_lo, s30
	s_delay_alu instid0(VALU_DEP_1) | instskip(SKIP_2) | instid1(VALU_DEP_2)
	v_mul_f32_e32 v12, s17, v13
	v_mov_b32_e32 v76, 0x80
	s_mov_b32 s30, exec_lo
	v_and_b32_e32 v13, 0x7f800000, v12
	s_delay_alu instid0(VALU_DEP_1)
	v_cmpx_ne_u32_e32 0x7f800000, v13
	s_cbranch_execz .LBB6_13092
; %bb.13085:                            ;   in Loop: Header=BB6_12675 Depth=3
	v_mov_b32_e32 v76, 0
	s_mov_b32 s31, exec_lo
	v_cmpx_ne_u32_e32 0, v12
	s_cbranch_execz .LBB6_13091
; %bb.13086:                            ;   in Loop: Header=BB6_12675 Depth=3
	v_bfe_u32 v13, v12, 23, 8
	s_delay_alu instid0(VALU_DEP_1) | instskip(SKIP_1) | instid1(VALU_DEP_2)
	v_sub_nc_u32_e32 v15, 0x70, v13
	v_cmp_gt_u32_e32 vcc_lo, 0x71, v13
	v_dual_cndmask_b32 v15, 0, v15 :: v_dual_and_b32 v14, 0x7fffff, v12
	s_delay_alu instid0(VALU_DEP_1) | instskip(SKIP_2) | instid1(VALU_DEP_4)
	v_or_b32_e32 v16, 0x800000, v14
	v_cmp_eq_u32_e32 vcc_lo, 0, v13
	v_add_nc_u32_e32 v13, 0xffffff91, v13
	v_cndmask_b32_e64 v15, v15, 0x6f, vcc_lo
	s_delay_alu instid0(VALU_DEP_4) | instskip(NEXT) | instid1(VALU_DEP_3)
	v_cndmask_b32_e32 v14, v16, v14, vcc_lo
	v_cndmask_b32_e64 v13, v13, 0xffffff92, vcc_lo
	s_delay_alu instid0(VALU_DEP_3) | instskip(NEXT) | instid1(VALU_DEP_3)
	v_lshl_add_u32 v16, 0x200000, v15, -1
	v_lshrrev_b32_e32 v17, v15, v14
	v_lshlrev_b32_e64 v19, v15, 0x100000
	s_delay_alu instid0(VALU_DEP_4) | instskip(NEXT) | instid1(VALU_DEP_4)
	v_add_nc_u32_e32 v15, v15, v13
	v_and_b32_e32 v14, v16, v14
	s_delay_alu instid0(VALU_DEP_4) | instskip(NEXT) | instid1(VALU_DEP_2)
	v_bfe_u32 v18, v17, 21, 1
	v_cmp_eq_u32_e64 s13, v14, v19
	s_delay_alu instid0(VALU_DEP_2) | instskip(NEXT) | instid1(VALU_DEP_1)
	v_add_nc_u32_e32 v16, -1, v18
	v_cndmask_b32_e64 v14, 0, v16, s13
	v_lshrrev_b32_e32 v16, 23, v17
	s_mov_b32 s13, exec_lo
	s_delay_alu instid0(VALU_DEP_2) | instskip(NEXT) | instid1(VALU_DEP_2)
	v_add_nc_u32_e32 v14, v14, v17
	v_xor_b32_e32 v16, 1, v16
	s_delay_alu instid0(VALU_DEP_2) | instskip(NEXT) | instid1(VALU_DEP_1)
	v_and_b32_e32 v13, 0x1fffff, v14
	v_add_nc_u32_e32 v14, v13, v17
                                        ; implicit-def: $vgpr13
	s_delay_alu instid0(VALU_DEP_3)
	v_cmpx_ne_u32_e64 v15, v16
	s_xor_b32 s13, exec_lo, s13
; %bb.13087:                            ;   in Loop: Header=BB6_12675 Depth=3
	s_delay_alu instid0(VALU_DEP_2) | instskip(SKIP_2) | instid1(VALU_DEP_2)
	v_cmp_lt_u32_e32 vcc_lo, 0xffffff, v14
	v_sub_nc_u32_e32 v13, v15, v16
	v_cndmask_b32_e64 v15, 0, 1, vcc_lo
	v_add_co_ci_u32_e32 v13, vcc_lo, 0, v13, vcc_lo
	s_delay_alu instid0(VALU_DEP_2)
	v_lshrrev_b32_e32 v14, v15, v14
; %bb.13088:                            ;   in Loop: Header=BB6_12675 Depth=3
	s_and_not1_saveexec_b32 s13, s13
; %bb.13089:                            ;   in Loop: Header=BB6_12675 Depth=3
	s_delay_alu instid0(VALU_DEP_1)
	v_bfe_u32 v13, v14, 23, 1
; %bb.13090:                            ;   in Loop: Header=BB6_12675 Depth=3
	s_or_b32 exec_lo, exec_lo, s13
	v_lshrrev_b32_e32 v14, 21, v14
	s_delay_alu instid0(VALU_DEP_2) | instskip(SKIP_2) | instid1(VALU_DEP_4)
	v_cmp_gt_i32_e32 vcc_lo, 32, v13
	v_lshrrev_b32_e32 v12, 24, v12
	v_min_i32_e32 v15, 31, v13
	v_cndmask_b32_e32 v14, 3, v14, vcc_lo
	s_delay_alu instid0(VALU_DEP_3) | instskip(NEXT) | instid1(VALU_DEP_3)
	v_and_b32_e32 v12, 0x80, v12
	v_lshlrev_b32_e32 v15, 2, v15
	s_delay_alu instid0(VALU_DEP_3) | instskip(SKIP_1) | instid1(VALU_DEP_2)
	v_and_b32_e32 v16, 3, v14
	v_or_b32_e32 v13, v13, v14
	v_or3_b32 v12, v15, v12, v16
	s_delay_alu instid0(VALU_DEP_2) | instskip(NEXT) | instid1(VALU_DEP_2)
	v_cmp_ne_u32_e32 vcc_lo, 0, v13
	v_cndmask_b32_e32 v76, 0, v12, vcc_lo
.LBB6_13091:                            ;   in Loop: Header=BB6_12675 Depth=3
	s_or_b32 exec_lo, exec_lo, s31
.LBB6_13092:                            ;   in Loop: Header=BB6_12675 Depth=3
	s_delay_alu instid0(SALU_CYCLE_1) | instskip(SKIP_3) | instid1(VALU_DEP_1)
	s_or_b32 exec_lo, exec_lo, s30
	v_lshrrev_b32_e32 v12, 16, v8
	s_mov_b32 s13, 0
	s_mov_b32 s31, exec_lo
                                        ; implicit-def: $sgpr30
	v_and_b32_e32 v14, 0xff, v12
	s_delay_alu instid0(VALU_DEP_1)
	v_cmpx_lt_i16_e32 0x7f, v14
	s_xor_b32 s31, exec_lo, s31
	s_cbranch_execnz .LBB6_14610
; %bb.13093:                            ;   in Loop: Header=BB6_12675 Depth=3
	s_or_saveexec_b32 s31, s31
	v_mov_b32_e32 v13, s30
	s_xor_b32 exec_lo, exec_lo, s31
	s_cbranch_execnz .LBB6_14613
.LBB6_13094:                            ;   in Loop: Header=BB6_12675 Depth=3
	s_or_b32 exec_lo, exec_lo, s31
	s_and_saveexec_b32 s30, s13
	s_cbranch_execz .LBB6_13096
.LBB6_13095:                            ;   in Loop: Header=BB6_12675 Depth=3
	v_bfe_u32 v13, v8, 16, 2
	v_lshlrev_b32_e32 v16, 8, v8
	s_delay_alu instid0(VALU_DEP_2) | instskip(NEXT) | instid1(VALU_DEP_1)
	v_clz_i32_u32_e32 v14, v13
	v_min_u32_e32 v14, 32, v14
	s_delay_alu instid0(VALU_DEP_1) | instskip(SKIP_1) | instid1(VALU_DEP_2)
	v_subrev_nc_u32_e32 v15, 29, v14
	v_sub_nc_u32_e32 v14, 30, v14
	v_lshlrev_b32_e32 v12, v15, v12
	v_bfe_u32 v15, v8, 18, 5
	s_delay_alu instid0(VALU_DEP_2) | instskip(NEXT) | instid1(VALU_DEP_2)
	v_and_b32_e32 v12, 3, v12
	v_cmp_eq_u32_e32 vcc_lo, 0, v15
	v_cndmask_b32_e32 v14, v15, v14, vcc_lo
	s_delay_alu instid0(VALU_DEP_3) | instskip(SKIP_1) | instid1(VALU_DEP_3)
	v_cndmask_b32_e32 v12, v13, v12, vcc_lo
	v_and_b32_e32 v13, 0x80000000, v16
	v_lshl_add_u32 v14, v14, 23, 0x37800000
	s_delay_alu instid0(VALU_DEP_3) | instskip(NEXT) | instid1(VALU_DEP_1)
	v_lshlrev_b32_e32 v12, 21, v12
	v_or3_b32 v13, v13, v14, v12
.LBB6_13096:                            ;   in Loop: Header=BB6_12675 Depth=3
	s_or_b32 exec_lo, exec_lo, s30
	s_delay_alu instid0(VALU_DEP_1) | instskip(SKIP_2) | instid1(VALU_DEP_2)
	v_mul_f32_e32 v12, s17, v13
	v_mov_b32_e32 v74, 0x80
	s_mov_b32 s30, exec_lo
	v_and_b32_e32 v13, 0x7f800000, v12
	s_delay_alu instid0(VALU_DEP_1)
	v_cmpx_ne_u32_e32 0x7f800000, v13
	s_cbranch_execz .LBB6_13104
; %bb.13097:                            ;   in Loop: Header=BB6_12675 Depth=3
	v_mov_b32_e32 v74, 0
	s_mov_b32 s31, exec_lo
	v_cmpx_ne_u32_e32 0, v12
	s_cbranch_execz .LBB6_13103
; %bb.13098:                            ;   in Loop: Header=BB6_12675 Depth=3
	v_bfe_u32 v13, v12, 23, 8
	s_delay_alu instid0(VALU_DEP_1) | instskip(SKIP_1) | instid1(VALU_DEP_2)
	v_sub_nc_u32_e32 v15, 0x70, v13
	v_cmp_gt_u32_e32 vcc_lo, 0x71, v13
	v_dual_cndmask_b32 v15, 0, v15 :: v_dual_and_b32 v14, 0x7fffff, v12
	s_delay_alu instid0(VALU_DEP_1) | instskip(SKIP_2) | instid1(VALU_DEP_4)
	v_or_b32_e32 v16, 0x800000, v14
	v_cmp_eq_u32_e32 vcc_lo, 0, v13
	v_add_nc_u32_e32 v13, 0xffffff91, v13
	v_cndmask_b32_e64 v15, v15, 0x6f, vcc_lo
	s_delay_alu instid0(VALU_DEP_4) | instskip(NEXT) | instid1(VALU_DEP_3)
	v_cndmask_b32_e32 v14, v16, v14, vcc_lo
	v_cndmask_b32_e64 v13, v13, 0xffffff92, vcc_lo
	s_delay_alu instid0(VALU_DEP_3) | instskip(NEXT) | instid1(VALU_DEP_3)
	v_lshl_add_u32 v16, 0x200000, v15, -1
	v_lshrrev_b32_e32 v17, v15, v14
	v_lshlrev_b32_e64 v19, v15, 0x100000
	s_delay_alu instid0(VALU_DEP_4) | instskip(NEXT) | instid1(VALU_DEP_4)
	v_add_nc_u32_e32 v15, v15, v13
	v_and_b32_e32 v14, v16, v14
	s_delay_alu instid0(VALU_DEP_4) | instskip(NEXT) | instid1(VALU_DEP_2)
	v_bfe_u32 v18, v17, 21, 1
	v_cmp_eq_u32_e64 s13, v14, v19
	s_delay_alu instid0(VALU_DEP_2) | instskip(NEXT) | instid1(VALU_DEP_1)
	v_add_nc_u32_e32 v16, -1, v18
	v_cndmask_b32_e64 v14, 0, v16, s13
	v_lshrrev_b32_e32 v16, 23, v17
	s_mov_b32 s13, exec_lo
	s_delay_alu instid0(VALU_DEP_2) | instskip(NEXT) | instid1(VALU_DEP_2)
	v_add_nc_u32_e32 v14, v14, v17
	v_xor_b32_e32 v16, 1, v16
	s_delay_alu instid0(VALU_DEP_2) | instskip(NEXT) | instid1(VALU_DEP_1)
	v_and_b32_e32 v13, 0x1fffff, v14
	v_add_nc_u32_e32 v14, v13, v17
                                        ; implicit-def: $vgpr13
	s_delay_alu instid0(VALU_DEP_3)
	v_cmpx_ne_u32_e64 v15, v16
	s_xor_b32 s13, exec_lo, s13
; %bb.13099:                            ;   in Loop: Header=BB6_12675 Depth=3
	s_delay_alu instid0(VALU_DEP_2) | instskip(SKIP_2) | instid1(VALU_DEP_2)
	v_cmp_lt_u32_e32 vcc_lo, 0xffffff, v14
	v_sub_nc_u32_e32 v13, v15, v16
	v_cndmask_b32_e64 v15, 0, 1, vcc_lo
	v_add_co_ci_u32_e32 v13, vcc_lo, 0, v13, vcc_lo
	s_delay_alu instid0(VALU_DEP_2)
	v_lshrrev_b32_e32 v14, v15, v14
; %bb.13100:                            ;   in Loop: Header=BB6_12675 Depth=3
	s_and_not1_saveexec_b32 s13, s13
; %bb.13101:                            ;   in Loop: Header=BB6_12675 Depth=3
	s_delay_alu instid0(VALU_DEP_1)
	v_bfe_u32 v13, v14, 23, 1
; %bb.13102:                            ;   in Loop: Header=BB6_12675 Depth=3
	s_or_b32 exec_lo, exec_lo, s13
	v_lshrrev_b32_e32 v14, 21, v14
	s_delay_alu instid0(VALU_DEP_2) | instskip(SKIP_2) | instid1(VALU_DEP_4)
	v_cmp_gt_i32_e32 vcc_lo, 32, v13
	v_lshrrev_b32_e32 v12, 24, v12
	v_min_i32_e32 v15, 31, v13
	v_cndmask_b32_e32 v14, 3, v14, vcc_lo
	s_delay_alu instid0(VALU_DEP_3) | instskip(NEXT) | instid1(VALU_DEP_3)
	v_and_b32_e32 v12, 0x80, v12
	v_lshlrev_b32_e32 v15, 2, v15
	s_delay_alu instid0(VALU_DEP_3) | instskip(SKIP_1) | instid1(VALU_DEP_2)
	v_and_b32_e32 v16, 3, v14
	v_or_b32_e32 v13, v13, v14
	v_or3_b32 v12, v15, v12, v16
	s_delay_alu instid0(VALU_DEP_2) | instskip(NEXT) | instid1(VALU_DEP_2)
	v_cmp_ne_u32_e32 vcc_lo, 0, v13
	v_cndmask_b32_e32 v74, 0, v12, vcc_lo
.LBB6_13103:                            ;   in Loop: Header=BB6_12675 Depth=3
	s_or_b32 exec_lo, exec_lo, s31
.LBB6_13104:                            ;   in Loop: Header=BB6_12675 Depth=3
	s_delay_alu instid0(SALU_CYCLE_1) | instskip(SKIP_3) | instid1(VALU_DEP_1)
	s_or_b32 exec_lo, exec_lo, s30
	v_lshrrev_b32_e32 v12, 24, v8
	s_mov_b32 s13, 0
	s_mov_b32 s31, exec_lo
                                        ; implicit-def: $sgpr30
	v_cmpx_lt_i16_e32 0x7f, v12
	s_xor_b32 s31, exec_lo, s31
	s_cbranch_execnz .LBB6_14614
; %bb.13105:                            ;   in Loop: Header=BB6_12675 Depth=3
	s_or_saveexec_b32 s31, s31
	v_mov_b32_e32 v13, s30
	s_xor_b32 exec_lo, exec_lo, s31
	s_cbranch_execnz .LBB6_14617
.LBB6_13106:                            ;   in Loop: Header=BB6_12675 Depth=3
	s_or_b32 exec_lo, exec_lo, s31
	s_and_saveexec_b32 s30, s13
	s_cbranch_execz .LBB6_13108
.LBB6_13107:                            ;   in Loop: Header=BB6_12675 Depth=3
	v_bfe_u32 v13, v8, 24, 2
	s_delay_alu instid0(VALU_DEP_1) | instskip(NEXT) | instid1(VALU_DEP_1)
	v_clz_i32_u32_e32 v14, v13
	v_min_u32_e32 v14, 32, v14
	s_delay_alu instid0(VALU_DEP_1) | instskip(SKIP_1) | instid1(VALU_DEP_2)
	v_subrev_nc_u32_e32 v15, 29, v14
	v_sub_nc_u32_e32 v14, 30, v14
	v_lshlrev_b32_e32 v12, v15, v12
	v_bfe_u32 v15, v8, 26, 5
	v_and_b32_e32 v8, 0x80000000, v8
	s_delay_alu instid0(VALU_DEP_3) | instskip(NEXT) | instid1(VALU_DEP_3)
	v_and_b32_e32 v12, 3, v12
	v_cmp_eq_u32_e32 vcc_lo, 0, v15
	v_cndmask_b32_e32 v14, v15, v14, vcc_lo
	s_delay_alu instid0(VALU_DEP_3) | instskip(NEXT) | instid1(VALU_DEP_2)
	v_cndmask_b32_e32 v12, v13, v12, vcc_lo
	v_lshl_add_u32 v13, v14, 23, 0x37800000
	s_delay_alu instid0(VALU_DEP_2) | instskip(NEXT) | instid1(VALU_DEP_1)
	v_lshlrev_b32_e32 v12, 21, v12
	v_or3_b32 v13, v8, v13, v12
.LBB6_13108:                            ;   in Loop: Header=BB6_12675 Depth=3
	s_or_b32 exec_lo, exec_lo, s30
	s_delay_alu instid0(VALU_DEP_1) | instskip(SKIP_2) | instid1(VALU_DEP_2)
	v_mul_f32_e32 v8, s17, v13
	v_mov_b32_e32 v72, 0x80
	s_mov_b32 s30, exec_lo
	v_and_b32_e32 v12, 0x7f800000, v8
	s_delay_alu instid0(VALU_DEP_1)
	v_cmpx_ne_u32_e32 0x7f800000, v12
	s_cbranch_execz .LBB6_13116
; %bb.13109:                            ;   in Loop: Header=BB6_12675 Depth=3
	v_mov_b32_e32 v72, 0
	s_mov_b32 s31, exec_lo
	v_cmpx_ne_u32_e32 0, v8
	s_cbranch_execz .LBB6_13115
; %bb.13110:                            ;   in Loop: Header=BB6_12675 Depth=3
	v_bfe_u32 v12, v8, 23, 8
	s_delay_alu instid0(VALU_DEP_1) | instskip(SKIP_1) | instid1(VALU_DEP_2)
	v_sub_nc_u32_e32 v14, 0x70, v12
	v_cmp_gt_u32_e32 vcc_lo, 0x71, v12
	v_dual_cndmask_b32 v14, 0, v14 :: v_dual_and_b32 v13, 0x7fffff, v8
	s_delay_alu instid0(VALU_DEP_1) | instskip(SKIP_2) | instid1(VALU_DEP_4)
	v_or_b32_e32 v15, 0x800000, v13
	v_cmp_eq_u32_e32 vcc_lo, 0, v12
	v_add_nc_u32_e32 v12, 0xffffff91, v12
	v_cndmask_b32_e64 v14, v14, 0x6f, vcc_lo
	s_delay_alu instid0(VALU_DEP_4) | instskip(NEXT) | instid1(VALU_DEP_3)
	v_cndmask_b32_e32 v13, v15, v13, vcc_lo
	v_cndmask_b32_e64 v12, v12, 0xffffff92, vcc_lo
	s_delay_alu instid0(VALU_DEP_3) | instskip(NEXT) | instid1(VALU_DEP_3)
	v_lshl_add_u32 v15, 0x200000, v14, -1
	v_lshrrev_b32_e32 v16, v14, v13
	v_lshlrev_b32_e64 v18, v14, 0x100000
	s_delay_alu instid0(VALU_DEP_4) | instskip(NEXT) | instid1(VALU_DEP_4)
	v_add_nc_u32_e32 v14, v14, v12
	v_and_b32_e32 v13, v15, v13
	s_delay_alu instid0(VALU_DEP_4) | instskip(NEXT) | instid1(VALU_DEP_2)
	v_bfe_u32 v17, v16, 21, 1
	v_cmp_eq_u32_e64 s13, v13, v18
	s_delay_alu instid0(VALU_DEP_2) | instskip(NEXT) | instid1(VALU_DEP_1)
	v_add_nc_u32_e32 v15, -1, v17
	v_cndmask_b32_e64 v13, 0, v15, s13
	v_lshrrev_b32_e32 v15, 23, v16
	s_mov_b32 s13, exec_lo
	s_delay_alu instid0(VALU_DEP_2) | instskip(NEXT) | instid1(VALU_DEP_2)
	v_add_nc_u32_e32 v13, v13, v16
	v_xor_b32_e32 v15, 1, v15
	s_delay_alu instid0(VALU_DEP_2) | instskip(NEXT) | instid1(VALU_DEP_1)
	v_and_b32_e32 v12, 0x1fffff, v13
	v_add_nc_u32_e32 v13, v12, v16
                                        ; implicit-def: $vgpr12
	s_delay_alu instid0(VALU_DEP_3)
	v_cmpx_ne_u32_e64 v14, v15
	s_xor_b32 s13, exec_lo, s13
; %bb.13111:                            ;   in Loop: Header=BB6_12675 Depth=3
	s_delay_alu instid0(VALU_DEP_2) | instskip(SKIP_2) | instid1(VALU_DEP_2)
	v_cmp_lt_u32_e32 vcc_lo, 0xffffff, v13
	v_sub_nc_u32_e32 v12, v14, v15
	v_cndmask_b32_e64 v14, 0, 1, vcc_lo
	v_add_co_ci_u32_e32 v12, vcc_lo, 0, v12, vcc_lo
	s_delay_alu instid0(VALU_DEP_2)
	v_lshrrev_b32_e32 v13, v14, v13
; %bb.13112:                            ;   in Loop: Header=BB6_12675 Depth=3
	s_and_not1_saveexec_b32 s13, s13
; %bb.13113:                            ;   in Loop: Header=BB6_12675 Depth=3
	s_delay_alu instid0(VALU_DEP_1)
	v_bfe_u32 v12, v13, 23, 1
; %bb.13114:                            ;   in Loop: Header=BB6_12675 Depth=3
	s_or_b32 exec_lo, exec_lo, s13
	v_lshrrev_b32_e32 v13, 21, v13
	s_delay_alu instid0(VALU_DEP_2) | instskip(SKIP_2) | instid1(VALU_DEP_2)
	v_cmp_gt_i32_e32 vcc_lo, 32, v12
	v_lshrrev_b32_e32 v8, 24, v8
	v_min_i32_e32 v14, 31, v12
	v_dual_cndmask_b32 v13, 3, v13 :: v_dual_and_b32 v8, 0x80, v8
	s_delay_alu instid0(VALU_DEP_2) | instskip(NEXT) | instid1(VALU_DEP_2)
	v_lshlrev_b32_e32 v14, 2, v14
	v_or_b32_e32 v12, v12, v13
	s_delay_alu instid0(VALU_DEP_1) | instskip(SKIP_1) | instid1(VALU_DEP_1)
	v_cmp_ne_u32_e32 vcc_lo, 0, v12
	v_and_b32_e32 v15, 3, v13
	v_or3_b32 v8, v14, v8, v15
	s_delay_alu instid0(VALU_DEP_1)
	v_cndmask_b32_e32 v72, 0, v8, vcc_lo
.LBB6_13115:                            ;   in Loop: Header=BB6_12675 Depth=3
	s_or_b32 exec_lo, exec_lo, s31
.LBB6_13116:                            ;   in Loop: Header=BB6_12675 Depth=3
	s_delay_alu instid0(SALU_CYCLE_1) | instskip(SKIP_3) | instid1(VALU_DEP_1)
	s_or_b32 exec_lo, exec_lo, s30
	v_and_b32_e32 v12, 0xff, v9
	s_mov_b32 s13, 0
	s_mov_b32 s31, exec_lo
                                        ; implicit-def: $sgpr30
	v_cmpx_lt_i16_e32 0x7f, v12
	s_xor_b32 s31, exec_lo, s31
	s_cbranch_execnz .LBB6_14618
; %bb.13117:                            ;   in Loop: Header=BB6_12675 Depth=3
	s_or_saveexec_b32 s31, s31
	v_mov_b32_e32 v8, s30
	s_xor_b32 exec_lo, exec_lo, s31
	s_cbranch_execnz .LBB6_14621
.LBB6_13118:                            ;   in Loop: Header=BB6_12675 Depth=3
	s_or_b32 exec_lo, exec_lo, s31
	s_and_saveexec_b32 s30, s13
	s_cbranch_execz .LBB6_13120
.LBB6_13119:                            ;   in Loop: Header=BB6_12675 Depth=3
	v_and_b32_e32 v8, 3, v9
	v_bfe_u32 v14, v9, 2, 5
	v_lshlrev_b32_e32 v15, 24, v9
	s_delay_alu instid0(VALU_DEP_3) | instskip(NEXT) | instid1(VALU_DEP_3)
	v_clz_i32_u32_e32 v12, v8
	v_cmp_eq_u32_e32 vcc_lo, 0, v14
	s_delay_alu instid0(VALU_DEP_2) | instskip(NEXT) | instid1(VALU_DEP_1)
	v_min_u32_e32 v12, 32, v12
	v_subrev_nc_u32_e32 v13, 29, v12
	v_sub_nc_u32_e32 v12, 30, v12
	s_delay_alu instid0(VALU_DEP_1) | instskip(NEXT) | instid1(VALU_DEP_1)
	v_dual_cndmask_b32 v12, v14, v12 :: v_dual_lshlrev_b32 v13, v13, v9
	v_and_b32_e32 v13, 3, v13
	s_delay_alu instid0(VALU_DEP_2) | instskip(NEXT) | instid1(VALU_DEP_2)
	v_lshl_add_u32 v12, v12, 23, 0x37800000
	v_dual_cndmask_b32 v8, v8, v13 :: v_dual_and_b32 v13, 0x80000000, v15
	s_delay_alu instid0(VALU_DEP_1) | instskip(NEXT) | instid1(VALU_DEP_1)
	v_lshlrev_b32_e32 v8, 21, v8
	v_or3_b32 v8, v13, v12, v8
.LBB6_13120:                            ;   in Loop: Header=BB6_12675 Depth=3
	s_or_b32 exec_lo, exec_lo, s30
	s_delay_alu instid0(VALU_DEP_1) | instskip(SKIP_1) | instid1(VALU_DEP_1)
	v_dual_mul_f32 v8, s17, v8 :: v_dual_mov_b32 v63, 0x80
	s_mov_b32 s30, exec_lo
	v_and_b32_e32 v12, 0x7f800000, v8
	s_delay_alu instid0(VALU_DEP_1)
	v_cmpx_ne_u32_e32 0x7f800000, v12
	s_cbranch_execz .LBB6_13128
; %bb.13121:                            ;   in Loop: Header=BB6_12675 Depth=3
	v_mov_b32_e32 v63, 0
	s_mov_b32 s31, exec_lo
	v_cmpx_ne_u32_e32 0, v8
	s_cbranch_execz .LBB6_13127
; %bb.13122:                            ;   in Loop: Header=BB6_12675 Depth=3
	v_bfe_u32 v12, v8, 23, 8
	s_delay_alu instid0(VALU_DEP_1) | instskip(SKIP_1) | instid1(VALU_DEP_2)
	v_sub_nc_u32_e32 v14, 0x70, v12
	v_cmp_gt_u32_e32 vcc_lo, 0x71, v12
	v_dual_cndmask_b32 v14, 0, v14 :: v_dual_and_b32 v13, 0x7fffff, v8
	s_delay_alu instid0(VALU_DEP_1) | instskip(SKIP_2) | instid1(VALU_DEP_4)
	v_or_b32_e32 v15, 0x800000, v13
	v_cmp_eq_u32_e32 vcc_lo, 0, v12
	v_add_nc_u32_e32 v12, 0xffffff91, v12
	v_cndmask_b32_e64 v14, v14, 0x6f, vcc_lo
	s_delay_alu instid0(VALU_DEP_4) | instskip(NEXT) | instid1(VALU_DEP_3)
	v_cndmask_b32_e32 v13, v15, v13, vcc_lo
	v_cndmask_b32_e64 v12, v12, 0xffffff92, vcc_lo
	s_delay_alu instid0(VALU_DEP_3) | instskip(NEXT) | instid1(VALU_DEP_3)
	v_lshl_add_u32 v15, 0x200000, v14, -1
	v_lshrrev_b32_e32 v16, v14, v13
	v_lshlrev_b32_e64 v18, v14, 0x100000
	s_delay_alu instid0(VALU_DEP_4) | instskip(NEXT) | instid1(VALU_DEP_4)
	v_add_nc_u32_e32 v14, v14, v12
	v_and_b32_e32 v13, v15, v13
	s_delay_alu instid0(VALU_DEP_4) | instskip(NEXT) | instid1(VALU_DEP_2)
	v_bfe_u32 v17, v16, 21, 1
	v_cmp_eq_u32_e64 s13, v13, v18
	s_delay_alu instid0(VALU_DEP_2) | instskip(NEXT) | instid1(VALU_DEP_1)
	v_add_nc_u32_e32 v15, -1, v17
	v_cndmask_b32_e64 v13, 0, v15, s13
	v_lshrrev_b32_e32 v15, 23, v16
	s_mov_b32 s13, exec_lo
	s_delay_alu instid0(VALU_DEP_2) | instskip(NEXT) | instid1(VALU_DEP_2)
	v_add_nc_u32_e32 v13, v13, v16
	v_xor_b32_e32 v15, 1, v15
	s_delay_alu instid0(VALU_DEP_2) | instskip(NEXT) | instid1(VALU_DEP_1)
	v_and_b32_e32 v12, 0x1fffff, v13
	v_add_nc_u32_e32 v13, v12, v16
                                        ; implicit-def: $vgpr12
	s_delay_alu instid0(VALU_DEP_3)
	v_cmpx_ne_u32_e64 v14, v15
	s_xor_b32 s13, exec_lo, s13
; %bb.13123:                            ;   in Loop: Header=BB6_12675 Depth=3
	s_delay_alu instid0(VALU_DEP_2) | instskip(SKIP_2) | instid1(VALU_DEP_2)
	v_cmp_lt_u32_e32 vcc_lo, 0xffffff, v13
	v_sub_nc_u32_e32 v12, v14, v15
	v_cndmask_b32_e64 v14, 0, 1, vcc_lo
	v_add_co_ci_u32_e32 v12, vcc_lo, 0, v12, vcc_lo
	s_delay_alu instid0(VALU_DEP_2)
	v_lshrrev_b32_e32 v13, v14, v13
; %bb.13124:                            ;   in Loop: Header=BB6_12675 Depth=3
	s_and_not1_saveexec_b32 s13, s13
; %bb.13125:                            ;   in Loop: Header=BB6_12675 Depth=3
	s_delay_alu instid0(VALU_DEP_1)
	v_bfe_u32 v12, v13, 23, 1
; %bb.13126:                            ;   in Loop: Header=BB6_12675 Depth=3
	s_or_b32 exec_lo, exec_lo, s13
	v_lshrrev_b32_e32 v13, 21, v13
	s_delay_alu instid0(VALU_DEP_2) | instskip(SKIP_2) | instid1(VALU_DEP_2)
	v_cmp_gt_i32_e32 vcc_lo, 32, v12
	v_min_i32_e32 v14, 31, v12
	v_lshrrev_b32_e32 v8, 24, v8
	v_dual_cndmask_b32 v13, 3, v13 :: v_dual_lshlrev_b32 v14, 2, v14
	s_delay_alu instid0(VALU_DEP_2) | instskip(NEXT) | instid1(VALU_DEP_2)
	v_and_b32_e32 v8, 0x80, v8
	v_or_b32_e32 v12, v12, v13
	v_and_b32_e32 v15, 3, v13
	s_delay_alu instid0(VALU_DEP_2) | instskip(SKIP_1) | instid1(VALU_DEP_1)
	v_cmp_ne_u32_e32 vcc_lo, 0, v12
	v_and_b32_e32 v14, 0xfc, v14
	v_or3_b32 v8, v14, v8, v15
	s_delay_alu instid0(VALU_DEP_1)
	v_cndmask_b32_e32 v63, 0, v8, vcc_lo
.LBB6_13127:                            ;   in Loop: Header=BB6_12675 Depth=3
	s_or_b32 exec_lo, exec_lo, s31
.LBB6_13128:                            ;   in Loop: Header=BB6_12675 Depth=3
	s_delay_alu instid0(SALU_CYCLE_1) | instskip(SKIP_3) | instid1(VALU_DEP_1)
	s_or_b32 exec_lo, exec_lo, s30
	v_lshrrev_b16 v8, 8, v9
	s_mov_b32 s13, 0
	s_mov_b32 s31, exec_lo
                                        ; implicit-def: $sgpr30
	v_cmpx_lt_i16_e32 0x7f, v8
	s_xor_b32 s31, exec_lo, s31
	s_cbranch_execnz .LBB6_14622
; %bb.13129:                            ;   in Loop: Header=BB6_12675 Depth=3
	s_or_saveexec_b32 s31, s31
	v_mov_b32_e32 v12, s30
	s_xor_b32 exec_lo, exec_lo, s31
	s_cbranch_execnz .LBB6_14625
.LBB6_13130:                            ;   in Loop: Header=BB6_12675 Depth=3
	s_or_b32 exec_lo, exec_lo, s31
	s_and_saveexec_b32 s30, s13
	s_cbranch_execz .LBB6_13132
.LBB6_13131:                            ;   in Loop: Header=BB6_12675 Depth=3
	v_and_b32_e32 v12, 0xffff, v8
	v_lshlrev_b32_e32 v8, 24, v8
	s_delay_alu instid0(VALU_DEP_2) | instskip(NEXT) | instid1(VALU_DEP_2)
	v_and_b32_e32 v13, 3, v12
	v_and_b32_e32 v8, 0x80000000, v8
	s_delay_alu instid0(VALU_DEP_2) | instskip(NEXT) | instid1(VALU_DEP_1)
	v_clz_i32_u32_e32 v14, v13
	v_min_u32_e32 v14, 32, v14
	s_delay_alu instid0(VALU_DEP_1) | instskip(SKIP_1) | instid1(VALU_DEP_2)
	v_subrev_nc_u32_e32 v15, 29, v14
	v_sub_nc_u32_e32 v14, 30, v14
	v_lshlrev_b32_e32 v15, v15, v12
	v_bfe_u32 v12, v12, 2, 5
	s_delay_alu instid0(VALU_DEP_2) | instskip(NEXT) | instid1(VALU_DEP_2)
	v_and_b32_e32 v15, 3, v15
	v_cmp_eq_u32_e32 vcc_lo, 0, v12
	s_delay_alu instid0(VALU_DEP_2) | instskip(NEXT) | instid1(VALU_DEP_1)
	v_dual_cndmask_b32 v12, v12, v14 :: v_dual_cndmask_b32 v13, v13, v15
	v_lshl_add_u32 v12, v12, 23, 0x37800000
	s_delay_alu instid0(VALU_DEP_2) | instskip(NEXT) | instid1(VALU_DEP_1)
	v_lshlrev_b32_e32 v13, 21, v13
	v_or3_b32 v12, v8, v12, v13
.LBB6_13132:                            ;   in Loop: Header=BB6_12675 Depth=3
	s_or_b32 exec_lo, exec_lo, s30
	s_delay_alu instid0(VALU_DEP_1) | instskip(SKIP_1) | instid1(VALU_DEP_1)
	v_dual_mul_f32 v8, s17, v12 :: v_dual_mov_b32 v77, 0x8000
	s_mov_b32 s30, exec_lo
	v_and_b32_e32 v12, 0x7f800000, v8
	s_delay_alu instid0(VALU_DEP_1)
	v_cmpx_ne_u32_e32 0x7f800000, v12
	s_cbranch_execz .LBB6_13140
; %bb.13133:                            ;   in Loop: Header=BB6_12675 Depth=3
	v_mov_b32_e32 v77, 0
	s_mov_b32 s31, exec_lo
	v_cmpx_ne_u32_e32 0, v8
	s_cbranch_execz .LBB6_13139
; %bb.13134:                            ;   in Loop: Header=BB6_12675 Depth=3
	v_bfe_u32 v12, v8, 23, 8
	s_delay_alu instid0(VALU_DEP_1) | instskip(SKIP_1) | instid1(VALU_DEP_2)
	v_sub_nc_u32_e32 v14, 0x70, v12
	v_cmp_gt_u32_e32 vcc_lo, 0x71, v12
	v_dual_cndmask_b32 v14, 0, v14 :: v_dual_and_b32 v13, 0x7fffff, v8
	s_delay_alu instid0(VALU_DEP_1) | instskip(SKIP_2) | instid1(VALU_DEP_4)
	v_or_b32_e32 v15, 0x800000, v13
	v_cmp_eq_u32_e32 vcc_lo, 0, v12
	v_add_nc_u32_e32 v12, 0xffffff91, v12
	v_cndmask_b32_e64 v14, v14, 0x6f, vcc_lo
	s_delay_alu instid0(VALU_DEP_4) | instskip(NEXT) | instid1(VALU_DEP_3)
	v_cndmask_b32_e32 v13, v15, v13, vcc_lo
	v_cndmask_b32_e64 v12, v12, 0xffffff92, vcc_lo
	s_delay_alu instid0(VALU_DEP_3) | instskip(NEXT) | instid1(VALU_DEP_3)
	v_lshl_add_u32 v15, 0x200000, v14, -1
	v_lshrrev_b32_e32 v16, v14, v13
	v_lshlrev_b32_e64 v18, v14, 0x100000
	s_delay_alu instid0(VALU_DEP_4) | instskip(NEXT) | instid1(VALU_DEP_4)
	v_add_nc_u32_e32 v14, v14, v12
	v_and_b32_e32 v13, v15, v13
	s_delay_alu instid0(VALU_DEP_4) | instskip(NEXT) | instid1(VALU_DEP_2)
	v_bfe_u32 v17, v16, 21, 1
	v_cmp_eq_u32_e64 s13, v13, v18
	s_delay_alu instid0(VALU_DEP_2) | instskip(NEXT) | instid1(VALU_DEP_1)
	v_add_nc_u32_e32 v15, -1, v17
	v_cndmask_b32_e64 v13, 0, v15, s13
	v_lshrrev_b32_e32 v15, 23, v16
	s_mov_b32 s13, exec_lo
	s_delay_alu instid0(VALU_DEP_2) | instskip(NEXT) | instid1(VALU_DEP_2)
	v_add_nc_u32_e32 v13, v13, v16
	v_xor_b32_e32 v15, 1, v15
	s_delay_alu instid0(VALU_DEP_2) | instskip(NEXT) | instid1(VALU_DEP_1)
	v_and_b32_e32 v12, 0x1fffff, v13
	v_add_nc_u32_e32 v13, v12, v16
                                        ; implicit-def: $vgpr12
	s_delay_alu instid0(VALU_DEP_3)
	v_cmpx_ne_u32_e64 v14, v15
	s_xor_b32 s13, exec_lo, s13
; %bb.13135:                            ;   in Loop: Header=BB6_12675 Depth=3
	s_delay_alu instid0(VALU_DEP_2) | instskip(SKIP_2) | instid1(VALU_DEP_2)
	v_cmp_lt_u32_e32 vcc_lo, 0xffffff, v13
	v_sub_nc_u32_e32 v12, v14, v15
	v_cndmask_b32_e64 v14, 0, 1, vcc_lo
	v_add_co_ci_u32_e32 v12, vcc_lo, 0, v12, vcc_lo
	s_delay_alu instid0(VALU_DEP_2)
	v_lshrrev_b32_e32 v13, v14, v13
; %bb.13136:                            ;   in Loop: Header=BB6_12675 Depth=3
	s_and_not1_saveexec_b32 s13, s13
; %bb.13137:                            ;   in Loop: Header=BB6_12675 Depth=3
	s_delay_alu instid0(VALU_DEP_1)
	v_bfe_u32 v12, v13, 23, 1
; %bb.13138:                            ;   in Loop: Header=BB6_12675 Depth=3
	s_or_b32 exec_lo, exec_lo, s13
	v_lshrrev_b32_e32 v13, 21, v13
	s_delay_alu instid0(VALU_DEP_2) | instskip(SKIP_2) | instid1(VALU_DEP_2)
	v_cmp_gt_i32_e32 vcc_lo, 32, v12
	v_min_i32_e32 v14, 31, v12
	v_lshrrev_b32_e32 v8, 24, v8
	v_dual_cndmask_b32 v13, 3, v13 :: v_dual_lshlrev_b32 v14, 2, v14
	s_delay_alu instid0(VALU_DEP_2) | instskip(NEXT) | instid1(VALU_DEP_2)
	v_and_b32_e32 v8, 0x80, v8
	v_or_b32_e32 v12, v12, v13
	v_and_b32_e32 v15, 3, v13
	s_delay_alu instid0(VALU_DEP_2) | instskip(SKIP_1) | instid1(VALU_DEP_1)
	v_cmp_ne_u32_e32 vcc_lo, 0, v12
	v_and_b32_e32 v14, 0xfc, v14
	v_or3_b32 v8, v8, v14, v15
	s_delay_alu instid0(VALU_DEP_1) | instskip(NEXT) | instid1(VALU_DEP_1)
	v_lshlrev_b32_e32 v8, 8, v8
	v_cndmask_b32_e32 v77, 0, v8, vcc_lo
.LBB6_13139:                            ;   in Loop: Header=BB6_12675 Depth=3
	s_or_b32 exec_lo, exec_lo, s31
.LBB6_13140:                            ;   in Loop: Header=BB6_12675 Depth=3
	s_delay_alu instid0(SALU_CYCLE_1) | instskip(SKIP_3) | instid1(VALU_DEP_1)
	s_or_b32 exec_lo, exec_lo, s30
	v_lshrrev_b32_e32 v8, 16, v9
	s_mov_b32 s13, 0
	s_mov_b32 s31, exec_lo
                                        ; implicit-def: $sgpr30
	v_and_b32_e32 v13, 0xff, v8
	s_delay_alu instid0(VALU_DEP_1)
	v_cmpx_lt_i16_e32 0x7f, v13
	s_xor_b32 s31, exec_lo, s31
	s_cbranch_execnz .LBB6_14626
; %bb.13141:                            ;   in Loop: Header=BB6_12675 Depth=3
	s_or_saveexec_b32 s31, s31
	v_mov_b32_e32 v12, s30
	s_xor_b32 exec_lo, exec_lo, s31
	s_cbranch_execnz .LBB6_14629
.LBB6_13142:                            ;   in Loop: Header=BB6_12675 Depth=3
	s_or_b32 exec_lo, exec_lo, s31
	s_and_saveexec_b32 s30, s13
	s_cbranch_execz .LBB6_13144
.LBB6_13143:                            ;   in Loop: Header=BB6_12675 Depth=3
	v_bfe_u32 v12, v9, 16, 2
	s_delay_alu instid0(VALU_DEP_1) | instskip(NEXT) | instid1(VALU_DEP_1)
	v_clz_i32_u32_e32 v13, v12
	v_min_u32_e32 v13, 32, v13
	s_delay_alu instid0(VALU_DEP_1) | instskip(SKIP_1) | instid1(VALU_DEP_2)
	v_subrev_nc_u32_e32 v14, 29, v13
	v_sub_nc_u32_e32 v13, 30, v13
	v_lshlrev_b32_e32 v8, v14, v8
	v_bfe_u32 v14, v9, 18, 5
	s_delay_alu instid0(VALU_DEP_1) | instskip(NEXT) | instid1(VALU_DEP_3)
	v_cmp_eq_u32_e32 vcc_lo, 0, v14
	v_dual_cndmask_b32 v13, v14, v13 :: v_dual_and_b32 v8, 3, v8
	s_delay_alu instid0(VALU_DEP_1) | instskip(NEXT) | instid1(VALU_DEP_2)
	v_dual_cndmask_b32 v8, v12, v8 :: v_dual_lshlrev_b32 v15, 8, v9
	v_lshl_add_u32 v13, v13, 23, 0x37800000
	s_delay_alu instid0(VALU_DEP_2) | instskip(NEXT) | instid1(VALU_DEP_3)
	v_and_b32_e32 v12, 0x80000000, v15
	v_lshlrev_b32_e32 v8, 21, v8
	s_delay_alu instid0(VALU_DEP_1)
	v_or3_b32 v12, v12, v13, v8
.LBB6_13144:                            ;   in Loop: Header=BB6_12675 Depth=3
	s_or_b32 exec_lo, exec_lo, s30
	s_delay_alu instid0(VALU_DEP_1) | instskip(SKIP_1) | instid1(VALU_DEP_1)
	v_dual_mul_f32 v8, s17, v12 :: v_dual_mov_b32 v61, 0x80
	s_mov_b32 s30, exec_lo
	v_and_b32_e32 v12, 0x7f800000, v8
	s_delay_alu instid0(VALU_DEP_1)
	v_cmpx_ne_u32_e32 0x7f800000, v12
	s_cbranch_execz .LBB6_13152
; %bb.13145:                            ;   in Loop: Header=BB6_12675 Depth=3
	v_mov_b32_e32 v61, 0
	s_mov_b32 s31, exec_lo
	v_cmpx_ne_u32_e32 0, v8
	s_cbranch_execz .LBB6_13151
; %bb.13146:                            ;   in Loop: Header=BB6_12675 Depth=3
	v_bfe_u32 v12, v8, 23, 8
	s_delay_alu instid0(VALU_DEP_1) | instskip(SKIP_1) | instid1(VALU_DEP_2)
	v_sub_nc_u32_e32 v14, 0x70, v12
	v_cmp_gt_u32_e32 vcc_lo, 0x71, v12
	v_dual_cndmask_b32 v14, 0, v14 :: v_dual_and_b32 v13, 0x7fffff, v8
	s_delay_alu instid0(VALU_DEP_1) | instskip(SKIP_2) | instid1(VALU_DEP_4)
	v_or_b32_e32 v15, 0x800000, v13
	v_cmp_eq_u32_e32 vcc_lo, 0, v12
	v_add_nc_u32_e32 v12, 0xffffff91, v12
	v_cndmask_b32_e64 v14, v14, 0x6f, vcc_lo
	s_delay_alu instid0(VALU_DEP_4) | instskip(NEXT) | instid1(VALU_DEP_3)
	v_cndmask_b32_e32 v13, v15, v13, vcc_lo
	v_cndmask_b32_e64 v12, v12, 0xffffff92, vcc_lo
	s_delay_alu instid0(VALU_DEP_3) | instskip(NEXT) | instid1(VALU_DEP_3)
	v_lshl_add_u32 v15, 0x200000, v14, -1
	v_lshrrev_b32_e32 v16, v14, v13
	v_lshlrev_b32_e64 v18, v14, 0x100000
	s_delay_alu instid0(VALU_DEP_4) | instskip(NEXT) | instid1(VALU_DEP_4)
	v_add_nc_u32_e32 v14, v14, v12
	v_and_b32_e32 v13, v15, v13
	s_delay_alu instid0(VALU_DEP_4) | instskip(NEXT) | instid1(VALU_DEP_2)
	v_bfe_u32 v17, v16, 21, 1
	v_cmp_eq_u32_e64 s13, v13, v18
	s_delay_alu instid0(VALU_DEP_2) | instskip(NEXT) | instid1(VALU_DEP_1)
	v_add_nc_u32_e32 v15, -1, v17
	v_cndmask_b32_e64 v13, 0, v15, s13
	v_lshrrev_b32_e32 v15, 23, v16
	s_mov_b32 s13, exec_lo
	s_delay_alu instid0(VALU_DEP_2) | instskip(NEXT) | instid1(VALU_DEP_2)
	v_add_nc_u32_e32 v13, v13, v16
	v_xor_b32_e32 v15, 1, v15
	s_delay_alu instid0(VALU_DEP_2) | instskip(NEXT) | instid1(VALU_DEP_1)
	v_and_b32_e32 v12, 0x1fffff, v13
	v_add_nc_u32_e32 v13, v12, v16
                                        ; implicit-def: $vgpr12
	s_delay_alu instid0(VALU_DEP_3)
	v_cmpx_ne_u32_e64 v14, v15
	s_xor_b32 s13, exec_lo, s13
; %bb.13147:                            ;   in Loop: Header=BB6_12675 Depth=3
	s_delay_alu instid0(VALU_DEP_2) | instskip(SKIP_2) | instid1(VALU_DEP_2)
	v_cmp_lt_u32_e32 vcc_lo, 0xffffff, v13
	v_sub_nc_u32_e32 v12, v14, v15
	v_cndmask_b32_e64 v14, 0, 1, vcc_lo
	v_add_co_ci_u32_e32 v12, vcc_lo, 0, v12, vcc_lo
	s_delay_alu instid0(VALU_DEP_2)
	v_lshrrev_b32_e32 v13, v14, v13
; %bb.13148:                            ;   in Loop: Header=BB6_12675 Depth=3
	s_and_not1_saveexec_b32 s13, s13
; %bb.13149:                            ;   in Loop: Header=BB6_12675 Depth=3
	s_delay_alu instid0(VALU_DEP_1)
	v_bfe_u32 v12, v13, 23, 1
; %bb.13150:                            ;   in Loop: Header=BB6_12675 Depth=3
	s_or_b32 exec_lo, exec_lo, s13
	v_lshrrev_b32_e32 v13, 21, v13
	s_delay_alu instid0(VALU_DEP_2) | instskip(SKIP_2) | instid1(VALU_DEP_2)
	v_cmp_gt_i32_e32 vcc_lo, 32, v12
	v_min_i32_e32 v14, 31, v12
	v_lshrrev_b32_e32 v8, 24, v8
	v_dual_cndmask_b32 v13, 3, v13 :: v_dual_lshlrev_b32 v14, 2, v14
	s_delay_alu instid0(VALU_DEP_2) | instskip(NEXT) | instid1(VALU_DEP_2)
	v_and_b32_e32 v8, 0x80, v8
	v_or_b32_e32 v12, v12, v13
	v_and_b32_e32 v15, 3, v13
	s_delay_alu instid0(VALU_DEP_2) | instskip(SKIP_1) | instid1(VALU_DEP_1)
	v_cmp_ne_u32_e32 vcc_lo, 0, v12
	v_and_b32_e32 v14, 0xfc, v14
	v_or3_b32 v8, v14, v8, v15
	s_delay_alu instid0(VALU_DEP_1)
	v_cndmask_b32_e32 v61, 0, v8, vcc_lo
.LBB6_13151:                            ;   in Loop: Header=BB6_12675 Depth=3
	s_or_b32 exec_lo, exec_lo, s31
.LBB6_13152:                            ;   in Loop: Header=BB6_12675 Depth=3
	s_delay_alu instid0(SALU_CYCLE_1) | instskip(SKIP_3) | instid1(VALU_DEP_1)
	s_or_b32 exec_lo, exec_lo, s30
	v_lshrrev_b32_e32 v8, 24, v9
	s_mov_b32 s13, 0
	s_mov_b32 s31, exec_lo
                                        ; implicit-def: $sgpr30
	v_cmpx_lt_i16_e32 0x7f, v8
	s_xor_b32 s31, exec_lo, s31
	s_cbranch_execnz .LBB6_14630
; %bb.13153:                            ;   in Loop: Header=BB6_12675 Depth=3
	s_or_saveexec_b32 s31, s31
	v_mov_b32_e32 v12, s30
	s_xor_b32 exec_lo, exec_lo, s31
	s_cbranch_execnz .LBB6_14633
.LBB6_13154:                            ;   in Loop: Header=BB6_12675 Depth=3
	s_or_b32 exec_lo, exec_lo, s31
	s_and_saveexec_b32 s30, s13
	s_cbranch_execz .LBB6_13156
.LBB6_13155:                            ;   in Loop: Header=BB6_12675 Depth=3
	v_bfe_u32 v12, v9, 24, 2
	s_delay_alu instid0(VALU_DEP_1) | instskip(NEXT) | instid1(VALU_DEP_1)
	v_clz_i32_u32_e32 v13, v12
	v_min_u32_e32 v13, 32, v13
	s_delay_alu instid0(VALU_DEP_1) | instskip(SKIP_1) | instid1(VALU_DEP_2)
	v_subrev_nc_u32_e32 v14, 29, v13
	v_sub_nc_u32_e32 v13, 30, v13
	v_lshlrev_b32_e32 v8, v14, v8
	v_bfe_u32 v14, v9, 26, 5
	v_and_b32_e32 v9, 0x80000000, v9
	s_delay_alu instid0(VALU_DEP_2) | instskip(NEXT) | instid1(VALU_DEP_4)
	v_cmp_eq_u32_e32 vcc_lo, 0, v14
	v_dual_cndmask_b32 v13, v14, v13 :: v_dual_and_b32 v8, 3, v8
	s_delay_alu instid0(VALU_DEP_1) | instskip(NEXT) | instid1(VALU_DEP_2)
	v_cndmask_b32_e32 v8, v12, v8, vcc_lo
	v_lshl_add_u32 v12, v13, 23, 0x37800000
	s_delay_alu instid0(VALU_DEP_2) | instskip(NEXT) | instid1(VALU_DEP_1)
	v_lshlrev_b32_e32 v8, 21, v8
	v_or3_b32 v12, v9, v12, v8
.LBB6_13156:                            ;   in Loop: Header=BB6_12675 Depth=3
	s_or_b32 exec_lo, exec_lo, s30
	s_delay_alu instid0(VALU_DEP_1) | instskip(SKIP_1) | instid1(VALU_DEP_1)
	v_dual_mul_f32 v8, s17, v12 :: v_dual_mov_b32 v73, 0x8000
	s_mov_b32 s30, exec_lo
	v_and_b32_e32 v9, 0x7f800000, v8
	s_delay_alu instid0(VALU_DEP_1)
	v_cmpx_ne_u32_e32 0x7f800000, v9
	s_cbranch_execz .LBB6_13164
; %bb.13157:                            ;   in Loop: Header=BB6_12675 Depth=3
	v_mov_b32_e32 v73, 0
	s_mov_b32 s31, exec_lo
	v_cmpx_ne_u32_e32 0, v8
	s_cbranch_execz .LBB6_13163
; %bb.13158:                            ;   in Loop: Header=BB6_12675 Depth=3
	v_bfe_u32 v9, v8, 23, 8
	s_delay_alu instid0(VALU_DEP_1) | instskip(SKIP_1) | instid1(VALU_DEP_2)
	v_sub_nc_u32_e32 v13, 0x70, v9
	v_cmp_gt_u32_e32 vcc_lo, 0x71, v9
	v_dual_cndmask_b32 v13, 0, v13 :: v_dual_and_b32 v12, 0x7fffff, v8
	s_delay_alu instid0(VALU_DEP_1) | instskip(SKIP_2) | instid1(VALU_DEP_4)
	v_or_b32_e32 v14, 0x800000, v12
	v_cmp_eq_u32_e32 vcc_lo, 0, v9
	v_add_nc_u32_e32 v9, 0xffffff91, v9
	v_cndmask_b32_e64 v13, v13, 0x6f, vcc_lo
	s_delay_alu instid0(VALU_DEP_4) | instskip(NEXT) | instid1(VALU_DEP_3)
	v_cndmask_b32_e32 v12, v14, v12, vcc_lo
	v_cndmask_b32_e64 v9, v9, 0xffffff92, vcc_lo
	s_delay_alu instid0(VALU_DEP_3) | instskip(NEXT) | instid1(VALU_DEP_3)
	v_lshl_add_u32 v14, 0x200000, v13, -1
	v_lshrrev_b32_e32 v15, v13, v12
	v_lshlrev_b32_e64 v17, v13, 0x100000
	s_delay_alu instid0(VALU_DEP_4) | instskip(NEXT) | instid1(VALU_DEP_4)
	v_add_nc_u32_e32 v13, v13, v9
	v_and_b32_e32 v12, v14, v12
	s_delay_alu instid0(VALU_DEP_4) | instskip(NEXT) | instid1(VALU_DEP_2)
	v_bfe_u32 v16, v15, 21, 1
	v_cmp_eq_u32_e64 s13, v12, v17
	s_delay_alu instid0(VALU_DEP_2) | instskip(NEXT) | instid1(VALU_DEP_1)
	v_add_nc_u32_e32 v14, -1, v16
	v_cndmask_b32_e64 v12, 0, v14, s13
	v_lshrrev_b32_e32 v14, 23, v15
	s_mov_b32 s13, exec_lo
	s_delay_alu instid0(VALU_DEP_2) | instskip(NEXT) | instid1(VALU_DEP_2)
	v_add_nc_u32_e32 v12, v12, v15
	v_xor_b32_e32 v14, 1, v14
	s_delay_alu instid0(VALU_DEP_2) | instskip(NEXT) | instid1(VALU_DEP_1)
	v_and_b32_e32 v9, 0x1fffff, v12
	v_add_nc_u32_e32 v12, v9, v15
                                        ; implicit-def: $vgpr9
	s_delay_alu instid0(VALU_DEP_3)
	v_cmpx_ne_u32_e64 v13, v14
	s_xor_b32 s13, exec_lo, s13
; %bb.13159:                            ;   in Loop: Header=BB6_12675 Depth=3
	s_delay_alu instid0(VALU_DEP_2) | instskip(SKIP_2) | instid1(VALU_DEP_2)
	v_cmp_lt_u32_e32 vcc_lo, 0xffffff, v12
	v_sub_nc_u32_e32 v9, v13, v14
	v_cndmask_b32_e64 v13, 0, 1, vcc_lo
	v_add_co_ci_u32_e32 v9, vcc_lo, 0, v9, vcc_lo
	s_delay_alu instid0(VALU_DEP_2)
	v_lshrrev_b32_e32 v12, v13, v12
; %bb.13160:                            ;   in Loop: Header=BB6_12675 Depth=3
	s_and_not1_saveexec_b32 s13, s13
; %bb.13161:                            ;   in Loop: Header=BB6_12675 Depth=3
	s_delay_alu instid0(VALU_DEP_1)
	v_bfe_u32 v9, v12, 23, 1
; %bb.13162:                            ;   in Loop: Header=BB6_12675 Depth=3
	s_or_b32 exec_lo, exec_lo, s13
	v_lshrrev_b32_e32 v12, 21, v12
	s_delay_alu instid0(VALU_DEP_2) | instskip(SKIP_2) | instid1(VALU_DEP_3)
	v_min_i32_e32 v13, 31, v9
	v_cmp_gt_i32_e32 vcc_lo, 32, v9
	v_lshrrev_b32_e32 v8, 24, v8
	v_dual_cndmask_b32 v12, 3, v12 :: v_dual_lshlrev_b32 v13, 2, v13
	s_delay_alu instid0(VALU_DEP_2) | instskip(NEXT) | instid1(VALU_DEP_2)
	v_and_b32_e32 v8, 0x80, v8
	v_and_b32_e32 v13, 0xfc, v13
	s_delay_alu instid0(VALU_DEP_3) | instskip(SKIP_1) | instid1(VALU_DEP_2)
	v_and_b32_e32 v14, 3, v12
	v_or_b32_e32 v9, v9, v12
	v_or3_b32 v8, v8, v13, v14
	s_delay_alu instid0(VALU_DEP_2) | instskip(NEXT) | instid1(VALU_DEP_2)
	v_cmp_ne_u32_e32 vcc_lo, 0, v9
	v_lshlrev_b32_e32 v8, 8, v8
	s_delay_alu instid0(VALU_DEP_1)
	v_cndmask_b32_e32 v73, 0, v8, vcc_lo
.LBB6_13163:                            ;   in Loop: Header=BB6_12675 Depth=3
	s_or_b32 exec_lo, exec_lo, s31
.LBB6_13164:                            ;   in Loop: Header=BB6_12675 Depth=3
	s_delay_alu instid0(SALU_CYCLE_1) | instskip(SKIP_3) | instid1(VALU_DEP_1)
	s_or_b32 exec_lo, exec_lo, s30
	v_and_b32_e32 v9, 0xff, v10
	s_mov_b32 s13, 0
	s_mov_b32 s31, exec_lo
                                        ; implicit-def: $sgpr30
	v_cmpx_lt_i16_e32 0x7f, v9
	s_xor_b32 s31, exec_lo, s31
	s_cbranch_execnz .LBB6_14634
; %bb.13165:                            ;   in Loop: Header=BB6_12675 Depth=3
	s_or_saveexec_b32 s31, s31
	v_mov_b32_e32 v8, s30
	s_xor_b32 exec_lo, exec_lo, s31
	s_cbranch_execnz .LBB6_14637
.LBB6_13166:                            ;   in Loop: Header=BB6_12675 Depth=3
	s_or_b32 exec_lo, exec_lo, s31
	s_and_saveexec_b32 s30, s13
	s_cbranch_execz .LBB6_13168
.LBB6_13167:                            ;   in Loop: Header=BB6_12675 Depth=3
	v_bfe_u32 v13, v10, 2, 5
	v_lshlrev_b32_e32 v14, 24, v10
	s_delay_alu instid0(VALU_DEP_2) | instskip(SKIP_1) | instid1(VALU_DEP_1)
	v_cmp_eq_u32_e32 vcc_lo, 0, v13
	v_and_b32_e32 v8, 3, v10
	v_clz_i32_u32_e32 v9, v8
	s_delay_alu instid0(VALU_DEP_1) | instskip(NEXT) | instid1(VALU_DEP_1)
	v_min_u32_e32 v9, 32, v9
	v_subrev_nc_u32_e32 v12, 29, v9
	v_sub_nc_u32_e32 v9, 30, v9
	s_delay_alu instid0(VALU_DEP_1) | instskip(NEXT) | instid1(VALU_DEP_1)
	v_dual_cndmask_b32 v9, v13, v9 :: v_dual_lshlrev_b32 v12, v12, v10
	v_and_b32_e32 v12, 3, v12
	s_delay_alu instid0(VALU_DEP_2) | instskip(NEXT) | instid1(VALU_DEP_2)
	v_lshl_add_u32 v9, v9, 23, 0x37800000
	v_cndmask_b32_e32 v8, v8, v12, vcc_lo
	v_and_b32_e32 v12, 0x80000000, v14
	s_delay_alu instid0(VALU_DEP_2) | instskip(NEXT) | instid1(VALU_DEP_1)
	v_lshlrev_b32_e32 v8, 21, v8
	v_or3_b32 v8, v12, v9, v8
.LBB6_13168:                            ;   in Loop: Header=BB6_12675 Depth=3
	s_or_b32 exec_lo, exec_lo, s30
	s_delay_alu instid0(VALU_DEP_1) | instskip(SKIP_2) | instid1(VALU_DEP_2)
	v_mul_f32_e32 v8, s17, v8
	v_mov_b32_e32 v60, 0x80
	s_mov_b32 s30, exec_lo
	v_and_b32_e32 v9, 0x7f800000, v8
	s_delay_alu instid0(VALU_DEP_1)
	v_cmpx_ne_u32_e32 0x7f800000, v9
	s_cbranch_execz .LBB6_13176
; %bb.13169:                            ;   in Loop: Header=BB6_12675 Depth=3
	v_mov_b32_e32 v60, 0
	s_mov_b32 s31, exec_lo
	v_cmpx_ne_u32_e32 0, v8
	s_cbranch_execz .LBB6_13175
; %bb.13170:                            ;   in Loop: Header=BB6_12675 Depth=3
	v_bfe_u32 v9, v8, 23, 8
	s_delay_alu instid0(VALU_DEP_1) | instskip(SKIP_1) | instid1(VALU_DEP_2)
	v_sub_nc_u32_e32 v13, 0x70, v9
	v_cmp_gt_u32_e32 vcc_lo, 0x71, v9
	v_dual_cndmask_b32 v13, 0, v13 :: v_dual_and_b32 v12, 0x7fffff, v8
	s_delay_alu instid0(VALU_DEP_1) | instskip(SKIP_2) | instid1(VALU_DEP_4)
	v_or_b32_e32 v14, 0x800000, v12
	v_cmp_eq_u32_e32 vcc_lo, 0, v9
	v_add_nc_u32_e32 v9, 0xffffff91, v9
	v_cndmask_b32_e64 v13, v13, 0x6f, vcc_lo
	s_delay_alu instid0(VALU_DEP_4) | instskip(NEXT) | instid1(VALU_DEP_3)
	v_cndmask_b32_e32 v12, v14, v12, vcc_lo
	v_cndmask_b32_e64 v9, v9, 0xffffff92, vcc_lo
	s_delay_alu instid0(VALU_DEP_3) | instskip(NEXT) | instid1(VALU_DEP_3)
	v_lshl_add_u32 v14, 0x200000, v13, -1
	v_lshrrev_b32_e32 v15, v13, v12
	v_lshlrev_b32_e64 v17, v13, 0x100000
	s_delay_alu instid0(VALU_DEP_4) | instskip(NEXT) | instid1(VALU_DEP_4)
	v_add_nc_u32_e32 v13, v13, v9
	v_and_b32_e32 v12, v14, v12
	s_delay_alu instid0(VALU_DEP_4) | instskip(NEXT) | instid1(VALU_DEP_2)
	v_bfe_u32 v16, v15, 21, 1
	v_cmp_eq_u32_e64 s13, v12, v17
	s_delay_alu instid0(VALU_DEP_2) | instskip(NEXT) | instid1(VALU_DEP_1)
	v_add_nc_u32_e32 v14, -1, v16
	v_cndmask_b32_e64 v12, 0, v14, s13
	v_lshrrev_b32_e32 v14, 23, v15
	s_mov_b32 s13, exec_lo
	s_delay_alu instid0(VALU_DEP_2) | instskip(NEXT) | instid1(VALU_DEP_2)
	v_add_nc_u32_e32 v12, v12, v15
	v_xor_b32_e32 v14, 1, v14
	s_delay_alu instid0(VALU_DEP_2) | instskip(NEXT) | instid1(VALU_DEP_1)
	v_and_b32_e32 v9, 0x1fffff, v12
	v_add_nc_u32_e32 v12, v9, v15
                                        ; implicit-def: $vgpr9
	s_delay_alu instid0(VALU_DEP_3)
	v_cmpx_ne_u32_e64 v13, v14
	s_xor_b32 s13, exec_lo, s13
; %bb.13171:                            ;   in Loop: Header=BB6_12675 Depth=3
	s_delay_alu instid0(VALU_DEP_2) | instskip(SKIP_2) | instid1(VALU_DEP_2)
	v_cmp_lt_u32_e32 vcc_lo, 0xffffff, v12
	v_sub_nc_u32_e32 v9, v13, v14
	v_cndmask_b32_e64 v13, 0, 1, vcc_lo
	v_add_co_ci_u32_e32 v9, vcc_lo, 0, v9, vcc_lo
	s_delay_alu instid0(VALU_DEP_2)
	v_lshrrev_b32_e32 v12, v13, v12
; %bb.13172:                            ;   in Loop: Header=BB6_12675 Depth=3
	s_and_not1_saveexec_b32 s13, s13
; %bb.13173:                            ;   in Loop: Header=BB6_12675 Depth=3
	s_delay_alu instid0(VALU_DEP_1)
	v_bfe_u32 v9, v12, 23, 1
; %bb.13174:                            ;   in Loop: Header=BB6_12675 Depth=3
	s_or_b32 exec_lo, exec_lo, s13
	v_lshrrev_b32_e32 v12, 21, v12
	s_delay_alu instid0(VALU_DEP_2) | instskip(SKIP_2) | instid1(VALU_DEP_4)
	v_cmp_gt_i32_e32 vcc_lo, 32, v9
	v_lshrrev_b32_e32 v8, 24, v8
	v_min_i32_e32 v13, 31, v9
	v_cndmask_b32_e32 v12, 3, v12, vcc_lo
	s_delay_alu instid0(VALU_DEP_3) | instskip(NEXT) | instid1(VALU_DEP_3)
	v_and_b32_e32 v8, 0x80, v8
	v_lshlrev_b32_e32 v13, 2, v13
	s_delay_alu instid0(VALU_DEP_3) | instskip(SKIP_1) | instid1(VALU_DEP_2)
	v_and_b32_e32 v14, 3, v12
	v_or_b32_e32 v9, v9, v12
	v_or3_b32 v8, v13, v8, v14
	s_delay_alu instid0(VALU_DEP_2) | instskip(NEXT) | instid1(VALU_DEP_2)
	v_cmp_ne_u32_e32 vcc_lo, 0, v9
	v_cndmask_b32_e32 v60, 0, v8, vcc_lo
.LBB6_13175:                            ;   in Loop: Header=BB6_12675 Depth=3
	s_or_b32 exec_lo, exec_lo, s31
.LBB6_13176:                            ;   in Loop: Header=BB6_12675 Depth=3
	s_delay_alu instid0(SALU_CYCLE_1) | instskip(SKIP_3) | instid1(VALU_DEP_1)
	s_or_b32 exec_lo, exec_lo, s30
	v_lshrrev_b16 v8, 8, v10
	s_mov_b32 s13, 0
	s_mov_b32 s31, exec_lo
                                        ; implicit-def: $sgpr30
	v_cmpx_lt_i16_e32 0x7f, v8
	s_xor_b32 s31, exec_lo, s31
	s_cbranch_execnz .LBB6_14638
; %bb.13177:                            ;   in Loop: Header=BB6_12675 Depth=3
	s_or_saveexec_b32 s31, s31
	v_mov_b32_e32 v9, s30
	s_xor_b32 exec_lo, exec_lo, s31
	s_cbranch_execnz .LBB6_14641
.LBB6_13178:                            ;   in Loop: Header=BB6_12675 Depth=3
	s_or_b32 exec_lo, exec_lo, s31
	s_and_saveexec_b32 s30, s13
	s_cbranch_execz .LBB6_13180
.LBB6_13179:                            ;   in Loop: Header=BB6_12675 Depth=3
	v_and_b32_e32 v9, 0xffff, v8
	v_lshlrev_b32_e32 v8, 24, v8
	s_delay_alu instid0(VALU_DEP_2) | instskip(NEXT) | instid1(VALU_DEP_2)
	v_and_b32_e32 v12, 3, v9
	v_and_b32_e32 v8, 0x80000000, v8
	s_delay_alu instid0(VALU_DEP_2) | instskip(NEXT) | instid1(VALU_DEP_1)
	v_clz_i32_u32_e32 v13, v12
	v_min_u32_e32 v13, 32, v13
	s_delay_alu instid0(VALU_DEP_1) | instskip(SKIP_1) | instid1(VALU_DEP_2)
	v_subrev_nc_u32_e32 v14, 29, v13
	v_sub_nc_u32_e32 v13, 30, v13
	v_lshlrev_b32_e32 v14, v14, v9
	v_bfe_u32 v9, v9, 2, 5
	s_delay_alu instid0(VALU_DEP_1) | instskip(NEXT) | instid1(VALU_DEP_3)
	v_cmp_eq_u32_e32 vcc_lo, 0, v9
	v_dual_cndmask_b32 v9, v9, v13 :: v_dual_and_b32 v14, 3, v14
	s_delay_alu instid0(VALU_DEP_1) | instskip(NEXT) | instid1(VALU_DEP_2)
	v_cndmask_b32_e32 v12, v12, v14, vcc_lo
	v_lshl_add_u32 v9, v9, 23, 0x37800000
	s_delay_alu instid0(VALU_DEP_2) | instskip(NEXT) | instid1(VALU_DEP_1)
	v_lshlrev_b32_e32 v12, 21, v12
	v_or3_b32 v9, v8, v9, v12
.LBB6_13180:                            ;   in Loop: Header=BB6_12675 Depth=3
	s_or_b32 exec_lo, exec_lo, s30
	s_delay_alu instid0(VALU_DEP_1) | instskip(SKIP_2) | instid1(VALU_DEP_2)
	v_mul_f32_e32 v8, s17, v9
	v_mov_b32_e32 v58, 0x80
	s_mov_b32 s30, exec_lo
	v_and_b32_e32 v9, 0x7f800000, v8
	s_delay_alu instid0(VALU_DEP_1)
	v_cmpx_ne_u32_e32 0x7f800000, v9
	s_cbranch_execz .LBB6_13188
; %bb.13181:                            ;   in Loop: Header=BB6_12675 Depth=3
	v_mov_b32_e32 v58, 0
	s_mov_b32 s31, exec_lo
	v_cmpx_ne_u32_e32 0, v8
	s_cbranch_execz .LBB6_13187
; %bb.13182:                            ;   in Loop: Header=BB6_12675 Depth=3
	v_bfe_u32 v9, v8, 23, 8
	s_delay_alu instid0(VALU_DEP_1) | instskip(SKIP_1) | instid1(VALU_DEP_2)
	v_sub_nc_u32_e32 v13, 0x70, v9
	v_cmp_gt_u32_e32 vcc_lo, 0x71, v9
	v_dual_cndmask_b32 v13, 0, v13 :: v_dual_and_b32 v12, 0x7fffff, v8
	s_delay_alu instid0(VALU_DEP_1) | instskip(SKIP_2) | instid1(VALU_DEP_4)
	v_or_b32_e32 v14, 0x800000, v12
	v_cmp_eq_u32_e32 vcc_lo, 0, v9
	v_add_nc_u32_e32 v9, 0xffffff91, v9
	v_cndmask_b32_e64 v13, v13, 0x6f, vcc_lo
	s_delay_alu instid0(VALU_DEP_4) | instskip(NEXT) | instid1(VALU_DEP_3)
	v_cndmask_b32_e32 v12, v14, v12, vcc_lo
	v_cndmask_b32_e64 v9, v9, 0xffffff92, vcc_lo
	s_delay_alu instid0(VALU_DEP_3) | instskip(NEXT) | instid1(VALU_DEP_3)
	v_lshl_add_u32 v14, 0x200000, v13, -1
	v_lshrrev_b32_e32 v15, v13, v12
	v_lshlrev_b32_e64 v17, v13, 0x100000
	s_delay_alu instid0(VALU_DEP_4) | instskip(NEXT) | instid1(VALU_DEP_4)
	v_add_nc_u32_e32 v13, v13, v9
	v_and_b32_e32 v12, v14, v12
	s_delay_alu instid0(VALU_DEP_4) | instskip(NEXT) | instid1(VALU_DEP_2)
	v_bfe_u32 v16, v15, 21, 1
	v_cmp_eq_u32_e64 s13, v12, v17
	s_delay_alu instid0(VALU_DEP_2) | instskip(NEXT) | instid1(VALU_DEP_1)
	v_add_nc_u32_e32 v14, -1, v16
	v_cndmask_b32_e64 v12, 0, v14, s13
	v_lshrrev_b32_e32 v14, 23, v15
	s_mov_b32 s13, exec_lo
	s_delay_alu instid0(VALU_DEP_2) | instskip(NEXT) | instid1(VALU_DEP_2)
	v_add_nc_u32_e32 v12, v12, v15
	v_xor_b32_e32 v14, 1, v14
	s_delay_alu instid0(VALU_DEP_2) | instskip(NEXT) | instid1(VALU_DEP_1)
	v_and_b32_e32 v9, 0x1fffff, v12
	v_add_nc_u32_e32 v12, v9, v15
                                        ; implicit-def: $vgpr9
	s_delay_alu instid0(VALU_DEP_3)
	v_cmpx_ne_u32_e64 v13, v14
	s_xor_b32 s13, exec_lo, s13
; %bb.13183:                            ;   in Loop: Header=BB6_12675 Depth=3
	s_delay_alu instid0(VALU_DEP_2) | instskip(SKIP_2) | instid1(VALU_DEP_2)
	v_cmp_lt_u32_e32 vcc_lo, 0xffffff, v12
	v_sub_nc_u32_e32 v9, v13, v14
	v_cndmask_b32_e64 v13, 0, 1, vcc_lo
	v_add_co_ci_u32_e32 v9, vcc_lo, 0, v9, vcc_lo
	s_delay_alu instid0(VALU_DEP_2)
	v_lshrrev_b32_e32 v12, v13, v12
; %bb.13184:                            ;   in Loop: Header=BB6_12675 Depth=3
	s_and_not1_saveexec_b32 s13, s13
; %bb.13185:                            ;   in Loop: Header=BB6_12675 Depth=3
	s_delay_alu instid0(VALU_DEP_1)
	v_bfe_u32 v9, v12, 23, 1
; %bb.13186:                            ;   in Loop: Header=BB6_12675 Depth=3
	s_or_b32 exec_lo, exec_lo, s13
	v_lshrrev_b32_e32 v12, 21, v12
	s_delay_alu instid0(VALU_DEP_2) | instskip(SKIP_2) | instid1(VALU_DEP_4)
	v_cmp_gt_i32_e32 vcc_lo, 32, v9
	v_lshrrev_b32_e32 v8, 24, v8
	v_min_i32_e32 v13, 31, v9
	v_cndmask_b32_e32 v12, 3, v12, vcc_lo
	s_delay_alu instid0(VALU_DEP_3) | instskip(NEXT) | instid1(VALU_DEP_3)
	v_and_b32_e32 v8, 0x80, v8
	v_lshlrev_b32_e32 v13, 2, v13
	s_delay_alu instid0(VALU_DEP_3) | instskip(SKIP_1) | instid1(VALU_DEP_2)
	v_and_b32_e32 v14, 3, v12
	v_or_b32_e32 v9, v9, v12
	v_or3_b32 v8, v13, v8, v14
	s_delay_alu instid0(VALU_DEP_2) | instskip(NEXT) | instid1(VALU_DEP_2)
	v_cmp_ne_u32_e32 vcc_lo, 0, v9
	v_cndmask_b32_e32 v58, 0, v8, vcc_lo
.LBB6_13187:                            ;   in Loop: Header=BB6_12675 Depth=3
	s_or_b32 exec_lo, exec_lo, s31
.LBB6_13188:                            ;   in Loop: Header=BB6_12675 Depth=3
	s_delay_alu instid0(SALU_CYCLE_1) | instskip(SKIP_3) | instid1(VALU_DEP_1)
	s_or_b32 exec_lo, exec_lo, s30
	v_lshrrev_b32_e32 v8, 16, v10
	s_mov_b32 s13, 0
	s_mov_b32 s31, exec_lo
                                        ; implicit-def: $sgpr30
	v_and_b32_e32 v12, 0xff, v8
	s_delay_alu instid0(VALU_DEP_1)
	v_cmpx_lt_i16_e32 0x7f, v12
	s_xor_b32 s31, exec_lo, s31
	s_cbranch_execnz .LBB6_14642
; %bb.13189:                            ;   in Loop: Header=BB6_12675 Depth=3
	s_or_saveexec_b32 s31, s31
	v_mov_b32_e32 v9, s30
	s_xor_b32 exec_lo, exec_lo, s31
	s_cbranch_execnz .LBB6_14645
.LBB6_13190:                            ;   in Loop: Header=BB6_12675 Depth=3
	s_or_b32 exec_lo, exec_lo, s31
	s_and_saveexec_b32 s30, s13
	s_cbranch_execz .LBB6_13192
.LBB6_13191:                            ;   in Loop: Header=BB6_12675 Depth=3
	v_bfe_u32 v9, v10, 16, 2
	v_lshlrev_b32_e32 v14, 8, v10
	s_delay_alu instid0(VALU_DEP_2) | instskip(NEXT) | instid1(VALU_DEP_1)
	v_clz_i32_u32_e32 v12, v9
	v_min_u32_e32 v12, 32, v12
	s_delay_alu instid0(VALU_DEP_1) | instskip(SKIP_1) | instid1(VALU_DEP_2)
	v_subrev_nc_u32_e32 v13, 29, v12
	v_sub_nc_u32_e32 v12, 30, v12
	v_lshlrev_b32_e32 v8, v13, v8
	v_bfe_u32 v13, v10, 18, 5
	s_delay_alu instid0(VALU_DEP_2) | instskip(NEXT) | instid1(VALU_DEP_2)
	v_and_b32_e32 v8, 3, v8
	v_cmp_eq_u32_e32 vcc_lo, 0, v13
	v_cndmask_b32_e32 v12, v13, v12, vcc_lo
	s_delay_alu instid0(VALU_DEP_3) | instskip(NEXT) | instid1(VALU_DEP_2)
	v_dual_cndmask_b32 v8, v9, v8 :: v_dual_and_b32 v9, 0x80000000, v14
	v_lshl_add_u32 v12, v12, 23, 0x37800000
	s_delay_alu instid0(VALU_DEP_2) | instskip(NEXT) | instid1(VALU_DEP_1)
	v_lshlrev_b32_e32 v8, 21, v8
	v_or3_b32 v9, v9, v12, v8
.LBB6_13192:                            ;   in Loop: Header=BB6_12675 Depth=3
	s_or_b32 exec_lo, exec_lo, s30
	s_delay_alu instid0(VALU_DEP_1) | instskip(SKIP_1) | instid1(VALU_DEP_1)
	v_dual_mul_f32 v8, s17, v9 :: v_dual_mov_b32 v57, 0x80
	s_mov_b32 s30, exec_lo
	v_and_b32_e32 v9, 0x7f800000, v8
	s_delay_alu instid0(VALU_DEP_1)
	v_cmpx_ne_u32_e32 0x7f800000, v9
	s_cbranch_execz .LBB6_13200
; %bb.13193:                            ;   in Loop: Header=BB6_12675 Depth=3
	v_mov_b32_e32 v57, 0
	s_mov_b32 s31, exec_lo
	v_cmpx_ne_u32_e32 0, v8
	s_cbranch_execz .LBB6_13199
; %bb.13194:                            ;   in Loop: Header=BB6_12675 Depth=3
	v_bfe_u32 v9, v8, 23, 8
	s_delay_alu instid0(VALU_DEP_1) | instskip(SKIP_1) | instid1(VALU_DEP_2)
	v_sub_nc_u32_e32 v13, 0x70, v9
	v_cmp_gt_u32_e32 vcc_lo, 0x71, v9
	v_dual_cndmask_b32 v13, 0, v13 :: v_dual_and_b32 v12, 0x7fffff, v8
	s_delay_alu instid0(VALU_DEP_1) | instskip(SKIP_2) | instid1(VALU_DEP_4)
	v_or_b32_e32 v14, 0x800000, v12
	v_cmp_eq_u32_e32 vcc_lo, 0, v9
	v_add_nc_u32_e32 v9, 0xffffff91, v9
	v_cndmask_b32_e64 v13, v13, 0x6f, vcc_lo
	s_delay_alu instid0(VALU_DEP_4) | instskip(NEXT) | instid1(VALU_DEP_3)
	v_cndmask_b32_e32 v12, v14, v12, vcc_lo
	v_cndmask_b32_e64 v9, v9, 0xffffff92, vcc_lo
	s_delay_alu instid0(VALU_DEP_3) | instskip(NEXT) | instid1(VALU_DEP_3)
	v_lshl_add_u32 v14, 0x200000, v13, -1
	v_lshrrev_b32_e32 v15, v13, v12
	v_lshlrev_b32_e64 v17, v13, 0x100000
	s_delay_alu instid0(VALU_DEP_4) | instskip(NEXT) | instid1(VALU_DEP_4)
	v_add_nc_u32_e32 v13, v13, v9
	v_and_b32_e32 v12, v14, v12
	s_delay_alu instid0(VALU_DEP_4) | instskip(NEXT) | instid1(VALU_DEP_2)
	v_bfe_u32 v16, v15, 21, 1
	v_cmp_eq_u32_e64 s13, v12, v17
	s_delay_alu instid0(VALU_DEP_2) | instskip(NEXT) | instid1(VALU_DEP_1)
	v_add_nc_u32_e32 v14, -1, v16
	v_cndmask_b32_e64 v12, 0, v14, s13
	v_lshrrev_b32_e32 v14, 23, v15
	s_mov_b32 s13, exec_lo
	s_delay_alu instid0(VALU_DEP_2) | instskip(NEXT) | instid1(VALU_DEP_2)
	v_add_nc_u32_e32 v12, v12, v15
	v_xor_b32_e32 v14, 1, v14
	s_delay_alu instid0(VALU_DEP_2) | instskip(NEXT) | instid1(VALU_DEP_1)
	v_and_b32_e32 v9, 0x1fffff, v12
	v_add_nc_u32_e32 v12, v9, v15
                                        ; implicit-def: $vgpr9
	s_delay_alu instid0(VALU_DEP_3)
	v_cmpx_ne_u32_e64 v13, v14
	s_xor_b32 s13, exec_lo, s13
; %bb.13195:                            ;   in Loop: Header=BB6_12675 Depth=3
	s_delay_alu instid0(VALU_DEP_2) | instskip(SKIP_2) | instid1(VALU_DEP_2)
	v_cmp_lt_u32_e32 vcc_lo, 0xffffff, v12
	v_sub_nc_u32_e32 v9, v13, v14
	v_cndmask_b32_e64 v13, 0, 1, vcc_lo
	v_add_co_ci_u32_e32 v9, vcc_lo, 0, v9, vcc_lo
	s_delay_alu instid0(VALU_DEP_2)
	v_lshrrev_b32_e32 v12, v13, v12
; %bb.13196:                            ;   in Loop: Header=BB6_12675 Depth=3
	s_and_not1_saveexec_b32 s13, s13
; %bb.13197:                            ;   in Loop: Header=BB6_12675 Depth=3
	s_delay_alu instid0(VALU_DEP_1)
	v_bfe_u32 v9, v12, 23, 1
; %bb.13198:                            ;   in Loop: Header=BB6_12675 Depth=3
	s_or_b32 exec_lo, exec_lo, s13
	v_lshrrev_b32_e32 v12, 21, v12
	s_delay_alu instid0(VALU_DEP_2) | instskip(SKIP_2) | instid1(VALU_DEP_4)
	v_cmp_gt_i32_e32 vcc_lo, 32, v9
	v_lshrrev_b32_e32 v8, 24, v8
	v_min_i32_e32 v13, 31, v9
	v_cndmask_b32_e32 v12, 3, v12, vcc_lo
	s_delay_alu instid0(VALU_DEP_3) | instskip(NEXT) | instid1(VALU_DEP_3)
	v_and_b32_e32 v8, 0x80, v8
	v_lshlrev_b32_e32 v13, 2, v13
	s_delay_alu instid0(VALU_DEP_3) | instskip(SKIP_1) | instid1(VALU_DEP_2)
	v_and_b32_e32 v14, 3, v12
	v_or_b32_e32 v9, v9, v12
	v_or3_b32 v8, v13, v8, v14
	s_delay_alu instid0(VALU_DEP_2) | instskip(NEXT) | instid1(VALU_DEP_2)
	v_cmp_ne_u32_e32 vcc_lo, 0, v9
	v_cndmask_b32_e32 v57, 0, v8, vcc_lo
.LBB6_13199:                            ;   in Loop: Header=BB6_12675 Depth=3
	s_or_b32 exec_lo, exec_lo, s31
.LBB6_13200:                            ;   in Loop: Header=BB6_12675 Depth=3
	s_delay_alu instid0(SALU_CYCLE_1) | instskip(SKIP_3) | instid1(VALU_DEP_1)
	s_or_b32 exec_lo, exec_lo, s30
	v_lshrrev_b32_e32 v8, 24, v10
	s_mov_b32 s13, 0
	s_mov_b32 s31, exec_lo
                                        ; implicit-def: $sgpr30
	v_cmpx_lt_i16_e32 0x7f, v8
	s_xor_b32 s31, exec_lo, s31
	s_cbranch_execnz .LBB6_14646
; %bb.13201:                            ;   in Loop: Header=BB6_12675 Depth=3
	s_or_saveexec_b32 s31, s31
	v_mov_b32_e32 v9, s30
	s_xor_b32 exec_lo, exec_lo, s31
	s_cbranch_execnz .LBB6_14649
.LBB6_13202:                            ;   in Loop: Header=BB6_12675 Depth=3
	s_or_b32 exec_lo, exec_lo, s31
	s_and_saveexec_b32 s30, s13
	s_cbranch_execz .LBB6_13204
.LBB6_13203:                            ;   in Loop: Header=BB6_12675 Depth=3
	v_bfe_u32 v9, v10, 24, 2
	s_delay_alu instid0(VALU_DEP_1) | instskip(NEXT) | instid1(VALU_DEP_1)
	v_clz_i32_u32_e32 v12, v9
	v_min_u32_e32 v12, 32, v12
	s_delay_alu instid0(VALU_DEP_1) | instskip(SKIP_1) | instid1(VALU_DEP_2)
	v_subrev_nc_u32_e32 v13, 29, v12
	v_sub_nc_u32_e32 v12, 30, v12
	v_lshlrev_b32_e32 v8, v13, v8
	v_bfe_u32 v13, v10, 26, 5
	s_delay_alu instid0(VALU_DEP_2) | instskip(NEXT) | instid1(VALU_DEP_2)
	v_and_b32_e32 v8, 3, v8
	v_cmp_eq_u32_e32 vcc_lo, 0, v13
	v_cndmask_b32_e32 v12, v13, v12, vcc_lo
	s_delay_alu instid0(VALU_DEP_3) | instskip(NEXT) | instid1(VALU_DEP_2)
	v_dual_cndmask_b32 v8, v9, v8 :: v_dual_and_b32 v9, 0x80000000, v10
	v_lshl_add_u32 v10, v12, 23, 0x37800000
	s_delay_alu instid0(VALU_DEP_2) | instskip(NEXT) | instid1(VALU_DEP_1)
	v_lshlrev_b32_e32 v8, 21, v8
	v_or3_b32 v9, v9, v10, v8
.LBB6_13204:                            ;   in Loop: Header=BB6_12675 Depth=3
	s_or_b32 exec_lo, exec_lo, s30
	s_delay_alu instid0(VALU_DEP_1) | instskip(SKIP_2) | instid1(VALU_DEP_2)
	v_mul_f32_e32 v8, s17, v9
	v_mov_b32_e32 v54, 0x80
	s_mov_b32 s30, exec_lo
	v_and_b32_e32 v9, 0x7f800000, v8
	s_delay_alu instid0(VALU_DEP_1)
	v_cmpx_ne_u32_e32 0x7f800000, v9
	s_cbranch_execz .LBB6_13212
; %bb.13205:                            ;   in Loop: Header=BB6_12675 Depth=3
	v_mov_b32_e32 v54, 0
	s_mov_b32 s31, exec_lo
	v_cmpx_ne_u32_e32 0, v8
	s_cbranch_execz .LBB6_13211
; %bb.13206:                            ;   in Loop: Header=BB6_12675 Depth=3
	v_bfe_u32 v9, v8, 23, 8
	v_and_b32_e32 v10, 0x7fffff, v8
	s_delay_alu instid0(VALU_DEP_2) | instskip(SKIP_1) | instid1(VALU_DEP_3)
	v_sub_nc_u32_e32 v12, 0x70, v9
	v_cmp_gt_u32_e32 vcc_lo, 0x71, v9
	v_or_b32_e32 v13, 0x800000, v10
	s_delay_alu instid0(VALU_DEP_3) | instskip(SKIP_2) | instid1(VALU_DEP_3)
	v_cndmask_b32_e32 v12, 0, v12, vcc_lo
	v_cmp_eq_u32_e32 vcc_lo, 0, v9
	v_add_nc_u32_e32 v9, 0xffffff91, v9
	v_cndmask_b32_e64 v12, v12, 0x6f, vcc_lo
	v_cndmask_b32_e32 v10, v13, v10, vcc_lo
	s_delay_alu instid0(VALU_DEP_3) | instskip(NEXT) | instid1(VALU_DEP_3)
	v_cndmask_b32_e64 v9, v9, 0xffffff92, vcc_lo
	v_lshl_add_u32 v13, 0x200000, v12, -1
	s_delay_alu instid0(VALU_DEP_3) | instskip(SKIP_1) | instid1(VALU_DEP_4)
	v_lshrrev_b32_e32 v14, v12, v10
	v_lshlrev_b32_e64 v16, v12, 0x100000
	v_add_nc_u32_e32 v12, v12, v9
	s_delay_alu instid0(VALU_DEP_4) | instskip(NEXT) | instid1(VALU_DEP_4)
	v_and_b32_e32 v10, v13, v10
	v_bfe_u32 v15, v14, 21, 1
	s_delay_alu instid0(VALU_DEP_2) | instskip(NEXT) | instid1(VALU_DEP_2)
	v_cmp_eq_u32_e64 s13, v10, v16
	v_add_nc_u32_e32 v13, -1, v15
	s_delay_alu instid0(VALU_DEP_1) | instskip(SKIP_2) | instid1(VALU_DEP_2)
	v_cndmask_b32_e64 v10, 0, v13, s13
	v_lshrrev_b32_e32 v13, 23, v14
	s_mov_b32 s13, exec_lo
	v_add_nc_u32_e32 v10, v10, v14
	s_delay_alu instid0(VALU_DEP_2) | instskip(NEXT) | instid1(VALU_DEP_2)
	v_xor_b32_e32 v13, 1, v13
	v_and_b32_e32 v9, 0x1fffff, v10
	s_delay_alu instid0(VALU_DEP_1) | instskip(NEXT) | instid1(VALU_DEP_3)
	v_add_nc_u32_e32 v10, v9, v14
                                        ; implicit-def: $vgpr9
	v_cmpx_ne_u32_e64 v12, v13
	s_xor_b32 s13, exec_lo, s13
; %bb.13207:                            ;   in Loop: Header=BB6_12675 Depth=3
	s_delay_alu instid0(VALU_DEP_2) | instskip(SKIP_2) | instid1(VALU_DEP_2)
	v_cmp_lt_u32_e32 vcc_lo, 0xffffff, v10
	v_sub_nc_u32_e32 v9, v12, v13
	v_cndmask_b32_e64 v12, 0, 1, vcc_lo
	v_add_co_ci_u32_e32 v9, vcc_lo, 0, v9, vcc_lo
	s_delay_alu instid0(VALU_DEP_2)
	v_lshrrev_b32_e32 v10, v12, v10
; %bb.13208:                            ;   in Loop: Header=BB6_12675 Depth=3
	s_and_not1_saveexec_b32 s13, s13
; %bb.13209:                            ;   in Loop: Header=BB6_12675 Depth=3
	s_delay_alu instid0(VALU_DEP_1)
	v_bfe_u32 v9, v10, 23, 1
; %bb.13210:                            ;   in Loop: Header=BB6_12675 Depth=3
	s_or_b32 exec_lo, exec_lo, s13
	v_lshrrev_b32_e32 v10, 21, v10
	s_delay_alu instid0(VALU_DEP_2) | instskip(SKIP_2) | instid1(VALU_DEP_4)
	v_cmp_gt_i32_e32 vcc_lo, 32, v9
	v_lshrrev_b32_e32 v8, 24, v8
	v_min_i32_e32 v12, 31, v9
	v_cndmask_b32_e32 v10, 3, v10, vcc_lo
	s_delay_alu instid0(VALU_DEP_3) | instskip(NEXT) | instid1(VALU_DEP_3)
	v_and_b32_e32 v8, 0x80, v8
	v_lshlrev_b32_e32 v12, 2, v12
	s_delay_alu instid0(VALU_DEP_3) | instskip(NEXT) | instid1(VALU_DEP_1)
	v_or_b32_e32 v9, v9, v10
	v_cmp_ne_u32_e32 vcc_lo, 0, v9
	v_and_b32_e32 v13, 3, v10
	s_delay_alu instid0(VALU_DEP_1) | instskip(NEXT) | instid1(VALU_DEP_1)
	v_or3_b32 v8, v12, v8, v13
	v_cndmask_b32_e32 v54, 0, v8, vcc_lo
.LBB6_13211:                            ;   in Loop: Header=BB6_12675 Depth=3
	s_or_b32 exec_lo, exec_lo, s31
.LBB6_13212:                            ;   in Loop: Header=BB6_12675 Depth=3
	s_delay_alu instid0(SALU_CYCLE_1) | instskip(SKIP_3) | instid1(VALU_DEP_1)
	s_or_b32 exec_lo, exec_lo, s30
	v_and_b32_e32 v9, 0xff, v11
	s_mov_b32 s13, 0
	s_mov_b32 s31, exec_lo
                                        ; implicit-def: $sgpr30
	v_cmpx_lt_i16_e32 0x7f, v9
	s_xor_b32 s31, exec_lo, s31
	s_cbranch_execnz .LBB6_14650
; %bb.13213:                            ;   in Loop: Header=BB6_12675 Depth=3
	s_or_saveexec_b32 s31, s31
	v_mov_b32_e32 v8, s30
	s_xor_b32 exec_lo, exec_lo, s31
	s_cbranch_execnz .LBB6_14653
.LBB6_13214:                            ;   in Loop: Header=BB6_12675 Depth=3
	s_or_b32 exec_lo, exec_lo, s31
	s_and_saveexec_b32 s30, s13
	s_cbranch_execz .LBB6_13216
.LBB6_13215:                            ;   in Loop: Header=BB6_12675 Depth=3
	v_bfe_u32 v12, v11, 2, 5
	s_delay_alu instid0(VALU_DEP_1) | instskip(SKIP_1) | instid1(VALU_DEP_1)
	v_cmp_eq_u32_e32 vcc_lo, 0, v12
	v_and_b32_e32 v8, 3, v11
	v_clz_i32_u32_e32 v9, v8
	s_delay_alu instid0(VALU_DEP_1) | instskip(NEXT) | instid1(VALU_DEP_1)
	v_min_u32_e32 v9, 32, v9
	v_subrev_nc_u32_e32 v10, 29, v9
	v_sub_nc_u32_e32 v9, 30, v9
	s_delay_alu instid0(VALU_DEP_1) | instskip(NEXT) | instid1(VALU_DEP_1)
	v_dual_cndmask_b32 v9, v12, v9 :: v_dual_lshlrev_b32 v10, v10, v11
	v_and_b32_e32 v10, 3, v10
	v_lshlrev_b32_e32 v13, 24, v11
	s_delay_alu instid0(VALU_DEP_3) | instskip(NEXT) | instid1(VALU_DEP_3)
	v_lshl_add_u32 v9, v9, 23, 0x37800000
	v_cndmask_b32_e32 v8, v8, v10, vcc_lo
	s_delay_alu instid0(VALU_DEP_3) | instskip(NEXT) | instid1(VALU_DEP_2)
	v_and_b32_e32 v10, 0x80000000, v13
	v_lshlrev_b32_e32 v8, 21, v8
	s_delay_alu instid0(VALU_DEP_1)
	v_or3_b32 v8, v10, v9, v8
.LBB6_13216:                            ;   in Loop: Header=BB6_12675 Depth=3
	s_or_b32 exec_lo, exec_lo, s30
	s_delay_alu instid0(VALU_DEP_1) | instskip(SKIP_1) | instid1(VALU_DEP_1)
	v_dual_mul_f32 v8, s17, v8 :: v_dual_mov_b32 v45, 0x80
	s_mov_b32 s30, exec_lo
	v_and_b32_e32 v9, 0x7f800000, v8
	s_delay_alu instid0(VALU_DEP_1)
	v_cmpx_ne_u32_e32 0x7f800000, v9
	s_cbranch_execz .LBB6_13224
; %bb.13217:                            ;   in Loop: Header=BB6_12675 Depth=3
	v_mov_b32_e32 v45, 0
	s_mov_b32 s31, exec_lo
	v_cmpx_ne_u32_e32 0, v8
	s_cbranch_execz .LBB6_13223
; %bb.13218:                            ;   in Loop: Header=BB6_12675 Depth=3
	v_bfe_u32 v9, v8, 23, 8
	v_and_b32_e32 v10, 0x7fffff, v8
	s_delay_alu instid0(VALU_DEP_2) | instskip(SKIP_1) | instid1(VALU_DEP_3)
	v_sub_nc_u32_e32 v12, 0x70, v9
	v_cmp_gt_u32_e32 vcc_lo, 0x71, v9
	v_or_b32_e32 v13, 0x800000, v10
	s_delay_alu instid0(VALU_DEP_3) | instskip(SKIP_2) | instid1(VALU_DEP_3)
	v_cndmask_b32_e32 v12, 0, v12, vcc_lo
	v_cmp_eq_u32_e32 vcc_lo, 0, v9
	v_add_nc_u32_e32 v9, 0xffffff91, v9
	v_cndmask_b32_e64 v12, v12, 0x6f, vcc_lo
	v_cndmask_b32_e32 v10, v13, v10, vcc_lo
	s_delay_alu instid0(VALU_DEP_3) | instskip(NEXT) | instid1(VALU_DEP_3)
	v_cndmask_b32_e64 v9, v9, 0xffffff92, vcc_lo
	v_lshl_add_u32 v13, 0x200000, v12, -1
	s_delay_alu instid0(VALU_DEP_3) | instskip(SKIP_1) | instid1(VALU_DEP_4)
	v_lshrrev_b32_e32 v14, v12, v10
	v_lshlrev_b32_e64 v16, v12, 0x100000
	v_add_nc_u32_e32 v12, v12, v9
	s_delay_alu instid0(VALU_DEP_4) | instskip(NEXT) | instid1(VALU_DEP_4)
	v_and_b32_e32 v10, v13, v10
	v_bfe_u32 v15, v14, 21, 1
	s_delay_alu instid0(VALU_DEP_2) | instskip(NEXT) | instid1(VALU_DEP_2)
	v_cmp_eq_u32_e64 s13, v10, v16
	v_add_nc_u32_e32 v13, -1, v15
	s_delay_alu instid0(VALU_DEP_1) | instskip(SKIP_2) | instid1(VALU_DEP_2)
	v_cndmask_b32_e64 v10, 0, v13, s13
	v_lshrrev_b32_e32 v13, 23, v14
	s_mov_b32 s13, exec_lo
	v_add_nc_u32_e32 v10, v10, v14
	s_delay_alu instid0(VALU_DEP_2) | instskip(NEXT) | instid1(VALU_DEP_2)
	v_xor_b32_e32 v13, 1, v13
	v_and_b32_e32 v9, 0x1fffff, v10
	s_delay_alu instid0(VALU_DEP_1) | instskip(NEXT) | instid1(VALU_DEP_3)
	v_add_nc_u32_e32 v10, v9, v14
                                        ; implicit-def: $vgpr9
	v_cmpx_ne_u32_e64 v12, v13
	s_xor_b32 s13, exec_lo, s13
; %bb.13219:                            ;   in Loop: Header=BB6_12675 Depth=3
	s_delay_alu instid0(VALU_DEP_2) | instskip(SKIP_2) | instid1(VALU_DEP_2)
	v_cmp_lt_u32_e32 vcc_lo, 0xffffff, v10
	v_sub_nc_u32_e32 v9, v12, v13
	v_cndmask_b32_e64 v12, 0, 1, vcc_lo
	v_add_co_ci_u32_e32 v9, vcc_lo, 0, v9, vcc_lo
	s_delay_alu instid0(VALU_DEP_2)
	v_lshrrev_b32_e32 v10, v12, v10
; %bb.13220:                            ;   in Loop: Header=BB6_12675 Depth=3
	s_and_not1_saveexec_b32 s13, s13
; %bb.13221:                            ;   in Loop: Header=BB6_12675 Depth=3
	s_delay_alu instid0(VALU_DEP_1)
	v_bfe_u32 v9, v10, 23, 1
; %bb.13222:                            ;   in Loop: Header=BB6_12675 Depth=3
	s_or_b32 exec_lo, exec_lo, s13
	v_lshrrev_b32_e32 v10, 21, v10
	s_delay_alu instid0(VALU_DEP_2) | instskip(SKIP_2) | instid1(VALU_DEP_3)
	v_min_i32_e32 v12, 31, v9
	v_cmp_gt_i32_e32 vcc_lo, 32, v9
	v_lshrrev_b32_e32 v8, 24, v8
	v_lshlrev_b32_e32 v12, 2, v12
	v_cndmask_b32_e32 v10, 3, v10, vcc_lo
	s_delay_alu instid0(VALU_DEP_3) | instskip(NEXT) | instid1(VALU_DEP_3)
	v_and_b32_e32 v8, 0x80, v8
	v_and_b32_e32 v12, 0xfc, v12
	s_delay_alu instid0(VALU_DEP_3) | instskip(SKIP_1) | instid1(VALU_DEP_2)
	v_and_b32_e32 v13, 3, v10
	v_or_b32_e32 v9, v9, v10
	v_or3_b32 v8, v12, v8, v13
	s_delay_alu instid0(VALU_DEP_2) | instskip(NEXT) | instid1(VALU_DEP_2)
	v_cmp_ne_u32_e32 vcc_lo, 0, v9
	v_cndmask_b32_e32 v45, 0, v8, vcc_lo
.LBB6_13223:                            ;   in Loop: Header=BB6_12675 Depth=3
	s_or_b32 exec_lo, exec_lo, s31
.LBB6_13224:                            ;   in Loop: Header=BB6_12675 Depth=3
	s_delay_alu instid0(SALU_CYCLE_1) | instskip(SKIP_3) | instid1(VALU_DEP_1)
	s_or_b32 exec_lo, exec_lo, s30
	v_lshrrev_b16 v8, 8, v11
	s_mov_b32 s13, 0
	s_mov_b32 s31, exec_lo
                                        ; implicit-def: $sgpr30
	v_cmpx_lt_i16_e32 0x7f, v8
	s_xor_b32 s31, exec_lo, s31
	s_cbranch_execnz .LBB6_14654
; %bb.13225:                            ;   in Loop: Header=BB6_12675 Depth=3
	s_or_saveexec_b32 s31, s31
	v_mov_b32_e32 v9, s30
	s_xor_b32 exec_lo, exec_lo, s31
	s_cbranch_execnz .LBB6_14657
.LBB6_13226:                            ;   in Loop: Header=BB6_12675 Depth=3
	s_or_b32 exec_lo, exec_lo, s31
	s_and_saveexec_b32 s30, s13
	s_cbranch_execz .LBB6_13228
.LBB6_13227:                            ;   in Loop: Header=BB6_12675 Depth=3
	v_and_b32_e32 v9, 0xffff, v8
	v_lshlrev_b32_e32 v8, 24, v8
	s_delay_alu instid0(VALU_DEP_2) | instskip(NEXT) | instid1(VALU_DEP_2)
	v_and_b32_e32 v10, 3, v9
	v_and_b32_e32 v8, 0x80000000, v8
	s_delay_alu instid0(VALU_DEP_2) | instskip(NEXT) | instid1(VALU_DEP_1)
	v_clz_i32_u32_e32 v12, v10
	v_min_u32_e32 v12, 32, v12
	s_delay_alu instid0(VALU_DEP_1) | instskip(SKIP_1) | instid1(VALU_DEP_2)
	v_subrev_nc_u32_e32 v13, 29, v12
	v_sub_nc_u32_e32 v12, 30, v12
	v_lshlrev_b32_e32 v13, v13, v9
	v_bfe_u32 v9, v9, 2, 5
	s_delay_alu instid0(VALU_DEP_2) | instskip(NEXT) | instid1(VALU_DEP_2)
	v_and_b32_e32 v13, 3, v13
	v_cmp_eq_u32_e32 vcc_lo, 0, v9
	s_delay_alu instid0(VALU_DEP_2) | instskip(NEXT) | instid1(VALU_DEP_1)
	v_dual_cndmask_b32 v9, v9, v12 :: v_dual_cndmask_b32 v10, v10, v13
	v_lshl_add_u32 v9, v9, 23, 0x37800000
	s_delay_alu instid0(VALU_DEP_2) | instskip(NEXT) | instid1(VALU_DEP_1)
	v_lshlrev_b32_e32 v10, 21, v10
	v_or3_b32 v9, v8, v9, v10
.LBB6_13228:                            ;   in Loop: Header=BB6_12675 Depth=3
	s_or_b32 exec_lo, exec_lo, s30
	s_delay_alu instid0(VALU_DEP_1) | instskip(SKIP_1) | instid1(VALU_DEP_1)
	v_dual_mul_f32 v8, s17, v9 :: v_dual_mov_b32 v59, 0x8000
	s_mov_b32 s30, exec_lo
	v_and_b32_e32 v9, 0x7f800000, v8
	s_delay_alu instid0(VALU_DEP_1)
	v_cmpx_ne_u32_e32 0x7f800000, v9
	s_cbranch_execz .LBB6_13236
; %bb.13229:                            ;   in Loop: Header=BB6_12675 Depth=3
	v_mov_b32_e32 v59, 0
	s_mov_b32 s31, exec_lo
	v_cmpx_ne_u32_e32 0, v8
	s_cbranch_execz .LBB6_13235
; %bb.13230:                            ;   in Loop: Header=BB6_12675 Depth=3
	v_bfe_u32 v9, v8, 23, 8
	v_and_b32_e32 v10, 0x7fffff, v8
	s_delay_alu instid0(VALU_DEP_2) | instskip(SKIP_1) | instid1(VALU_DEP_3)
	v_sub_nc_u32_e32 v12, 0x70, v9
	v_cmp_gt_u32_e32 vcc_lo, 0x71, v9
	v_or_b32_e32 v13, 0x800000, v10
	s_delay_alu instid0(VALU_DEP_3) | instskip(SKIP_2) | instid1(VALU_DEP_3)
	v_cndmask_b32_e32 v12, 0, v12, vcc_lo
	v_cmp_eq_u32_e32 vcc_lo, 0, v9
	v_add_nc_u32_e32 v9, 0xffffff91, v9
	v_cndmask_b32_e64 v12, v12, 0x6f, vcc_lo
	v_cndmask_b32_e32 v10, v13, v10, vcc_lo
	s_delay_alu instid0(VALU_DEP_3) | instskip(NEXT) | instid1(VALU_DEP_3)
	v_cndmask_b32_e64 v9, v9, 0xffffff92, vcc_lo
	v_lshl_add_u32 v13, 0x200000, v12, -1
	s_delay_alu instid0(VALU_DEP_3) | instskip(SKIP_1) | instid1(VALU_DEP_4)
	v_lshrrev_b32_e32 v14, v12, v10
	v_lshlrev_b32_e64 v16, v12, 0x100000
	v_add_nc_u32_e32 v12, v12, v9
	s_delay_alu instid0(VALU_DEP_4) | instskip(NEXT) | instid1(VALU_DEP_4)
	v_and_b32_e32 v10, v13, v10
	v_bfe_u32 v15, v14, 21, 1
	s_delay_alu instid0(VALU_DEP_2) | instskip(NEXT) | instid1(VALU_DEP_2)
	v_cmp_eq_u32_e64 s13, v10, v16
	v_add_nc_u32_e32 v13, -1, v15
	s_delay_alu instid0(VALU_DEP_1) | instskip(SKIP_2) | instid1(VALU_DEP_2)
	v_cndmask_b32_e64 v10, 0, v13, s13
	v_lshrrev_b32_e32 v13, 23, v14
	s_mov_b32 s13, exec_lo
	v_add_nc_u32_e32 v10, v10, v14
	s_delay_alu instid0(VALU_DEP_2) | instskip(NEXT) | instid1(VALU_DEP_2)
	v_xor_b32_e32 v13, 1, v13
	v_and_b32_e32 v9, 0x1fffff, v10
	s_delay_alu instid0(VALU_DEP_1) | instskip(NEXT) | instid1(VALU_DEP_3)
	v_add_nc_u32_e32 v10, v9, v14
                                        ; implicit-def: $vgpr9
	v_cmpx_ne_u32_e64 v12, v13
	s_xor_b32 s13, exec_lo, s13
; %bb.13231:                            ;   in Loop: Header=BB6_12675 Depth=3
	s_delay_alu instid0(VALU_DEP_2) | instskip(SKIP_2) | instid1(VALU_DEP_2)
	v_cmp_lt_u32_e32 vcc_lo, 0xffffff, v10
	v_sub_nc_u32_e32 v9, v12, v13
	v_cndmask_b32_e64 v12, 0, 1, vcc_lo
	v_add_co_ci_u32_e32 v9, vcc_lo, 0, v9, vcc_lo
	s_delay_alu instid0(VALU_DEP_2)
	v_lshrrev_b32_e32 v10, v12, v10
; %bb.13232:                            ;   in Loop: Header=BB6_12675 Depth=3
	s_and_not1_saveexec_b32 s13, s13
; %bb.13233:                            ;   in Loop: Header=BB6_12675 Depth=3
	s_delay_alu instid0(VALU_DEP_1)
	v_bfe_u32 v9, v10, 23, 1
; %bb.13234:                            ;   in Loop: Header=BB6_12675 Depth=3
	s_or_b32 exec_lo, exec_lo, s13
	v_lshrrev_b32_e32 v10, 21, v10
	s_delay_alu instid0(VALU_DEP_2) | instskip(SKIP_2) | instid1(VALU_DEP_3)
	v_min_i32_e32 v12, 31, v9
	v_cmp_gt_i32_e32 vcc_lo, 32, v9
	v_lshrrev_b32_e32 v8, 24, v8
	v_lshlrev_b32_e32 v12, 2, v12
	v_cndmask_b32_e32 v10, 3, v10, vcc_lo
	s_delay_alu instid0(VALU_DEP_3) | instskip(NEXT) | instid1(VALU_DEP_3)
	v_and_b32_e32 v8, 0x80, v8
	v_and_b32_e32 v12, 0xfc, v12
	s_delay_alu instid0(VALU_DEP_3) | instskip(SKIP_1) | instid1(VALU_DEP_2)
	v_and_b32_e32 v13, 3, v10
	v_or_b32_e32 v9, v9, v10
	v_or3_b32 v8, v8, v12, v13
	s_delay_alu instid0(VALU_DEP_2) | instskip(NEXT) | instid1(VALU_DEP_2)
	v_cmp_ne_u32_e32 vcc_lo, 0, v9
	v_lshlrev_b32_e32 v8, 8, v8
	s_delay_alu instid0(VALU_DEP_1)
	v_cndmask_b32_e32 v59, 0, v8, vcc_lo
.LBB6_13235:                            ;   in Loop: Header=BB6_12675 Depth=3
	s_or_b32 exec_lo, exec_lo, s31
.LBB6_13236:                            ;   in Loop: Header=BB6_12675 Depth=3
	s_delay_alu instid0(SALU_CYCLE_1) | instskip(SKIP_3) | instid1(VALU_DEP_1)
	s_or_b32 exec_lo, exec_lo, s30
	v_lshrrev_b32_e32 v8, 16, v11
	s_mov_b32 s13, 0
	s_mov_b32 s31, exec_lo
                                        ; implicit-def: $sgpr30
	v_and_b32_e32 v10, 0xff, v8
	s_delay_alu instid0(VALU_DEP_1)
	v_cmpx_lt_i16_e32 0x7f, v10
	s_xor_b32 s31, exec_lo, s31
	s_cbranch_execnz .LBB6_14658
; %bb.13237:                            ;   in Loop: Header=BB6_12675 Depth=3
	s_or_saveexec_b32 s31, s31
	v_mov_b32_e32 v9, s30
	s_xor_b32 exec_lo, exec_lo, s31
	s_cbranch_execnz .LBB6_14661
.LBB6_13238:                            ;   in Loop: Header=BB6_12675 Depth=3
	s_or_b32 exec_lo, exec_lo, s31
	s_and_saveexec_b32 s30, s13
	s_cbranch_execz .LBB6_13240
.LBB6_13239:                            ;   in Loop: Header=BB6_12675 Depth=3
	v_bfe_u32 v9, v11, 16, 2
	s_delay_alu instid0(VALU_DEP_1) | instskip(NEXT) | instid1(VALU_DEP_1)
	v_clz_i32_u32_e32 v10, v9
	v_min_u32_e32 v10, 32, v10
	s_delay_alu instid0(VALU_DEP_1) | instskip(SKIP_1) | instid1(VALU_DEP_2)
	v_subrev_nc_u32_e32 v12, 29, v10
	v_sub_nc_u32_e32 v10, 30, v10
	v_lshlrev_b32_e32 v8, v12, v8
	v_bfe_u32 v12, v11, 18, 5
	s_delay_alu instid0(VALU_DEP_2) | instskip(NEXT) | instid1(VALU_DEP_2)
	v_and_b32_e32 v8, 3, v8
	v_cmp_eq_u32_e32 vcc_lo, 0, v12
	v_dual_cndmask_b32 v10, v12, v10 :: v_dual_lshlrev_b32 v13, 8, v11
	s_delay_alu instid0(VALU_DEP_1) | instskip(NEXT) | instid1(VALU_DEP_2)
	v_dual_cndmask_b32 v8, v9, v8 :: v_dual_and_b32 v9, 0x80000000, v13
	v_lshl_add_u32 v10, v10, 23, 0x37800000
	s_delay_alu instid0(VALU_DEP_2) | instskip(NEXT) | instid1(VALU_DEP_1)
	v_lshlrev_b32_e32 v8, 21, v8
	v_or3_b32 v9, v9, v10, v8
.LBB6_13240:                            ;   in Loop: Header=BB6_12675 Depth=3
	s_or_b32 exec_lo, exec_lo, s30
	s_delay_alu instid0(VALU_DEP_1) | instskip(SKIP_2) | instid1(VALU_DEP_2)
	v_mul_f32_e32 v8, s17, v9
	v_mov_b32_e32 v44, 0x80
	s_mov_b32 s30, exec_lo
	v_and_b32_e32 v9, 0x7f800000, v8
	s_delay_alu instid0(VALU_DEP_1)
	v_cmpx_ne_u32_e32 0x7f800000, v9
	s_cbranch_execz .LBB6_13248
; %bb.13241:                            ;   in Loop: Header=BB6_12675 Depth=3
	v_mov_b32_e32 v44, 0
	s_mov_b32 s31, exec_lo
	v_cmpx_ne_u32_e32 0, v8
	s_cbranch_execz .LBB6_13247
; %bb.13242:                            ;   in Loop: Header=BB6_12675 Depth=3
	v_bfe_u32 v9, v8, 23, 8
	v_and_b32_e32 v10, 0x7fffff, v8
	s_delay_alu instid0(VALU_DEP_2) | instskip(SKIP_1) | instid1(VALU_DEP_3)
	v_sub_nc_u32_e32 v12, 0x70, v9
	v_cmp_gt_u32_e32 vcc_lo, 0x71, v9
	v_or_b32_e32 v13, 0x800000, v10
	s_delay_alu instid0(VALU_DEP_3) | instskip(SKIP_2) | instid1(VALU_DEP_3)
	v_cndmask_b32_e32 v12, 0, v12, vcc_lo
	v_cmp_eq_u32_e32 vcc_lo, 0, v9
	v_add_nc_u32_e32 v9, 0xffffff91, v9
	v_cndmask_b32_e64 v12, v12, 0x6f, vcc_lo
	v_cndmask_b32_e32 v10, v13, v10, vcc_lo
	s_delay_alu instid0(VALU_DEP_3) | instskip(NEXT) | instid1(VALU_DEP_3)
	v_cndmask_b32_e64 v9, v9, 0xffffff92, vcc_lo
	v_lshl_add_u32 v13, 0x200000, v12, -1
	s_delay_alu instid0(VALU_DEP_3) | instskip(SKIP_1) | instid1(VALU_DEP_4)
	v_lshrrev_b32_e32 v14, v12, v10
	v_lshlrev_b32_e64 v16, v12, 0x100000
	v_add_nc_u32_e32 v12, v12, v9
	s_delay_alu instid0(VALU_DEP_4) | instskip(NEXT) | instid1(VALU_DEP_4)
	v_and_b32_e32 v10, v13, v10
	v_bfe_u32 v15, v14, 21, 1
	s_delay_alu instid0(VALU_DEP_2) | instskip(NEXT) | instid1(VALU_DEP_2)
	v_cmp_eq_u32_e64 s13, v10, v16
	v_add_nc_u32_e32 v13, -1, v15
	s_delay_alu instid0(VALU_DEP_1) | instskip(SKIP_2) | instid1(VALU_DEP_2)
	v_cndmask_b32_e64 v10, 0, v13, s13
	v_lshrrev_b32_e32 v13, 23, v14
	s_mov_b32 s13, exec_lo
	v_add_nc_u32_e32 v10, v10, v14
	s_delay_alu instid0(VALU_DEP_2) | instskip(NEXT) | instid1(VALU_DEP_2)
	v_xor_b32_e32 v13, 1, v13
	v_and_b32_e32 v9, 0x1fffff, v10
	s_delay_alu instid0(VALU_DEP_1) | instskip(NEXT) | instid1(VALU_DEP_3)
	v_add_nc_u32_e32 v10, v9, v14
                                        ; implicit-def: $vgpr9
	v_cmpx_ne_u32_e64 v12, v13
	s_xor_b32 s13, exec_lo, s13
; %bb.13243:                            ;   in Loop: Header=BB6_12675 Depth=3
	s_delay_alu instid0(VALU_DEP_2) | instskip(SKIP_2) | instid1(VALU_DEP_2)
	v_cmp_lt_u32_e32 vcc_lo, 0xffffff, v10
	v_sub_nc_u32_e32 v9, v12, v13
	v_cndmask_b32_e64 v12, 0, 1, vcc_lo
	v_add_co_ci_u32_e32 v9, vcc_lo, 0, v9, vcc_lo
	s_delay_alu instid0(VALU_DEP_2)
	v_lshrrev_b32_e32 v10, v12, v10
; %bb.13244:                            ;   in Loop: Header=BB6_12675 Depth=3
	s_and_not1_saveexec_b32 s13, s13
; %bb.13245:                            ;   in Loop: Header=BB6_12675 Depth=3
	s_delay_alu instid0(VALU_DEP_1)
	v_bfe_u32 v9, v10, 23, 1
; %bb.13246:                            ;   in Loop: Header=BB6_12675 Depth=3
	s_or_b32 exec_lo, exec_lo, s13
	v_lshrrev_b32_e32 v10, 21, v10
	s_delay_alu instid0(VALU_DEP_2) | instskip(SKIP_2) | instid1(VALU_DEP_4)
	v_cmp_gt_i32_e32 vcc_lo, 32, v9
	v_min_i32_e32 v12, 31, v9
	v_lshrrev_b32_e32 v8, 24, v8
	v_cndmask_b32_e32 v10, 3, v10, vcc_lo
	s_delay_alu instid0(VALU_DEP_3) | instskip(NEXT) | instid1(VALU_DEP_3)
	v_lshlrev_b32_e32 v12, 2, v12
	v_and_b32_e32 v8, 0x80, v8
	s_delay_alu instid0(VALU_DEP_3) | instskip(NEXT) | instid1(VALU_DEP_3)
	v_or_b32_e32 v9, v9, v10
	v_and_b32_e32 v12, 0xfc, v12
	s_delay_alu instid0(VALU_DEP_2) | instskip(SKIP_1) | instid1(VALU_DEP_1)
	v_cmp_ne_u32_e32 vcc_lo, 0, v9
	v_and_b32_e32 v13, 3, v10
	v_or3_b32 v8, v12, v8, v13
	s_delay_alu instid0(VALU_DEP_1)
	v_cndmask_b32_e32 v44, 0, v8, vcc_lo
.LBB6_13247:                            ;   in Loop: Header=BB6_12675 Depth=3
	s_or_b32 exec_lo, exec_lo, s31
.LBB6_13248:                            ;   in Loop: Header=BB6_12675 Depth=3
	s_delay_alu instid0(SALU_CYCLE_1) | instskip(SKIP_3) | instid1(VALU_DEP_1)
	s_or_b32 exec_lo, exec_lo, s30
	v_lshrrev_b32_e32 v8, 24, v11
	s_mov_b32 s13, 0
	s_mov_b32 s31, exec_lo
                                        ; implicit-def: $sgpr30
	v_cmpx_lt_i16_e32 0x7f, v8
	s_xor_b32 s31, exec_lo, s31
	s_cbranch_execnz .LBB6_14662
; %bb.13249:                            ;   in Loop: Header=BB6_12675 Depth=3
	s_or_saveexec_b32 s31, s31
	v_mov_b32_e32 v9, s30
	s_xor_b32 exec_lo, exec_lo, s31
	s_cbranch_execnz .LBB6_14665
.LBB6_13250:                            ;   in Loop: Header=BB6_12675 Depth=3
	s_or_b32 exec_lo, exec_lo, s31
	s_and_saveexec_b32 s30, s13
	s_cbranch_execz .LBB6_13252
.LBB6_13251:                            ;   in Loop: Header=BB6_12675 Depth=3
	v_bfe_u32 v9, v11, 24, 2
	s_delay_alu instid0(VALU_DEP_1) | instskip(NEXT) | instid1(VALU_DEP_1)
	v_clz_i32_u32_e32 v10, v9
	v_min_u32_e32 v10, 32, v10
	s_delay_alu instid0(VALU_DEP_1) | instskip(SKIP_1) | instid1(VALU_DEP_2)
	v_subrev_nc_u32_e32 v12, 29, v10
	v_sub_nc_u32_e32 v10, 30, v10
	v_lshlrev_b32_e32 v8, v12, v8
	v_bfe_u32 v12, v11, 26, 5
	s_delay_alu instid0(VALU_DEP_2) | instskip(NEXT) | instid1(VALU_DEP_2)
	v_and_b32_e32 v8, 3, v8
	v_cmp_eq_u32_e32 vcc_lo, 0, v12
	v_cndmask_b32_e32 v10, v12, v10, vcc_lo
	s_delay_alu instid0(VALU_DEP_3) | instskip(NEXT) | instid1(VALU_DEP_2)
	v_dual_cndmask_b32 v8, v9, v8 :: v_dual_and_b32 v9, 0x80000000, v11
	v_lshl_add_u32 v10, v10, 23, 0x37800000
	s_delay_alu instid0(VALU_DEP_2) | instskip(NEXT) | instid1(VALU_DEP_1)
	v_lshlrev_b32_e32 v8, 21, v8
	v_or3_b32 v9, v9, v10, v8
.LBB6_13252:                            ;   in Loop: Header=BB6_12675 Depth=3
	s_or_b32 exec_lo, exec_lo, s30
	s_delay_alu instid0(VALU_DEP_1) | instskip(SKIP_1) | instid1(VALU_DEP_1)
	v_dual_mul_f32 v8, s17, v9 :: v_dual_mov_b32 v47, 0x8000
	s_mov_b32 s30, exec_lo
	v_and_b32_e32 v9, 0x7f800000, v8
	s_delay_alu instid0(VALU_DEP_1)
	v_cmpx_ne_u32_e32 0x7f800000, v9
	s_cbranch_execz .LBB6_13260
; %bb.13253:                            ;   in Loop: Header=BB6_12675 Depth=3
	v_mov_b32_e32 v47, 0
	s_mov_b32 s31, exec_lo
	v_cmpx_ne_u32_e32 0, v8
	s_cbranch_execz .LBB6_13259
; %bb.13254:                            ;   in Loop: Header=BB6_12675 Depth=3
	v_bfe_u32 v9, v8, 23, 8
	s_delay_alu instid0(VALU_DEP_1) | instskip(SKIP_1) | instid1(VALU_DEP_2)
	v_sub_nc_u32_e32 v11, 0x70, v9
	v_cmp_gt_u32_e32 vcc_lo, 0x71, v9
	v_dual_cndmask_b32 v11, 0, v11 :: v_dual_and_b32 v10, 0x7fffff, v8
	s_delay_alu instid0(VALU_DEP_1) | instskip(SKIP_2) | instid1(VALU_DEP_4)
	v_or_b32_e32 v12, 0x800000, v10
	v_cmp_eq_u32_e32 vcc_lo, 0, v9
	v_add_nc_u32_e32 v9, 0xffffff91, v9
	v_cndmask_b32_e64 v11, v11, 0x6f, vcc_lo
	s_delay_alu instid0(VALU_DEP_4) | instskip(NEXT) | instid1(VALU_DEP_3)
	v_cndmask_b32_e32 v10, v12, v10, vcc_lo
	v_cndmask_b32_e64 v9, v9, 0xffffff92, vcc_lo
	s_delay_alu instid0(VALU_DEP_3) | instskip(NEXT) | instid1(VALU_DEP_3)
	v_lshl_add_u32 v12, 0x200000, v11, -1
	v_lshrrev_b32_e32 v13, v11, v10
	v_lshlrev_b32_e64 v15, v11, 0x100000
	s_delay_alu instid0(VALU_DEP_4) | instskip(NEXT) | instid1(VALU_DEP_4)
	v_add_nc_u32_e32 v11, v11, v9
	v_and_b32_e32 v10, v12, v10
	s_delay_alu instid0(VALU_DEP_4) | instskip(NEXT) | instid1(VALU_DEP_2)
	v_bfe_u32 v14, v13, 21, 1
	v_cmp_eq_u32_e64 s13, v10, v15
	s_delay_alu instid0(VALU_DEP_2) | instskip(NEXT) | instid1(VALU_DEP_1)
	v_add_nc_u32_e32 v12, -1, v14
	v_cndmask_b32_e64 v10, 0, v12, s13
	v_lshrrev_b32_e32 v12, 23, v13
	s_mov_b32 s13, exec_lo
	s_delay_alu instid0(VALU_DEP_2) | instskip(NEXT) | instid1(VALU_DEP_2)
	v_add_nc_u32_e32 v10, v10, v13
	v_xor_b32_e32 v12, 1, v12
	s_delay_alu instid0(VALU_DEP_2) | instskip(NEXT) | instid1(VALU_DEP_1)
	v_and_b32_e32 v9, 0x1fffff, v10
	v_add_nc_u32_e32 v10, v9, v13
                                        ; implicit-def: $vgpr9
	s_delay_alu instid0(VALU_DEP_3)
	v_cmpx_ne_u32_e64 v11, v12
	s_xor_b32 s13, exec_lo, s13
; %bb.13255:                            ;   in Loop: Header=BB6_12675 Depth=3
	s_delay_alu instid0(VALU_DEP_2) | instskip(SKIP_2) | instid1(VALU_DEP_2)
	v_cmp_lt_u32_e32 vcc_lo, 0xffffff, v10
	v_sub_nc_u32_e32 v9, v11, v12
	v_cndmask_b32_e64 v11, 0, 1, vcc_lo
	v_add_co_ci_u32_e32 v9, vcc_lo, 0, v9, vcc_lo
	s_delay_alu instid0(VALU_DEP_2)
	v_lshrrev_b32_e32 v10, v11, v10
; %bb.13256:                            ;   in Loop: Header=BB6_12675 Depth=3
	s_and_not1_saveexec_b32 s13, s13
; %bb.13257:                            ;   in Loop: Header=BB6_12675 Depth=3
	s_delay_alu instid0(VALU_DEP_1)
	v_bfe_u32 v9, v10, 23, 1
; %bb.13258:                            ;   in Loop: Header=BB6_12675 Depth=3
	s_or_b32 exec_lo, exec_lo, s13
	v_lshrrev_b32_e32 v10, 21, v10
	s_delay_alu instid0(VALU_DEP_2) | instskip(SKIP_2) | instid1(VALU_DEP_2)
	v_cmp_gt_i32_e32 vcc_lo, 32, v9
	v_min_i32_e32 v11, 31, v9
	v_lshrrev_b32_e32 v8, 24, v8
	v_dual_cndmask_b32 v10, 3, v10 :: v_dual_lshlrev_b32 v11, 2, v11
	s_delay_alu instid0(VALU_DEP_2) | instskip(NEXT) | instid1(VALU_DEP_2)
	v_and_b32_e32 v8, 0x80, v8
	v_or_b32_e32 v9, v9, v10
	s_delay_alu instid0(VALU_DEP_3) | instskip(NEXT) | instid1(VALU_DEP_2)
	v_and_b32_e32 v11, 0xfc, v11
	v_cmp_ne_u32_e32 vcc_lo, 0, v9
	v_and_b32_e32 v12, 3, v10
	s_delay_alu instid0(VALU_DEP_1) | instskip(NEXT) | instid1(VALU_DEP_1)
	v_or3_b32 v8, v8, v11, v12
	v_lshlrev_b32_e32 v8, 8, v8
	s_delay_alu instid0(VALU_DEP_1)
	v_cndmask_b32_e32 v47, 0, v8, vcc_lo
.LBB6_13259:                            ;   in Loop: Header=BB6_12675 Depth=3
	s_or_b32 exec_lo, exec_lo, s31
.LBB6_13260:                            ;   in Loop: Header=BB6_12675 Depth=3
	s_delay_alu instid0(SALU_CYCLE_1)
	s_or_b32 exec_lo, exec_lo, s30
	global_load_b128 v[8:11], v[69:70], off offset:1536 slc dlc
	s_mov_b32 s13, 0
	s_mov_b32 s31, exec_lo
                                        ; implicit-def: $sgpr30
	s_waitcnt vmcnt(0)
	v_and_b32_e32 v13, 0xff, v8
	s_delay_alu instid0(VALU_DEP_1)
	v_cmpx_lt_i16_e32 0x7f, v13
	s_xor_b32 s31, exec_lo, s31
	s_cbranch_execnz .LBB6_14666
; %bb.13261:                            ;   in Loop: Header=BB6_12675 Depth=3
	s_or_saveexec_b32 s31, s31
	v_mov_b32_e32 v12, s30
	s_xor_b32 exec_lo, exec_lo, s31
	s_cbranch_execnz .LBB6_14669
.LBB6_13262:                            ;   in Loop: Header=BB6_12675 Depth=3
	s_or_b32 exec_lo, exec_lo, s31
	s_and_saveexec_b32 s30, s13
	s_cbranch_execz .LBB6_13264
.LBB6_13263:                            ;   in Loop: Header=BB6_12675 Depth=3
	v_bfe_u32 v15, v8, 2, 5
	v_lshlrev_b32_e32 v16, 24, v8
	s_delay_alu instid0(VALU_DEP_2) | instskip(SKIP_1) | instid1(VALU_DEP_1)
	v_cmp_eq_u32_e32 vcc_lo, 0, v15
	v_and_b32_e32 v12, 3, v8
	v_clz_i32_u32_e32 v13, v12
	s_delay_alu instid0(VALU_DEP_1) | instskip(NEXT) | instid1(VALU_DEP_1)
	v_min_u32_e32 v13, 32, v13
	v_subrev_nc_u32_e32 v14, 29, v13
	v_sub_nc_u32_e32 v13, 30, v13
	s_delay_alu instid0(VALU_DEP_1) | instskip(NEXT) | instid1(VALU_DEP_1)
	v_dual_cndmask_b32 v13, v15, v13 :: v_dual_lshlrev_b32 v14, v14, v8
	v_and_b32_e32 v14, 3, v14
	s_delay_alu instid0(VALU_DEP_2) | instskip(NEXT) | instid1(VALU_DEP_2)
	v_lshl_add_u32 v13, v13, 23, 0x37800000
	v_cndmask_b32_e32 v12, v12, v14, vcc_lo
	v_and_b32_e32 v14, 0x80000000, v16
	s_delay_alu instid0(VALU_DEP_2) | instskip(NEXT) | instid1(VALU_DEP_1)
	v_lshlrev_b32_e32 v12, 21, v12
	v_or3_b32 v12, v14, v13, v12
.LBB6_13264:                            ;   in Loop: Header=BB6_12675 Depth=3
	s_or_b32 exec_lo, exec_lo, s30
	s_delay_alu instid0(VALU_DEP_1) | instskip(SKIP_2) | instid1(VALU_DEP_2)
	v_mul_f32_e32 v12, s17, v12
	v_mov_b32_e32 v42, 0x80
	s_mov_b32 s30, exec_lo
	v_and_b32_e32 v13, 0x7f800000, v12
	s_delay_alu instid0(VALU_DEP_1)
	v_cmpx_ne_u32_e32 0x7f800000, v13
	s_cbranch_execz .LBB6_13272
; %bb.13265:                            ;   in Loop: Header=BB6_12675 Depth=3
	v_mov_b32_e32 v42, 0
	s_mov_b32 s31, exec_lo
	v_cmpx_ne_u32_e32 0, v12
	s_cbranch_execz .LBB6_13271
; %bb.13266:                            ;   in Loop: Header=BB6_12675 Depth=3
	v_bfe_u32 v13, v12, 23, 8
	s_delay_alu instid0(VALU_DEP_1) | instskip(SKIP_1) | instid1(VALU_DEP_2)
	v_sub_nc_u32_e32 v15, 0x70, v13
	v_cmp_gt_u32_e32 vcc_lo, 0x71, v13
	v_dual_cndmask_b32 v15, 0, v15 :: v_dual_and_b32 v14, 0x7fffff, v12
	s_delay_alu instid0(VALU_DEP_1) | instskip(SKIP_2) | instid1(VALU_DEP_4)
	v_or_b32_e32 v16, 0x800000, v14
	v_cmp_eq_u32_e32 vcc_lo, 0, v13
	v_add_nc_u32_e32 v13, 0xffffff91, v13
	v_cndmask_b32_e64 v15, v15, 0x6f, vcc_lo
	s_delay_alu instid0(VALU_DEP_4) | instskip(NEXT) | instid1(VALU_DEP_3)
	v_cndmask_b32_e32 v14, v16, v14, vcc_lo
	v_cndmask_b32_e64 v13, v13, 0xffffff92, vcc_lo
	s_delay_alu instid0(VALU_DEP_3) | instskip(NEXT) | instid1(VALU_DEP_3)
	v_lshl_add_u32 v16, 0x200000, v15, -1
	v_lshrrev_b32_e32 v17, v15, v14
	v_lshlrev_b32_e64 v19, v15, 0x100000
	s_delay_alu instid0(VALU_DEP_4) | instskip(NEXT) | instid1(VALU_DEP_4)
	v_add_nc_u32_e32 v15, v15, v13
	v_and_b32_e32 v14, v16, v14
	s_delay_alu instid0(VALU_DEP_4) | instskip(NEXT) | instid1(VALU_DEP_2)
	v_bfe_u32 v18, v17, 21, 1
	v_cmp_eq_u32_e64 s13, v14, v19
	s_delay_alu instid0(VALU_DEP_2) | instskip(NEXT) | instid1(VALU_DEP_1)
	v_add_nc_u32_e32 v16, -1, v18
	v_cndmask_b32_e64 v14, 0, v16, s13
	v_lshrrev_b32_e32 v16, 23, v17
	s_mov_b32 s13, exec_lo
	s_delay_alu instid0(VALU_DEP_2) | instskip(NEXT) | instid1(VALU_DEP_2)
	v_add_nc_u32_e32 v14, v14, v17
	v_xor_b32_e32 v16, 1, v16
	s_delay_alu instid0(VALU_DEP_2) | instskip(NEXT) | instid1(VALU_DEP_1)
	v_and_b32_e32 v13, 0x1fffff, v14
	v_add_nc_u32_e32 v14, v13, v17
                                        ; implicit-def: $vgpr13
	s_delay_alu instid0(VALU_DEP_3)
	v_cmpx_ne_u32_e64 v15, v16
	s_xor_b32 s13, exec_lo, s13
; %bb.13267:                            ;   in Loop: Header=BB6_12675 Depth=3
	s_delay_alu instid0(VALU_DEP_2) | instskip(SKIP_2) | instid1(VALU_DEP_2)
	v_cmp_lt_u32_e32 vcc_lo, 0xffffff, v14
	v_sub_nc_u32_e32 v13, v15, v16
	v_cndmask_b32_e64 v15, 0, 1, vcc_lo
	v_add_co_ci_u32_e32 v13, vcc_lo, 0, v13, vcc_lo
	s_delay_alu instid0(VALU_DEP_2)
	v_lshrrev_b32_e32 v14, v15, v14
; %bb.13268:                            ;   in Loop: Header=BB6_12675 Depth=3
	s_and_not1_saveexec_b32 s13, s13
; %bb.13269:                            ;   in Loop: Header=BB6_12675 Depth=3
	s_delay_alu instid0(VALU_DEP_1)
	v_bfe_u32 v13, v14, 23, 1
; %bb.13270:                            ;   in Loop: Header=BB6_12675 Depth=3
	s_or_b32 exec_lo, exec_lo, s13
	v_lshrrev_b32_e32 v14, 21, v14
	s_delay_alu instid0(VALU_DEP_2) | instskip(SKIP_2) | instid1(VALU_DEP_4)
	v_cmp_gt_i32_e32 vcc_lo, 32, v13
	v_lshrrev_b32_e32 v12, 24, v12
	v_min_i32_e32 v15, 31, v13
	v_cndmask_b32_e32 v14, 3, v14, vcc_lo
	s_delay_alu instid0(VALU_DEP_3) | instskip(NEXT) | instid1(VALU_DEP_3)
	v_and_b32_e32 v12, 0x80, v12
	v_lshlrev_b32_e32 v15, 2, v15
	s_delay_alu instid0(VALU_DEP_3) | instskip(SKIP_1) | instid1(VALU_DEP_2)
	v_and_b32_e32 v16, 3, v14
	v_or_b32_e32 v13, v13, v14
	v_or3_b32 v12, v15, v12, v16
	s_delay_alu instid0(VALU_DEP_2) | instskip(NEXT) | instid1(VALU_DEP_2)
	v_cmp_ne_u32_e32 vcc_lo, 0, v13
	v_cndmask_b32_e32 v42, 0, v12, vcc_lo
.LBB6_13271:                            ;   in Loop: Header=BB6_12675 Depth=3
	s_or_b32 exec_lo, exec_lo, s31
.LBB6_13272:                            ;   in Loop: Header=BB6_12675 Depth=3
	s_delay_alu instid0(SALU_CYCLE_1) | instskip(SKIP_3) | instid1(VALU_DEP_1)
	s_or_b32 exec_lo, exec_lo, s30
	v_lshrrev_b16 v12, 8, v8
	s_mov_b32 s13, 0
	s_mov_b32 s31, exec_lo
                                        ; implicit-def: $sgpr30
	v_cmpx_lt_i16_e32 0x7f, v12
	s_xor_b32 s31, exec_lo, s31
	s_cbranch_execnz .LBB6_14670
; %bb.13273:                            ;   in Loop: Header=BB6_12675 Depth=3
	s_or_saveexec_b32 s31, s31
	v_mov_b32_e32 v13, s30
	s_xor_b32 exec_lo, exec_lo, s31
	s_cbranch_execnz .LBB6_14673
.LBB6_13274:                            ;   in Loop: Header=BB6_12675 Depth=3
	s_or_b32 exec_lo, exec_lo, s31
	s_and_saveexec_b32 s30, s13
	s_cbranch_execz .LBB6_13276
.LBB6_13275:                            ;   in Loop: Header=BB6_12675 Depth=3
	v_and_b32_e32 v13, 0xffff, v12
	v_lshlrev_b32_e32 v12, 24, v12
	s_delay_alu instid0(VALU_DEP_2) | instskip(NEXT) | instid1(VALU_DEP_2)
	v_and_b32_e32 v14, 3, v13
	v_and_b32_e32 v12, 0x80000000, v12
	s_delay_alu instid0(VALU_DEP_2) | instskip(NEXT) | instid1(VALU_DEP_1)
	v_clz_i32_u32_e32 v15, v14
	v_min_u32_e32 v15, 32, v15
	s_delay_alu instid0(VALU_DEP_1) | instskip(SKIP_1) | instid1(VALU_DEP_2)
	v_subrev_nc_u32_e32 v16, 29, v15
	v_sub_nc_u32_e32 v15, 30, v15
	v_lshlrev_b32_e32 v16, v16, v13
	v_bfe_u32 v13, v13, 2, 5
	s_delay_alu instid0(VALU_DEP_2) | instskip(NEXT) | instid1(VALU_DEP_2)
	v_and_b32_e32 v16, 3, v16
	v_cmp_eq_u32_e32 vcc_lo, 0, v13
	s_delay_alu instid0(VALU_DEP_2) | instskip(NEXT) | instid1(VALU_DEP_1)
	v_dual_cndmask_b32 v13, v13, v15 :: v_dual_cndmask_b32 v14, v14, v16
	v_lshl_add_u32 v13, v13, 23, 0x37800000
	s_delay_alu instid0(VALU_DEP_2) | instskip(NEXT) | instid1(VALU_DEP_1)
	v_lshlrev_b32_e32 v14, 21, v14
	v_or3_b32 v13, v12, v13, v14
.LBB6_13276:                            ;   in Loop: Header=BB6_12675 Depth=3
	s_or_b32 exec_lo, exec_lo, s30
	s_delay_alu instid0(VALU_DEP_1) | instskip(SKIP_2) | instid1(VALU_DEP_2)
	v_mul_f32_e32 v12, s17, v13
	v_mov_b32_e32 v40, 0x80
	s_mov_b32 s30, exec_lo
	v_and_b32_e32 v13, 0x7f800000, v12
	s_delay_alu instid0(VALU_DEP_1)
	v_cmpx_ne_u32_e32 0x7f800000, v13
	s_cbranch_execz .LBB6_13284
; %bb.13277:                            ;   in Loop: Header=BB6_12675 Depth=3
	v_mov_b32_e32 v40, 0
	s_mov_b32 s31, exec_lo
	v_cmpx_ne_u32_e32 0, v12
	s_cbranch_execz .LBB6_13283
; %bb.13278:                            ;   in Loop: Header=BB6_12675 Depth=3
	v_bfe_u32 v13, v12, 23, 8
	s_delay_alu instid0(VALU_DEP_1) | instskip(SKIP_1) | instid1(VALU_DEP_2)
	v_sub_nc_u32_e32 v15, 0x70, v13
	v_cmp_gt_u32_e32 vcc_lo, 0x71, v13
	v_dual_cndmask_b32 v15, 0, v15 :: v_dual_and_b32 v14, 0x7fffff, v12
	s_delay_alu instid0(VALU_DEP_1) | instskip(SKIP_2) | instid1(VALU_DEP_4)
	v_or_b32_e32 v16, 0x800000, v14
	v_cmp_eq_u32_e32 vcc_lo, 0, v13
	v_add_nc_u32_e32 v13, 0xffffff91, v13
	v_cndmask_b32_e64 v15, v15, 0x6f, vcc_lo
	s_delay_alu instid0(VALU_DEP_4) | instskip(NEXT) | instid1(VALU_DEP_3)
	v_cndmask_b32_e32 v14, v16, v14, vcc_lo
	v_cndmask_b32_e64 v13, v13, 0xffffff92, vcc_lo
	s_delay_alu instid0(VALU_DEP_3) | instskip(NEXT) | instid1(VALU_DEP_3)
	v_lshl_add_u32 v16, 0x200000, v15, -1
	v_lshrrev_b32_e32 v17, v15, v14
	v_lshlrev_b32_e64 v19, v15, 0x100000
	s_delay_alu instid0(VALU_DEP_4) | instskip(NEXT) | instid1(VALU_DEP_4)
	v_add_nc_u32_e32 v15, v15, v13
	v_and_b32_e32 v14, v16, v14
	s_delay_alu instid0(VALU_DEP_4) | instskip(NEXT) | instid1(VALU_DEP_2)
	v_bfe_u32 v18, v17, 21, 1
	v_cmp_eq_u32_e64 s13, v14, v19
	s_delay_alu instid0(VALU_DEP_2) | instskip(NEXT) | instid1(VALU_DEP_1)
	v_add_nc_u32_e32 v16, -1, v18
	v_cndmask_b32_e64 v14, 0, v16, s13
	v_lshrrev_b32_e32 v16, 23, v17
	s_mov_b32 s13, exec_lo
	s_delay_alu instid0(VALU_DEP_2) | instskip(NEXT) | instid1(VALU_DEP_2)
	v_add_nc_u32_e32 v14, v14, v17
	v_xor_b32_e32 v16, 1, v16
	s_delay_alu instid0(VALU_DEP_2) | instskip(NEXT) | instid1(VALU_DEP_1)
	v_and_b32_e32 v13, 0x1fffff, v14
	v_add_nc_u32_e32 v14, v13, v17
                                        ; implicit-def: $vgpr13
	s_delay_alu instid0(VALU_DEP_3)
	v_cmpx_ne_u32_e64 v15, v16
	s_xor_b32 s13, exec_lo, s13
; %bb.13279:                            ;   in Loop: Header=BB6_12675 Depth=3
	s_delay_alu instid0(VALU_DEP_2) | instskip(SKIP_2) | instid1(VALU_DEP_2)
	v_cmp_lt_u32_e32 vcc_lo, 0xffffff, v14
	v_sub_nc_u32_e32 v13, v15, v16
	v_cndmask_b32_e64 v15, 0, 1, vcc_lo
	v_add_co_ci_u32_e32 v13, vcc_lo, 0, v13, vcc_lo
	s_delay_alu instid0(VALU_DEP_2)
	v_lshrrev_b32_e32 v14, v15, v14
; %bb.13280:                            ;   in Loop: Header=BB6_12675 Depth=3
	s_and_not1_saveexec_b32 s13, s13
; %bb.13281:                            ;   in Loop: Header=BB6_12675 Depth=3
	s_delay_alu instid0(VALU_DEP_1)
	v_bfe_u32 v13, v14, 23, 1
; %bb.13282:                            ;   in Loop: Header=BB6_12675 Depth=3
	s_or_b32 exec_lo, exec_lo, s13
	v_lshrrev_b32_e32 v14, 21, v14
	s_delay_alu instid0(VALU_DEP_2) | instskip(SKIP_2) | instid1(VALU_DEP_4)
	v_cmp_gt_i32_e32 vcc_lo, 32, v13
	v_lshrrev_b32_e32 v12, 24, v12
	v_min_i32_e32 v15, 31, v13
	v_cndmask_b32_e32 v14, 3, v14, vcc_lo
	s_delay_alu instid0(VALU_DEP_3) | instskip(NEXT) | instid1(VALU_DEP_3)
	v_and_b32_e32 v12, 0x80, v12
	v_lshlrev_b32_e32 v15, 2, v15
	s_delay_alu instid0(VALU_DEP_3) | instskip(SKIP_1) | instid1(VALU_DEP_2)
	v_and_b32_e32 v16, 3, v14
	v_or_b32_e32 v13, v13, v14
	v_or3_b32 v12, v15, v12, v16
	s_delay_alu instid0(VALU_DEP_2) | instskip(NEXT) | instid1(VALU_DEP_2)
	v_cmp_ne_u32_e32 vcc_lo, 0, v13
	v_cndmask_b32_e32 v40, 0, v12, vcc_lo
.LBB6_13283:                            ;   in Loop: Header=BB6_12675 Depth=3
	s_or_b32 exec_lo, exec_lo, s31
.LBB6_13284:                            ;   in Loop: Header=BB6_12675 Depth=3
	s_delay_alu instid0(SALU_CYCLE_1) | instskip(SKIP_3) | instid1(VALU_DEP_1)
	s_or_b32 exec_lo, exec_lo, s30
	v_lshrrev_b32_e32 v12, 16, v8
	s_mov_b32 s13, 0
	s_mov_b32 s31, exec_lo
                                        ; implicit-def: $sgpr30
	v_and_b32_e32 v14, 0xff, v12
	s_delay_alu instid0(VALU_DEP_1)
	v_cmpx_lt_i16_e32 0x7f, v14
	s_xor_b32 s31, exec_lo, s31
	s_cbranch_execnz .LBB6_14674
; %bb.13285:                            ;   in Loop: Header=BB6_12675 Depth=3
	s_or_saveexec_b32 s31, s31
	v_mov_b32_e32 v13, s30
	s_xor_b32 exec_lo, exec_lo, s31
	s_cbranch_execnz .LBB6_14677
.LBB6_13286:                            ;   in Loop: Header=BB6_12675 Depth=3
	s_or_b32 exec_lo, exec_lo, s31
	s_and_saveexec_b32 s30, s13
	s_cbranch_execz .LBB6_13288
.LBB6_13287:                            ;   in Loop: Header=BB6_12675 Depth=3
	v_bfe_u32 v13, v8, 16, 2
	v_lshlrev_b32_e32 v16, 8, v8
	s_delay_alu instid0(VALU_DEP_2) | instskip(NEXT) | instid1(VALU_DEP_1)
	v_clz_i32_u32_e32 v14, v13
	v_min_u32_e32 v14, 32, v14
	s_delay_alu instid0(VALU_DEP_1) | instskip(SKIP_1) | instid1(VALU_DEP_2)
	v_subrev_nc_u32_e32 v15, 29, v14
	v_sub_nc_u32_e32 v14, 30, v14
	v_lshlrev_b32_e32 v12, v15, v12
	v_bfe_u32 v15, v8, 18, 5
	s_delay_alu instid0(VALU_DEP_2) | instskip(NEXT) | instid1(VALU_DEP_2)
	v_and_b32_e32 v12, 3, v12
	v_cmp_eq_u32_e32 vcc_lo, 0, v15
	v_cndmask_b32_e32 v14, v15, v14, vcc_lo
	s_delay_alu instid0(VALU_DEP_3) | instskip(SKIP_1) | instid1(VALU_DEP_3)
	v_cndmask_b32_e32 v12, v13, v12, vcc_lo
	v_and_b32_e32 v13, 0x80000000, v16
	v_lshl_add_u32 v14, v14, 23, 0x37800000
	s_delay_alu instid0(VALU_DEP_3) | instskip(NEXT) | instid1(VALU_DEP_1)
	v_lshlrev_b32_e32 v12, 21, v12
	v_or3_b32 v13, v13, v14, v12
.LBB6_13288:                            ;   in Loop: Header=BB6_12675 Depth=3
	s_or_b32 exec_lo, exec_lo, s30
	s_delay_alu instid0(VALU_DEP_1) | instskip(SKIP_2) | instid1(VALU_DEP_2)
	v_mul_f32_e32 v12, s17, v13
	v_mov_b32_e32 v182, 0x80
	s_mov_b32 s30, exec_lo
	v_and_b32_e32 v13, 0x7f800000, v12
	s_delay_alu instid0(VALU_DEP_1)
	v_cmpx_ne_u32_e32 0x7f800000, v13
	s_cbranch_execz .LBB6_13296
; %bb.13289:                            ;   in Loop: Header=BB6_12675 Depth=3
	v_mov_b32_e32 v182, 0
	s_mov_b32 s31, exec_lo
	v_cmpx_ne_u32_e32 0, v12
	s_cbranch_execz .LBB6_13295
; %bb.13290:                            ;   in Loop: Header=BB6_12675 Depth=3
	v_bfe_u32 v13, v12, 23, 8
	s_delay_alu instid0(VALU_DEP_1) | instskip(SKIP_1) | instid1(VALU_DEP_2)
	v_sub_nc_u32_e32 v15, 0x70, v13
	v_cmp_gt_u32_e32 vcc_lo, 0x71, v13
	v_dual_cndmask_b32 v15, 0, v15 :: v_dual_and_b32 v14, 0x7fffff, v12
	s_delay_alu instid0(VALU_DEP_1) | instskip(SKIP_2) | instid1(VALU_DEP_4)
	v_or_b32_e32 v16, 0x800000, v14
	v_cmp_eq_u32_e32 vcc_lo, 0, v13
	v_add_nc_u32_e32 v13, 0xffffff91, v13
	v_cndmask_b32_e64 v15, v15, 0x6f, vcc_lo
	s_delay_alu instid0(VALU_DEP_4) | instskip(NEXT) | instid1(VALU_DEP_3)
	v_cndmask_b32_e32 v14, v16, v14, vcc_lo
	v_cndmask_b32_e64 v13, v13, 0xffffff92, vcc_lo
	s_delay_alu instid0(VALU_DEP_3) | instskip(NEXT) | instid1(VALU_DEP_3)
	v_lshl_add_u32 v16, 0x200000, v15, -1
	v_lshrrev_b32_e32 v17, v15, v14
	v_lshlrev_b32_e64 v19, v15, 0x100000
	s_delay_alu instid0(VALU_DEP_4) | instskip(NEXT) | instid1(VALU_DEP_4)
	v_add_nc_u32_e32 v15, v15, v13
	v_and_b32_e32 v14, v16, v14
	s_delay_alu instid0(VALU_DEP_4) | instskip(NEXT) | instid1(VALU_DEP_2)
	v_bfe_u32 v18, v17, 21, 1
	v_cmp_eq_u32_e64 s13, v14, v19
	s_delay_alu instid0(VALU_DEP_2) | instskip(NEXT) | instid1(VALU_DEP_1)
	v_add_nc_u32_e32 v16, -1, v18
	v_cndmask_b32_e64 v14, 0, v16, s13
	v_lshrrev_b32_e32 v16, 23, v17
	s_mov_b32 s13, exec_lo
	s_delay_alu instid0(VALU_DEP_2) | instskip(NEXT) | instid1(VALU_DEP_2)
	v_add_nc_u32_e32 v14, v14, v17
	v_xor_b32_e32 v16, 1, v16
	s_delay_alu instid0(VALU_DEP_2) | instskip(NEXT) | instid1(VALU_DEP_1)
	v_and_b32_e32 v13, 0x1fffff, v14
	v_add_nc_u32_e32 v14, v13, v17
                                        ; implicit-def: $vgpr13
	s_delay_alu instid0(VALU_DEP_3)
	v_cmpx_ne_u32_e64 v15, v16
	s_xor_b32 s13, exec_lo, s13
; %bb.13291:                            ;   in Loop: Header=BB6_12675 Depth=3
	s_delay_alu instid0(VALU_DEP_2) | instskip(SKIP_2) | instid1(VALU_DEP_2)
	v_cmp_lt_u32_e32 vcc_lo, 0xffffff, v14
	v_sub_nc_u32_e32 v13, v15, v16
	v_cndmask_b32_e64 v15, 0, 1, vcc_lo
	v_add_co_ci_u32_e32 v13, vcc_lo, 0, v13, vcc_lo
	s_delay_alu instid0(VALU_DEP_2)
	v_lshrrev_b32_e32 v14, v15, v14
; %bb.13292:                            ;   in Loop: Header=BB6_12675 Depth=3
	s_and_not1_saveexec_b32 s13, s13
; %bb.13293:                            ;   in Loop: Header=BB6_12675 Depth=3
	s_delay_alu instid0(VALU_DEP_1)
	v_bfe_u32 v13, v14, 23, 1
; %bb.13294:                            ;   in Loop: Header=BB6_12675 Depth=3
	s_or_b32 exec_lo, exec_lo, s13
	v_lshrrev_b32_e32 v14, 21, v14
	s_delay_alu instid0(VALU_DEP_2) | instskip(SKIP_2) | instid1(VALU_DEP_4)
	v_cmp_gt_i32_e32 vcc_lo, 32, v13
	v_lshrrev_b32_e32 v12, 24, v12
	v_min_i32_e32 v15, 31, v13
	v_cndmask_b32_e32 v14, 3, v14, vcc_lo
	s_delay_alu instid0(VALU_DEP_3) | instskip(NEXT) | instid1(VALU_DEP_3)
	v_and_b32_e32 v12, 0x80, v12
	v_lshlrev_b32_e32 v15, 2, v15
	s_delay_alu instid0(VALU_DEP_3) | instskip(SKIP_1) | instid1(VALU_DEP_2)
	v_and_b32_e32 v16, 3, v14
	v_or_b32_e32 v13, v13, v14
	v_or3_b32 v12, v15, v12, v16
	s_delay_alu instid0(VALU_DEP_2) | instskip(NEXT) | instid1(VALU_DEP_2)
	v_cmp_ne_u32_e32 vcc_lo, 0, v13
	v_cndmask_b32_e32 v182, 0, v12, vcc_lo
.LBB6_13295:                            ;   in Loop: Header=BB6_12675 Depth=3
	s_or_b32 exec_lo, exec_lo, s31
.LBB6_13296:                            ;   in Loop: Header=BB6_12675 Depth=3
	s_delay_alu instid0(SALU_CYCLE_1) | instskip(SKIP_3) | instid1(VALU_DEP_1)
	s_or_b32 exec_lo, exec_lo, s30
	v_lshrrev_b32_e32 v12, 24, v8
	s_mov_b32 s13, 0
	s_mov_b32 s31, exec_lo
                                        ; implicit-def: $sgpr30
	v_cmpx_lt_i16_e32 0x7f, v12
	s_xor_b32 s31, exec_lo, s31
	s_cbranch_execnz .LBB6_14678
; %bb.13297:                            ;   in Loop: Header=BB6_12675 Depth=3
	s_or_saveexec_b32 s31, s31
	v_mov_b32_e32 v13, s30
	s_xor_b32 exec_lo, exec_lo, s31
	s_cbranch_execnz .LBB6_14681
.LBB6_13298:                            ;   in Loop: Header=BB6_12675 Depth=3
	s_or_b32 exec_lo, exec_lo, s31
	s_and_saveexec_b32 s30, s13
	s_cbranch_execz .LBB6_13300
.LBB6_13299:                            ;   in Loop: Header=BB6_12675 Depth=3
	v_bfe_u32 v13, v8, 24, 2
	s_delay_alu instid0(VALU_DEP_1) | instskip(NEXT) | instid1(VALU_DEP_1)
	v_clz_i32_u32_e32 v14, v13
	v_min_u32_e32 v14, 32, v14
	s_delay_alu instid0(VALU_DEP_1) | instskip(SKIP_1) | instid1(VALU_DEP_2)
	v_subrev_nc_u32_e32 v15, 29, v14
	v_sub_nc_u32_e32 v14, 30, v14
	v_lshlrev_b32_e32 v12, v15, v12
	v_bfe_u32 v15, v8, 26, 5
	v_and_b32_e32 v8, 0x80000000, v8
	s_delay_alu instid0(VALU_DEP_3) | instskip(NEXT) | instid1(VALU_DEP_3)
	v_and_b32_e32 v12, 3, v12
	v_cmp_eq_u32_e32 vcc_lo, 0, v15
	v_cndmask_b32_e32 v14, v15, v14, vcc_lo
	s_delay_alu instid0(VALU_DEP_3) | instskip(NEXT) | instid1(VALU_DEP_2)
	v_cndmask_b32_e32 v12, v13, v12, vcc_lo
	v_lshl_add_u32 v13, v14, 23, 0x37800000
	s_delay_alu instid0(VALU_DEP_2) | instskip(NEXT) | instid1(VALU_DEP_1)
	v_lshlrev_b32_e32 v12, 21, v12
	v_or3_b32 v13, v8, v13, v12
.LBB6_13300:                            ;   in Loop: Header=BB6_12675 Depth=3
	s_or_b32 exec_lo, exec_lo, s30
	s_delay_alu instid0(VALU_DEP_1) | instskip(SKIP_1) | instid1(VALU_DEP_1)
	v_dual_mul_f32 v8, s17, v13 :: v_dual_mov_b32 v51, 0x80
	s_mov_b32 s30, exec_lo
	v_and_b32_e32 v12, 0x7f800000, v8
	s_delay_alu instid0(VALU_DEP_1)
	v_cmpx_ne_u32_e32 0x7f800000, v12
	s_cbranch_execz .LBB6_13308
; %bb.13301:                            ;   in Loop: Header=BB6_12675 Depth=3
	v_mov_b32_e32 v51, 0
	s_mov_b32 s31, exec_lo
	v_cmpx_ne_u32_e32 0, v8
	s_cbranch_execz .LBB6_13307
; %bb.13302:                            ;   in Loop: Header=BB6_12675 Depth=3
	v_bfe_u32 v12, v8, 23, 8
	s_delay_alu instid0(VALU_DEP_1) | instskip(SKIP_1) | instid1(VALU_DEP_2)
	v_sub_nc_u32_e32 v14, 0x70, v12
	v_cmp_gt_u32_e32 vcc_lo, 0x71, v12
	v_dual_cndmask_b32 v14, 0, v14 :: v_dual_and_b32 v13, 0x7fffff, v8
	s_delay_alu instid0(VALU_DEP_1) | instskip(SKIP_2) | instid1(VALU_DEP_4)
	v_or_b32_e32 v15, 0x800000, v13
	v_cmp_eq_u32_e32 vcc_lo, 0, v12
	v_add_nc_u32_e32 v12, 0xffffff91, v12
	v_cndmask_b32_e64 v14, v14, 0x6f, vcc_lo
	s_delay_alu instid0(VALU_DEP_4) | instskip(NEXT) | instid1(VALU_DEP_3)
	v_cndmask_b32_e32 v13, v15, v13, vcc_lo
	v_cndmask_b32_e64 v12, v12, 0xffffff92, vcc_lo
	s_delay_alu instid0(VALU_DEP_3) | instskip(NEXT) | instid1(VALU_DEP_3)
	v_lshl_add_u32 v15, 0x200000, v14, -1
	v_lshrrev_b32_e32 v16, v14, v13
	v_lshlrev_b32_e64 v18, v14, 0x100000
	s_delay_alu instid0(VALU_DEP_4) | instskip(NEXT) | instid1(VALU_DEP_4)
	v_add_nc_u32_e32 v14, v14, v12
	v_and_b32_e32 v13, v15, v13
	s_delay_alu instid0(VALU_DEP_4) | instskip(NEXT) | instid1(VALU_DEP_2)
	v_bfe_u32 v17, v16, 21, 1
	v_cmp_eq_u32_e64 s13, v13, v18
	s_delay_alu instid0(VALU_DEP_2) | instskip(NEXT) | instid1(VALU_DEP_1)
	v_add_nc_u32_e32 v15, -1, v17
	v_cndmask_b32_e64 v13, 0, v15, s13
	v_lshrrev_b32_e32 v15, 23, v16
	s_mov_b32 s13, exec_lo
	s_delay_alu instid0(VALU_DEP_2) | instskip(NEXT) | instid1(VALU_DEP_2)
	v_add_nc_u32_e32 v13, v13, v16
	v_xor_b32_e32 v15, 1, v15
	s_delay_alu instid0(VALU_DEP_2) | instskip(NEXT) | instid1(VALU_DEP_1)
	v_and_b32_e32 v12, 0x1fffff, v13
	v_add_nc_u32_e32 v13, v12, v16
                                        ; implicit-def: $vgpr12
	s_delay_alu instid0(VALU_DEP_3)
	v_cmpx_ne_u32_e64 v14, v15
	s_xor_b32 s13, exec_lo, s13
; %bb.13303:                            ;   in Loop: Header=BB6_12675 Depth=3
	s_delay_alu instid0(VALU_DEP_2) | instskip(SKIP_2) | instid1(VALU_DEP_2)
	v_cmp_lt_u32_e32 vcc_lo, 0xffffff, v13
	v_sub_nc_u32_e32 v12, v14, v15
	v_cndmask_b32_e64 v14, 0, 1, vcc_lo
	v_add_co_ci_u32_e32 v12, vcc_lo, 0, v12, vcc_lo
	s_delay_alu instid0(VALU_DEP_2)
	v_lshrrev_b32_e32 v13, v14, v13
; %bb.13304:                            ;   in Loop: Header=BB6_12675 Depth=3
	s_and_not1_saveexec_b32 s13, s13
; %bb.13305:                            ;   in Loop: Header=BB6_12675 Depth=3
	s_delay_alu instid0(VALU_DEP_1)
	v_bfe_u32 v12, v13, 23, 1
; %bb.13306:                            ;   in Loop: Header=BB6_12675 Depth=3
	s_or_b32 exec_lo, exec_lo, s13
	v_lshrrev_b32_e32 v13, 21, v13
	s_delay_alu instid0(VALU_DEP_2) | instskip(SKIP_2) | instid1(VALU_DEP_2)
	v_cmp_gt_i32_e32 vcc_lo, 32, v12
	v_lshrrev_b32_e32 v8, 24, v8
	v_min_i32_e32 v14, 31, v12
	v_dual_cndmask_b32 v13, 3, v13 :: v_dual_and_b32 v8, 0x80, v8
	s_delay_alu instid0(VALU_DEP_1) | instskip(SKIP_1) | instid1(VALU_DEP_2)
	v_or_b32_e32 v12, v12, v13
	v_and_b32_e32 v15, 3, v13
	v_cmp_ne_u32_e32 vcc_lo, 0, v12
	v_lshlrev_b32_e32 v14, 2, v14
	s_delay_alu instid0(VALU_DEP_1) | instskip(NEXT) | instid1(VALU_DEP_1)
	v_or3_b32 v8, v14, v8, v15
	v_cndmask_b32_e32 v51, 0, v8, vcc_lo
.LBB6_13307:                            ;   in Loop: Header=BB6_12675 Depth=3
	s_or_b32 exec_lo, exec_lo, s31
.LBB6_13308:                            ;   in Loop: Header=BB6_12675 Depth=3
	s_delay_alu instid0(SALU_CYCLE_1) | instskip(SKIP_3) | instid1(VALU_DEP_1)
	s_or_b32 exec_lo, exec_lo, s30
	v_and_b32_e32 v12, 0xff, v9
	s_mov_b32 s13, 0
	s_mov_b32 s31, exec_lo
                                        ; implicit-def: $sgpr30
	v_cmpx_lt_i16_e32 0x7f, v12
	s_xor_b32 s31, exec_lo, s31
	s_cbranch_execnz .LBB6_14682
; %bb.13309:                            ;   in Loop: Header=BB6_12675 Depth=3
	s_or_saveexec_b32 s31, s31
	v_mov_b32_e32 v8, s30
	s_xor_b32 exec_lo, exec_lo, s31
	s_cbranch_execnz .LBB6_14685
.LBB6_13310:                            ;   in Loop: Header=BB6_12675 Depth=3
	s_or_b32 exec_lo, exec_lo, s31
	s_and_saveexec_b32 s30, s13
	s_cbranch_execz .LBB6_13312
.LBB6_13311:                            ;   in Loop: Header=BB6_12675 Depth=3
	v_and_b32_e32 v8, 3, v9
	v_bfe_u32 v14, v9, 2, 5
	v_lshlrev_b32_e32 v15, 24, v9
	s_delay_alu instid0(VALU_DEP_3) | instskip(NEXT) | instid1(VALU_DEP_3)
	v_clz_i32_u32_e32 v12, v8
	v_cmp_eq_u32_e32 vcc_lo, 0, v14
	s_delay_alu instid0(VALU_DEP_2) | instskip(NEXT) | instid1(VALU_DEP_1)
	v_min_u32_e32 v12, 32, v12
	v_subrev_nc_u32_e32 v13, 29, v12
	v_sub_nc_u32_e32 v12, 30, v12
	s_delay_alu instid0(VALU_DEP_1) | instskip(NEXT) | instid1(VALU_DEP_1)
	v_dual_cndmask_b32 v12, v14, v12 :: v_dual_lshlrev_b32 v13, v13, v9
	v_and_b32_e32 v13, 3, v13
	s_delay_alu instid0(VALU_DEP_2) | instskip(NEXT) | instid1(VALU_DEP_2)
	v_lshl_add_u32 v12, v12, 23, 0x37800000
	v_dual_cndmask_b32 v8, v8, v13 :: v_dual_and_b32 v13, 0x80000000, v15
	s_delay_alu instid0(VALU_DEP_1) | instskip(NEXT) | instid1(VALU_DEP_1)
	v_lshlrev_b32_e32 v8, 21, v8
	v_or3_b32 v8, v13, v12, v8
.LBB6_13312:                            ;   in Loop: Header=BB6_12675 Depth=3
	s_or_b32 exec_lo, exec_lo, s30
	s_delay_alu instid0(VALU_DEP_1) | instskip(SKIP_1) | instid1(VALU_DEP_1)
	v_dual_mul_f32 v8, s17, v8 :: v_dual_mov_b32 v179, 0x80
	s_mov_b32 s30, exec_lo
	v_and_b32_e32 v12, 0x7f800000, v8
	s_delay_alu instid0(VALU_DEP_1)
	v_cmpx_ne_u32_e32 0x7f800000, v12
	s_cbranch_execz .LBB6_13320
; %bb.13313:                            ;   in Loop: Header=BB6_12675 Depth=3
	v_mov_b32_e32 v179, 0
	s_mov_b32 s31, exec_lo
	v_cmpx_ne_u32_e32 0, v8
	s_cbranch_execz .LBB6_13319
; %bb.13314:                            ;   in Loop: Header=BB6_12675 Depth=3
	v_bfe_u32 v12, v8, 23, 8
	s_delay_alu instid0(VALU_DEP_1) | instskip(SKIP_1) | instid1(VALU_DEP_2)
	v_sub_nc_u32_e32 v14, 0x70, v12
	v_cmp_gt_u32_e32 vcc_lo, 0x71, v12
	v_dual_cndmask_b32 v14, 0, v14 :: v_dual_and_b32 v13, 0x7fffff, v8
	s_delay_alu instid0(VALU_DEP_1) | instskip(SKIP_2) | instid1(VALU_DEP_4)
	v_or_b32_e32 v15, 0x800000, v13
	v_cmp_eq_u32_e32 vcc_lo, 0, v12
	v_add_nc_u32_e32 v12, 0xffffff91, v12
	v_cndmask_b32_e64 v14, v14, 0x6f, vcc_lo
	s_delay_alu instid0(VALU_DEP_4) | instskip(NEXT) | instid1(VALU_DEP_3)
	v_cndmask_b32_e32 v13, v15, v13, vcc_lo
	v_cndmask_b32_e64 v12, v12, 0xffffff92, vcc_lo
	s_delay_alu instid0(VALU_DEP_3) | instskip(NEXT) | instid1(VALU_DEP_3)
	v_lshl_add_u32 v15, 0x200000, v14, -1
	v_lshrrev_b32_e32 v16, v14, v13
	v_lshlrev_b32_e64 v18, v14, 0x100000
	s_delay_alu instid0(VALU_DEP_4) | instskip(NEXT) | instid1(VALU_DEP_4)
	v_add_nc_u32_e32 v14, v14, v12
	v_and_b32_e32 v13, v15, v13
	s_delay_alu instid0(VALU_DEP_4) | instskip(NEXT) | instid1(VALU_DEP_2)
	v_bfe_u32 v17, v16, 21, 1
	v_cmp_eq_u32_e64 s13, v13, v18
	s_delay_alu instid0(VALU_DEP_2) | instskip(NEXT) | instid1(VALU_DEP_1)
	v_add_nc_u32_e32 v15, -1, v17
	v_cndmask_b32_e64 v13, 0, v15, s13
	v_lshrrev_b32_e32 v15, 23, v16
	s_mov_b32 s13, exec_lo
	s_delay_alu instid0(VALU_DEP_2) | instskip(NEXT) | instid1(VALU_DEP_2)
	v_add_nc_u32_e32 v13, v13, v16
	v_xor_b32_e32 v15, 1, v15
	s_delay_alu instid0(VALU_DEP_2) | instskip(NEXT) | instid1(VALU_DEP_1)
	v_and_b32_e32 v12, 0x1fffff, v13
	v_add_nc_u32_e32 v13, v12, v16
                                        ; implicit-def: $vgpr12
	s_delay_alu instid0(VALU_DEP_3)
	v_cmpx_ne_u32_e64 v14, v15
	s_xor_b32 s13, exec_lo, s13
; %bb.13315:                            ;   in Loop: Header=BB6_12675 Depth=3
	s_delay_alu instid0(VALU_DEP_2) | instskip(SKIP_2) | instid1(VALU_DEP_2)
	v_cmp_lt_u32_e32 vcc_lo, 0xffffff, v13
	v_sub_nc_u32_e32 v12, v14, v15
	v_cndmask_b32_e64 v14, 0, 1, vcc_lo
	v_add_co_ci_u32_e32 v12, vcc_lo, 0, v12, vcc_lo
	s_delay_alu instid0(VALU_DEP_2)
	v_lshrrev_b32_e32 v13, v14, v13
; %bb.13316:                            ;   in Loop: Header=BB6_12675 Depth=3
	s_and_not1_saveexec_b32 s13, s13
; %bb.13317:                            ;   in Loop: Header=BB6_12675 Depth=3
	s_delay_alu instid0(VALU_DEP_1)
	v_bfe_u32 v12, v13, 23, 1
; %bb.13318:                            ;   in Loop: Header=BB6_12675 Depth=3
	s_or_b32 exec_lo, exec_lo, s13
	v_lshrrev_b32_e32 v13, 21, v13
	s_delay_alu instid0(VALU_DEP_2) | instskip(SKIP_2) | instid1(VALU_DEP_2)
	v_cmp_gt_i32_e32 vcc_lo, 32, v12
	v_min_i32_e32 v14, 31, v12
	v_lshrrev_b32_e32 v8, 24, v8
	v_dual_cndmask_b32 v13, 3, v13 :: v_dual_lshlrev_b32 v14, 2, v14
	s_delay_alu instid0(VALU_DEP_2) | instskip(NEXT) | instid1(VALU_DEP_2)
	v_and_b32_e32 v8, 0x80, v8
	v_or_b32_e32 v12, v12, v13
	v_and_b32_e32 v15, 3, v13
	s_delay_alu instid0(VALU_DEP_2) | instskip(SKIP_1) | instid1(VALU_DEP_1)
	v_cmp_ne_u32_e32 vcc_lo, 0, v12
	v_and_b32_e32 v14, 0xfc, v14
	v_or3_b32 v8, v14, v8, v15
	s_delay_alu instid0(VALU_DEP_1)
	v_cndmask_b32_e32 v179, 0, v8, vcc_lo
.LBB6_13319:                            ;   in Loop: Header=BB6_12675 Depth=3
	s_or_b32 exec_lo, exec_lo, s31
.LBB6_13320:                            ;   in Loop: Header=BB6_12675 Depth=3
	s_delay_alu instid0(SALU_CYCLE_1) | instskip(SKIP_3) | instid1(VALU_DEP_1)
	s_or_b32 exec_lo, exec_lo, s30
	v_lshrrev_b16 v8, 8, v9
	s_mov_b32 s13, 0
	s_mov_b32 s31, exec_lo
                                        ; implicit-def: $sgpr30
	v_cmpx_lt_i16_e32 0x7f, v8
	s_xor_b32 s31, exec_lo, s31
	s_cbranch_execnz .LBB6_14686
; %bb.13321:                            ;   in Loop: Header=BB6_12675 Depth=3
	s_or_saveexec_b32 s31, s31
	v_mov_b32_e32 v12, s30
	s_xor_b32 exec_lo, exec_lo, s31
	s_cbranch_execnz .LBB6_14689
.LBB6_13322:                            ;   in Loop: Header=BB6_12675 Depth=3
	s_or_b32 exec_lo, exec_lo, s31
	s_and_saveexec_b32 s30, s13
	s_cbranch_execz .LBB6_13324
.LBB6_13323:                            ;   in Loop: Header=BB6_12675 Depth=3
	v_and_b32_e32 v12, 0xffff, v8
	v_lshlrev_b32_e32 v8, 24, v8
	s_delay_alu instid0(VALU_DEP_2) | instskip(NEXT) | instid1(VALU_DEP_2)
	v_and_b32_e32 v13, 3, v12
	v_and_b32_e32 v8, 0x80000000, v8
	s_delay_alu instid0(VALU_DEP_2) | instskip(NEXT) | instid1(VALU_DEP_1)
	v_clz_i32_u32_e32 v14, v13
	v_min_u32_e32 v14, 32, v14
	s_delay_alu instid0(VALU_DEP_1) | instskip(SKIP_1) | instid1(VALU_DEP_2)
	v_subrev_nc_u32_e32 v15, 29, v14
	v_sub_nc_u32_e32 v14, 30, v14
	v_lshlrev_b32_e32 v15, v15, v12
	v_bfe_u32 v12, v12, 2, 5
	s_delay_alu instid0(VALU_DEP_2) | instskip(NEXT) | instid1(VALU_DEP_2)
	v_and_b32_e32 v15, 3, v15
	v_cmp_eq_u32_e32 vcc_lo, 0, v12
	s_delay_alu instid0(VALU_DEP_2) | instskip(NEXT) | instid1(VALU_DEP_1)
	v_dual_cndmask_b32 v12, v12, v14 :: v_dual_cndmask_b32 v13, v13, v15
	v_lshl_add_u32 v12, v12, 23, 0x37800000
	s_delay_alu instid0(VALU_DEP_2) | instskip(NEXT) | instid1(VALU_DEP_1)
	v_lshlrev_b32_e32 v13, 21, v13
	v_or3_b32 v12, v8, v12, v13
.LBB6_13324:                            ;   in Loop: Header=BB6_12675 Depth=3
	s_or_b32 exec_lo, exec_lo, s30
	s_delay_alu instid0(VALU_DEP_1) | instskip(SKIP_1) | instid1(VALU_DEP_1)
	v_dual_mul_f32 v8, s17, v12 :: v_dual_mov_b32 v41, 0x8000
	s_mov_b32 s30, exec_lo
	v_and_b32_e32 v12, 0x7f800000, v8
	s_delay_alu instid0(VALU_DEP_1)
	v_cmpx_ne_u32_e32 0x7f800000, v12
	s_cbranch_execz .LBB6_13332
; %bb.13325:                            ;   in Loop: Header=BB6_12675 Depth=3
	v_mov_b32_e32 v41, 0
	s_mov_b32 s31, exec_lo
	v_cmpx_ne_u32_e32 0, v8
	s_cbranch_execz .LBB6_13331
; %bb.13326:                            ;   in Loop: Header=BB6_12675 Depth=3
	v_bfe_u32 v12, v8, 23, 8
	s_delay_alu instid0(VALU_DEP_1) | instskip(SKIP_1) | instid1(VALU_DEP_2)
	v_sub_nc_u32_e32 v14, 0x70, v12
	v_cmp_gt_u32_e32 vcc_lo, 0x71, v12
	v_dual_cndmask_b32 v14, 0, v14 :: v_dual_and_b32 v13, 0x7fffff, v8
	s_delay_alu instid0(VALU_DEP_1) | instskip(SKIP_2) | instid1(VALU_DEP_4)
	v_or_b32_e32 v15, 0x800000, v13
	v_cmp_eq_u32_e32 vcc_lo, 0, v12
	v_add_nc_u32_e32 v12, 0xffffff91, v12
	v_cndmask_b32_e64 v14, v14, 0x6f, vcc_lo
	s_delay_alu instid0(VALU_DEP_4) | instskip(NEXT) | instid1(VALU_DEP_3)
	v_cndmask_b32_e32 v13, v15, v13, vcc_lo
	v_cndmask_b32_e64 v12, v12, 0xffffff92, vcc_lo
	s_delay_alu instid0(VALU_DEP_3) | instskip(NEXT) | instid1(VALU_DEP_3)
	v_lshl_add_u32 v15, 0x200000, v14, -1
	v_lshrrev_b32_e32 v16, v14, v13
	v_lshlrev_b32_e64 v18, v14, 0x100000
	s_delay_alu instid0(VALU_DEP_4) | instskip(NEXT) | instid1(VALU_DEP_4)
	v_add_nc_u32_e32 v14, v14, v12
	v_and_b32_e32 v13, v15, v13
	s_delay_alu instid0(VALU_DEP_4) | instskip(NEXT) | instid1(VALU_DEP_2)
	v_bfe_u32 v17, v16, 21, 1
	v_cmp_eq_u32_e64 s13, v13, v18
	s_delay_alu instid0(VALU_DEP_2) | instskip(NEXT) | instid1(VALU_DEP_1)
	v_add_nc_u32_e32 v15, -1, v17
	v_cndmask_b32_e64 v13, 0, v15, s13
	v_lshrrev_b32_e32 v15, 23, v16
	s_mov_b32 s13, exec_lo
	s_delay_alu instid0(VALU_DEP_2) | instskip(NEXT) | instid1(VALU_DEP_2)
	v_add_nc_u32_e32 v13, v13, v16
	v_xor_b32_e32 v15, 1, v15
	s_delay_alu instid0(VALU_DEP_2) | instskip(NEXT) | instid1(VALU_DEP_1)
	v_and_b32_e32 v12, 0x1fffff, v13
	v_add_nc_u32_e32 v13, v12, v16
                                        ; implicit-def: $vgpr12
	s_delay_alu instid0(VALU_DEP_3)
	v_cmpx_ne_u32_e64 v14, v15
	s_xor_b32 s13, exec_lo, s13
; %bb.13327:                            ;   in Loop: Header=BB6_12675 Depth=3
	s_delay_alu instid0(VALU_DEP_2) | instskip(SKIP_2) | instid1(VALU_DEP_2)
	v_cmp_lt_u32_e32 vcc_lo, 0xffffff, v13
	v_sub_nc_u32_e32 v12, v14, v15
	v_cndmask_b32_e64 v14, 0, 1, vcc_lo
	v_add_co_ci_u32_e32 v12, vcc_lo, 0, v12, vcc_lo
	s_delay_alu instid0(VALU_DEP_2)
	v_lshrrev_b32_e32 v13, v14, v13
; %bb.13328:                            ;   in Loop: Header=BB6_12675 Depth=3
	s_and_not1_saveexec_b32 s13, s13
; %bb.13329:                            ;   in Loop: Header=BB6_12675 Depth=3
	s_delay_alu instid0(VALU_DEP_1)
	v_bfe_u32 v12, v13, 23, 1
; %bb.13330:                            ;   in Loop: Header=BB6_12675 Depth=3
	s_or_b32 exec_lo, exec_lo, s13
	v_lshrrev_b32_e32 v13, 21, v13
	s_delay_alu instid0(VALU_DEP_2) | instskip(SKIP_2) | instid1(VALU_DEP_2)
	v_cmp_gt_i32_e32 vcc_lo, 32, v12
	v_min_i32_e32 v14, 31, v12
	v_lshrrev_b32_e32 v8, 24, v8
	v_dual_cndmask_b32 v13, 3, v13 :: v_dual_lshlrev_b32 v14, 2, v14
	s_delay_alu instid0(VALU_DEP_2) | instskip(NEXT) | instid1(VALU_DEP_2)
	v_and_b32_e32 v8, 0x80, v8
	v_or_b32_e32 v12, v12, v13
	v_and_b32_e32 v15, 3, v13
	s_delay_alu instid0(VALU_DEP_2) | instskip(SKIP_1) | instid1(VALU_DEP_1)
	v_cmp_ne_u32_e32 vcc_lo, 0, v12
	v_and_b32_e32 v14, 0xfc, v14
	v_or3_b32 v8, v8, v14, v15
	s_delay_alu instid0(VALU_DEP_1) | instskip(NEXT) | instid1(VALU_DEP_1)
	v_lshlrev_b32_e32 v8, 8, v8
	v_cndmask_b32_e32 v41, 0, v8, vcc_lo
.LBB6_13331:                            ;   in Loop: Header=BB6_12675 Depth=3
	s_or_b32 exec_lo, exec_lo, s31
.LBB6_13332:                            ;   in Loop: Header=BB6_12675 Depth=3
	s_delay_alu instid0(SALU_CYCLE_1) | instskip(SKIP_3) | instid1(VALU_DEP_1)
	s_or_b32 exec_lo, exec_lo, s30
	v_lshrrev_b32_e32 v8, 16, v9
	s_mov_b32 s13, 0
	s_mov_b32 s31, exec_lo
                                        ; implicit-def: $sgpr30
	v_and_b32_e32 v13, 0xff, v8
	s_delay_alu instid0(VALU_DEP_1)
	v_cmpx_lt_i16_e32 0x7f, v13
	s_xor_b32 s31, exec_lo, s31
	s_cbranch_execnz .LBB6_14690
; %bb.13333:                            ;   in Loop: Header=BB6_12675 Depth=3
	s_or_saveexec_b32 s31, s31
	v_mov_b32_e32 v12, s30
	s_xor_b32 exec_lo, exec_lo, s31
	s_cbranch_execnz .LBB6_14693
.LBB6_13334:                            ;   in Loop: Header=BB6_12675 Depth=3
	s_or_b32 exec_lo, exec_lo, s31
	s_and_saveexec_b32 s30, s13
	s_cbranch_execz .LBB6_13336
.LBB6_13335:                            ;   in Loop: Header=BB6_12675 Depth=3
	v_bfe_u32 v12, v9, 16, 2
	s_delay_alu instid0(VALU_DEP_1) | instskip(NEXT) | instid1(VALU_DEP_1)
	v_clz_i32_u32_e32 v13, v12
	v_min_u32_e32 v13, 32, v13
	s_delay_alu instid0(VALU_DEP_1) | instskip(SKIP_1) | instid1(VALU_DEP_2)
	v_subrev_nc_u32_e32 v14, 29, v13
	v_sub_nc_u32_e32 v13, 30, v13
	v_lshlrev_b32_e32 v8, v14, v8
	v_bfe_u32 v14, v9, 18, 5
	s_delay_alu instid0(VALU_DEP_1) | instskip(NEXT) | instid1(VALU_DEP_3)
	v_cmp_eq_u32_e32 vcc_lo, 0, v14
	v_dual_cndmask_b32 v13, v14, v13 :: v_dual_and_b32 v8, 3, v8
	s_delay_alu instid0(VALU_DEP_1) | instskip(NEXT) | instid1(VALU_DEP_2)
	v_dual_cndmask_b32 v8, v12, v8 :: v_dual_lshlrev_b32 v15, 8, v9
	v_lshl_add_u32 v13, v13, 23, 0x37800000
	s_delay_alu instid0(VALU_DEP_2) | instskip(NEXT) | instid1(VALU_DEP_3)
	v_and_b32_e32 v12, 0x80000000, v15
	v_lshlrev_b32_e32 v8, 21, v8
	s_delay_alu instid0(VALU_DEP_1)
	v_or3_b32 v12, v12, v13, v8
.LBB6_13336:                            ;   in Loop: Header=BB6_12675 Depth=3
	s_or_b32 exec_lo, exec_lo, s30
	s_delay_alu instid0(VALU_DEP_1) | instskip(SKIP_2) | instid1(VALU_DEP_2)
	v_mul_f32_e32 v8, s17, v12
	v_mov_b32_e32 v178, 0x80
	s_mov_b32 s30, exec_lo
	v_and_b32_e32 v12, 0x7f800000, v8
	s_delay_alu instid0(VALU_DEP_1)
	v_cmpx_ne_u32_e32 0x7f800000, v12
	s_cbranch_execz .LBB6_13344
; %bb.13337:                            ;   in Loop: Header=BB6_12675 Depth=3
	v_mov_b32_e32 v178, 0
	s_mov_b32 s31, exec_lo
	v_cmpx_ne_u32_e32 0, v8
	s_cbranch_execz .LBB6_13343
; %bb.13338:                            ;   in Loop: Header=BB6_12675 Depth=3
	v_bfe_u32 v12, v8, 23, 8
	s_delay_alu instid0(VALU_DEP_1) | instskip(SKIP_1) | instid1(VALU_DEP_2)
	v_sub_nc_u32_e32 v14, 0x70, v12
	v_cmp_gt_u32_e32 vcc_lo, 0x71, v12
	v_dual_cndmask_b32 v14, 0, v14 :: v_dual_and_b32 v13, 0x7fffff, v8
	s_delay_alu instid0(VALU_DEP_1) | instskip(SKIP_2) | instid1(VALU_DEP_4)
	v_or_b32_e32 v15, 0x800000, v13
	v_cmp_eq_u32_e32 vcc_lo, 0, v12
	v_add_nc_u32_e32 v12, 0xffffff91, v12
	v_cndmask_b32_e64 v14, v14, 0x6f, vcc_lo
	s_delay_alu instid0(VALU_DEP_4) | instskip(NEXT) | instid1(VALU_DEP_3)
	v_cndmask_b32_e32 v13, v15, v13, vcc_lo
	v_cndmask_b32_e64 v12, v12, 0xffffff92, vcc_lo
	s_delay_alu instid0(VALU_DEP_3) | instskip(NEXT) | instid1(VALU_DEP_3)
	v_lshl_add_u32 v15, 0x200000, v14, -1
	v_lshrrev_b32_e32 v16, v14, v13
	v_lshlrev_b32_e64 v18, v14, 0x100000
	s_delay_alu instid0(VALU_DEP_4) | instskip(NEXT) | instid1(VALU_DEP_4)
	v_add_nc_u32_e32 v14, v14, v12
	v_and_b32_e32 v13, v15, v13
	s_delay_alu instid0(VALU_DEP_4) | instskip(NEXT) | instid1(VALU_DEP_2)
	v_bfe_u32 v17, v16, 21, 1
	v_cmp_eq_u32_e64 s13, v13, v18
	s_delay_alu instid0(VALU_DEP_2) | instskip(NEXT) | instid1(VALU_DEP_1)
	v_add_nc_u32_e32 v15, -1, v17
	v_cndmask_b32_e64 v13, 0, v15, s13
	v_lshrrev_b32_e32 v15, 23, v16
	s_mov_b32 s13, exec_lo
	s_delay_alu instid0(VALU_DEP_2) | instskip(NEXT) | instid1(VALU_DEP_2)
	v_add_nc_u32_e32 v13, v13, v16
	v_xor_b32_e32 v15, 1, v15
	s_delay_alu instid0(VALU_DEP_2) | instskip(NEXT) | instid1(VALU_DEP_1)
	v_and_b32_e32 v12, 0x1fffff, v13
	v_add_nc_u32_e32 v13, v12, v16
                                        ; implicit-def: $vgpr12
	s_delay_alu instid0(VALU_DEP_3)
	v_cmpx_ne_u32_e64 v14, v15
	s_xor_b32 s13, exec_lo, s13
; %bb.13339:                            ;   in Loop: Header=BB6_12675 Depth=3
	s_delay_alu instid0(VALU_DEP_2) | instskip(SKIP_2) | instid1(VALU_DEP_2)
	v_cmp_lt_u32_e32 vcc_lo, 0xffffff, v13
	v_sub_nc_u32_e32 v12, v14, v15
	v_cndmask_b32_e64 v14, 0, 1, vcc_lo
	v_add_co_ci_u32_e32 v12, vcc_lo, 0, v12, vcc_lo
	s_delay_alu instid0(VALU_DEP_2)
	v_lshrrev_b32_e32 v13, v14, v13
; %bb.13340:                            ;   in Loop: Header=BB6_12675 Depth=3
	s_and_not1_saveexec_b32 s13, s13
; %bb.13341:                            ;   in Loop: Header=BB6_12675 Depth=3
	s_delay_alu instid0(VALU_DEP_1)
	v_bfe_u32 v12, v13, 23, 1
; %bb.13342:                            ;   in Loop: Header=BB6_12675 Depth=3
	s_or_b32 exec_lo, exec_lo, s13
	v_lshrrev_b32_e32 v13, 21, v13
	s_delay_alu instid0(VALU_DEP_2) | instskip(SKIP_2) | instid1(VALU_DEP_2)
	v_cmp_gt_i32_e32 vcc_lo, 32, v12
	v_min_i32_e32 v14, 31, v12
	v_lshrrev_b32_e32 v8, 24, v8
	v_dual_cndmask_b32 v13, 3, v13 :: v_dual_lshlrev_b32 v14, 2, v14
	s_delay_alu instid0(VALU_DEP_2) | instskip(NEXT) | instid1(VALU_DEP_2)
	v_and_b32_e32 v8, 0x80, v8
	v_or_b32_e32 v12, v12, v13
	s_delay_alu instid0(VALU_DEP_3) | instskip(NEXT) | instid1(VALU_DEP_2)
	v_and_b32_e32 v14, 0xfc, v14
	v_cmp_ne_u32_e32 vcc_lo, 0, v12
	v_and_b32_e32 v15, 3, v13
	s_delay_alu instid0(VALU_DEP_1) | instskip(NEXT) | instid1(VALU_DEP_1)
	v_or3_b32 v8, v14, v8, v15
	v_cndmask_b32_e32 v178, 0, v8, vcc_lo
.LBB6_13343:                            ;   in Loop: Header=BB6_12675 Depth=3
	s_or_b32 exec_lo, exec_lo, s31
.LBB6_13344:                            ;   in Loop: Header=BB6_12675 Depth=3
	s_delay_alu instid0(SALU_CYCLE_1) | instskip(SKIP_3) | instid1(VALU_DEP_1)
	s_or_b32 exec_lo, exec_lo, s30
	v_lshrrev_b32_e32 v8, 24, v9
	s_mov_b32 s13, 0
	s_mov_b32 s31, exec_lo
                                        ; implicit-def: $sgpr30
	v_cmpx_lt_i16_e32 0x7f, v8
	s_xor_b32 s31, exec_lo, s31
	s_cbranch_execnz .LBB6_14694
; %bb.13345:                            ;   in Loop: Header=BB6_12675 Depth=3
	s_or_saveexec_b32 s31, s31
	v_mov_b32_e32 v12, s30
	s_xor_b32 exec_lo, exec_lo, s31
	s_cbranch_execnz .LBB6_14697
.LBB6_13346:                            ;   in Loop: Header=BB6_12675 Depth=3
	s_or_b32 exec_lo, exec_lo, s31
	s_and_saveexec_b32 s30, s13
	s_cbranch_execz .LBB6_13348
.LBB6_13347:                            ;   in Loop: Header=BB6_12675 Depth=3
	v_bfe_u32 v12, v9, 24, 2
	s_delay_alu instid0(VALU_DEP_1) | instskip(NEXT) | instid1(VALU_DEP_1)
	v_clz_i32_u32_e32 v13, v12
	v_min_u32_e32 v13, 32, v13
	s_delay_alu instid0(VALU_DEP_1) | instskip(SKIP_1) | instid1(VALU_DEP_2)
	v_subrev_nc_u32_e32 v14, 29, v13
	v_sub_nc_u32_e32 v13, 30, v13
	v_lshlrev_b32_e32 v8, v14, v8
	v_bfe_u32 v14, v9, 26, 5
	v_and_b32_e32 v9, 0x80000000, v9
	s_delay_alu instid0(VALU_DEP_2) | instskip(NEXT) | instid1(VALU_DEP_4)
	v_cmp_eq_u32_e32 vcc_lo, 0, v14
	v_dual_cndmask_b32 v13, v14, v13 :: v_dual_and_b32 v8, 3, v8
	s_delay_alu instid0(VALU_DEP_1) | instskip(NEXT) | instid1(VALU_DEP_2)
	v_cndmask_b32_e32 v8, v12, v8, vcc_lo
	v_lshl_add_u32 v12, v13, 23, 0x37800000
	s_delay_alu instid0(VALU_DEP_2) | instskip(NEXT) | instid1(VALU_DEP_1)
	v_lshlrev_b32_e32 v8, 21, v8
	v_or3_b32 v12, v9, v12, v8
.LBB6_13348:                            ;   in Loop: Header=BB6_12675 Depth=3
	s_or_b32 exec_lo, exec_lo, s30
	s_delay_alu instid0(VALU_DEP_1) | instskip(SKIP_2) | instid1(VALU_DEP_2)
	v_mul_f32_e32 v8, s17, v12
	v_mov_b32_e32 v52, 0x8000
	s_mov_b32 s30, exec_lo
	v_and_b32_e32 v9, 0x7f800000, v8
	s_delay_alu instid0(VALU_DEP_1)
	v_cmpx_ne_u32_e32 0x7f800000, v9
	s_cbranch_execz .LBB6_13356
; %bb.13349:                            ;   in Loop: Header=BB6_12675 Depth=3
	v_mov_b32_e32 v52, 0
	s_mov_b32 s31, exec_lo
	v_cmpx_ne_u32_e32 0, v8
	s_cbranch_execz .LBB6_13355
; %bb.13350:                            ;   in Loop: Header=BB6_12675 Depth=3
	v_bfe_u32 v9, v8, 23, 8
	s_delay_alu instid0(VALU_DEP_1) | instskip(SKIP_1) | instid1(VALU_DEP_2)
	v_sub_nc_u32_e32 v13, 0x70, v9
	v_cmp_gt_u32_e32 vcc_lo, 0x71, v9
	v_dual_cndmask_b32 v13, 0, v13 :: v_dual_and_b32 v12, 0x7fffff, v8
	s_delay_alu instid0(VALU_DEP_1) | instskip(SKIP_2) | instid1(VALU_DEP_4)
	v_or_b32_e32 v14, 0x800000, v12
	v_cmp_eq_u32_e32 vcc_lo, 0, v9
	v_add_nc_u32_e32 v9, 0xffffff91, v9
	v_cndmask_b32_e64 v13, v13, 0x6f, vcc_lo
	s_delay_alu instid0(VALU_DEP_4) | instskip(NEXT) | instid1(VALU_DEP_3)
	v_cndmask_b32_e32 v12, v14, v12, vcc_lo
	v_cndmask_b32_e64 v9, v9, 0xffffff92, vcc_lo
	s_delay_alu instid0(VALU_DEP_3) | instskip(NEXT) | instid1(VALU_DEP_3)
	v_lshl_add_u32 v14, 0x200000, v13, -1
	v_lshrrev_b32_e32 v15, v13, v12
	v_lshlrev_b32_e64 v17, v13, 0x100000
	s_delay_alu instid0(VALU_DEP_4) | instskip(NEXT) | instid1(VALU_DEP_4)
	v_add_nc_u32_e32 v13, v13, v9
	v_and_b32_e32 v12, v14, v12
	s_delay_alu instid0(VALU_DEP_4) | instskip(NEXT) | instid1(VALU_DEP_2)
	v_bfe_u32 v16, v15, 21, 1
	v_cmp_eq_u32_e64 s13, v12, v17
	s_delay_alu instid0(VALU_DEP_2) | instskip(NEXT) | instid1(VALU_DEP_1)
	v_add_nc_u32_e32 v14, -1, v16
	v_cndmask_b32_e64 v12, 0, v14, s13
	v_lshrrev_b32_e32 v14, 23, v15
	s_mov_b32 s13, exec_lo
	s_delay_alu instid0(VALU_DEP_2) | instskip(NEXT) | instid1(VALU_DEP_2)
	v_add_nc_u32_e32 v12, v12, v15
	v_xor_b32_e32 v14, 1, v14
	s_delay_alu instid0(VALU_DEP_2) | instskip(NEXT) | instid1(VALU_DEP_1)
	v_and_b32_e32 v9, 0x1fffff, v12
	v_add_nc_u32_e32 v12, v9, v15
                                        ; implicit-def: $vgpr9
	s_delay_alu instid0(VALU_DEP_3)
	v_cmpx_ne_u32_e64 v13, v14
	s_xor_b32 s13, exec_lo, s13
; %bb.13351:                            ;   in Loop: Header=BB6_12675 Depth=3
	s_delay_alu instid0(VALU_DEP_2) | instskip(SKIP_2) | instid1(VALU_DEP_2)
	v_cmp_lt_u32_e32 vcc_lo, 0xffffff, v12
	v_sub_nc_u32_e32 v9, v13, v14
	v_cndmask_b32_e64 v13, 0, 1, vcc_lo
	v_add_co_ci_u32_e32 v9, vcc_lo, 0, v9, vcc_lo
	s_delay_alu instid0(VALU_DEP_2)
	v_lshrrev_b32_e32 v12, v13, v12
; %bb.13352:                            ;   in Loop: Header=BB6_12675 Depth=3
	s_and_not1_saveexec_b32 s13, s13
; %bb.13353:                            ;   in Loop: Header=BB6_12675 Depth=3
	s_delay_alu instid0(VALU_DEP_1)
	v_bfe_u32 v9, v12, 23, 1
; %bb.13354:                            ;   in Loop: Header=BB6_12675 Depth=3
	s_or_b32 exec_lo, exec_lo, s13
	v_lshrrev_b32_e32 v12, 21, v12
	s_delay_alu instid0(VALU_DEP_2) | instskip(SKIP_2) | instid1(VALU_DEP_2)
	v_cmp_gt_i32_e32 vcc_lo, 32, v9
	v_min_i32_e32 v13, 31, v9
	v_lshrrev_b32_e32 v8, 24, v8
	v_dual_cndmask_b32 v12, 3, v12 :: v_dual_lshlrev_b32 v13, 2, v13
	s_delay_alu instid0(VALU_DEP_2) | instskip(NEXT) | instid1(VALU_DEP_2)
	v_and_b32_e32 v8, 0x80, v8
	v_or_b32_e32 v9, v9, v12
	v_and_b32_e32 v14, 3, v12
	s_delay_alu instid0(VALU_DEP_2) | instskip(SKIP_1) | instid1(VALU_DEP_1)
	v_cmp_ne_u32_e32 vcc_lo, 0, v9
	v_and_b32_e32 v13, 0xfc, v13
	v_or3_b32 v8, v8, v13, v14
	s_delay_alu instid0(VALU_DEP_1) | instskip(NEXT) | instid1(VALU_DEP_1)
	v_lshlrev_b32_e32 v8, 8, v8
	v_cndmask_b32_e32 v52, 0, v8, vcc_lo
.LBB6_13355:                            ;   in Loop: Header=BB6_12675 Depth=3
	s_or_b32 exec_lo, exec_lo, s31
.LBB6_13356:                            ;   in Loop: Header=BB6_12675 Depth=3
	s_delay_alu instid0(SALU_CYCLE_1) | instskip(SKIP_3) | instid1(VALU_DEP_1)
	s_or_b32 exec_lo, exec_lo, s30
	v_and_b32_e32 v9, 0xff, v10
	s_mov_b32 s13, 0
	s_mov_b32 s31, exec_lo
                                        ; implicit-def: $sgpr30
	v_cmpx_lt_i16_e32 0x7f, v9
	s_xor_b32 s31, exec_lo, s31
	s_cbranch_execnz .LBB6_14698
; %bb.13357:                            ;   in Loop: Header=BB6_12675 Depth=3
	s_or_saveexec_b32 s31, s31
	v_mov_b32_e32 v8, s30
	s_xor_b32 exec_lo, exec_lo, s31
	s_cbranch_execnz .LBB6_14701
.LBB6_13358:                            ;   in Loop: Header=BB6_12675 Depth=3
	s_or_b32 exec_lo, exec_lo, s31
	s_and_saveexec_b32 s30, s13
	s_cbranch_execz .LBB6_13360
.LBB6_13359:                            ;   in Loop: Header=BB6_12675 Depth=3
	v_bfe_u32 v13, v10, 2, 5
	v_lshlrev_b32_e32 v14, 24, v10
	s_delay_alu instid0(VALU_DEP_2) | instskip(SKIP_1) | instid1(VALU_DEP_1)
	v_cmp_eq_u32_e32 vcc_lo, 0, v13
	v_and_b32_e32 v8, 3, v10
	v_clz_i32_u32_e32 v9, v8
	s_delay_alu instid0(VALU_DEP_1) | instskip(NEXT) | instid1(VALU_DEP_1)
	v_min_u32_e32 v9, 32, v9
	v_subrev_nc_u32_e32 v12, 29, v9
	v_sub_nc_u32_e32 v9, 30, v9
	s_delay_alu instid0(VALU_DEP_1) | instskip(NEXT) | instid1(VALU_DEP_1)
	v_dual_cndmask_b32 v9, v13, v9 :: v_dual_lshlrev_b32 v12, v12, v10
	v_and_b32_e32 v12, 3, v12
	s_delay_alu instid0(VALU_DEP_2) | instskip(NEXT) | instid1(VALU_DEP_2)
	v_lshl_add_u32 v9, v9, 23, 0x37800000
	v_cndmask_b32_e32 v8, v8, v12, vcc_lo
	v_and_b32_e32 v12, 0x80000000, v14
	s_delay_alu instid0(VALU_DEP_2) | instskip(NEXT) | instid1(VALU_DEP_1)
	v_lshlrev_b32_e32 v8, 21, v8
	v_or3_b32 v8, v12, v9, v8
.LBB6_13360:                            ;   in Loop: Header=BB6_12675 Depth=3
	s_or_b32 exec_lo, exec_lo, s30
	s_delay_alu instid0(VALU_DEP_1) | instskip(SKIP_1) | instid1(VALU_DEP_1)
	v_dual_mul_f32 v8, s17, v8 :: v_dual_mov_b32 v177, 0x80
	s_mov_b32 s30, exec_lo
	v_and_b32_e32 v9, 0x7f800000, v8
	s_delay_alu instid0(VALU_DEP_1)
	v_cmpx_ne_u32_e32 0x7f800000, v9
	s_cbranch_execz .LBB6_13368
; %bb.13361:                            ;   in Loop: Header=BB6_12675 Depth=3
	v_mov_b32_e32 v177, 0
	s_mov_b32 s31, exec_lo
	v_cmpx_ne_u32_e32 0, v8
	s_cbranch_execz .LBB6_13367
; %bb.13362:                            ;   in Loop: Header=BB6_12675 Depth=3
	v_bfe_u32 v9, v8, 23, 8
	s_delay_alu instid0(VALU_DEP_1) | instskip(SKIP_1) | instid1(VALU_DEP_2)
	v_sub_nc_u32_e32 v13, 0x70, v9
	v_cmp_gt_u32_e32 vcc_lo, 0x71, v9
	v_dual_cndmask_b32 v13, 0, v13 :: v_dual_and_b32 v12, 0x7fffff, v8
	s_delay_alu instid0(VALU_DEP_1) | instskip(SKIP_2) | instid1(VALU_DEP_4)
	v_or_b32_e32 v14, 0x800000, v12
	v_cmp_eq_u32_e32 vcc_lo, 0, v9
	v_add_nc_u32_e32 v9, 0xffffff91, v9
	v_cndmask_b32_e64 v13, v13, 0x6f, vcc_lo
	s_delay_alu instid0(VALU_DEP_4) | instskip(NEXT) | instid1(VALU_DEP_3)
	v_cndmask_b32_e32 v12, v14, v12, vcc_lo
	v_cndmask_b32_e64 v9, v9, 0xffffff92, vcc_lo
	s_delay_alu instid0(VALU_DEP_3) | instskip(NEXT) | instid1(VALU_DEP_3)
	v_lshl_add_u32 v14, 0x200000, v13, -1
	v_lshrrev_b32_e32 v15, v13, v12
	v_lshlrev_b32_e64 v17, v13, 0x100000
	s_delay_alu instid0(VALU_DEP_4) | instskip(NEXT) | instid1(VALU_DEP_4)
	v_add_nc_u32_e32 v13, v13, v9
	v_and_b32_e32 v12, v14, v12
	s_delay_alu instid0(VALU_DEP_4) | instskip(NEXT) | instid1(VALU_DEP_2)
	v_bfe_u32 v16, v15, 21, 1
	v_cmp_eq_u32_e64 s13, v12, v17
	s_delay_alu instid0(VALU_DEP_2) | instskip(NEXT) | instid1(VALU_DEP_1)
	v_add_nc_u32_e32 v14, -1, v16
	v_cndmask_b32_e64 v12, 0, v14, s13
	v_lshrrev_b32_e32 v14, 23, v15
	s_mov_b32 s13, exec_lo
	s_delay_alu instid0(VALU_DEP_2) | instskip(NEXT) | instid1(VALU_DEP_2)
	v_add_nc_u32_e32 v12, v12, v15
	v_xor_b32_e32 v14, 1, v14
	s_delay_alu instid0(VALU_DEP_2) | instskip(NEXT) | instid1(VALU_DEP_1)
	v_and_b32_e32 v9, 0x1fffff, v12
	v_add_nc_u32_e32 v12, v9, v15
                                        ; implicit-def: $vgpr9
	s_delay_alu instid0(VALU_DEP_3)
	v_cmpx_ne_u32_e64 v13, v14
	s_xor_b32 s13, exec_lo, s13
; %bb.13363:                            ;   in Loop: Header=BB6_12675 Depth=3
	s_delay_alu instid0(VALU_DEP_2) | instskip(SKIP_2) | instid1(VALU_DEP_2)
	v_cmp_lt_u32_e32 vcc_lo, 0xffffff, v12
	v_sub_nc_u32_e32 v9, v13, v14
	v_cndmask_b32_e64 v13, 0, 1, vcc_lo
	v_add_co_ci_u32_e32 v9, vcc_lo, 0, v9, vcc_lo
	s_delay_alu instid0(VALU_DEP_2)
	v_lshrrev_b32_e32 v12, v13, v12
; %bb.13364:                            ;   in Loop: Header=BB6_12675 Depth=3
	s_and_not1_saveexec_b32 s13, s13
; %bb.13365:                            ;   in Loop: Header=BB6_12675 Depth=3
	s_delay_alu instid0(VALU_DEP_1)
	v_bfe_u32 v9, v12, 23, 1
; %bb.13366:                            ;   in Loop: Header=BB6_12675 Depth=3
	s_or_b32 exec_lo, exec_lo, s13
	v_lshrrev_b32_e32 v12, 21, v12
	s_delay_alu instid0(VALU_DEP_2) | instskip(SKIP_2) | instid1(VALU_DEP_4)
	v_cmp_gt_i32_e32 vcc_lo, 32, v9
	v_lshrrev_b32_e32 v8, 24, v8
	v_min_i32_e32 v13, 31, v9
	v_cndmask_b32_e32 v12, 3, v12, vcc_lo
	s_delay_alu instid0(VALU_DEP_3) | instskip(NEXT) | instid1(VALU_DEP_3)
	v_and_b32_e32 v8, 0x80, v8
	v_lshlrev_b32_e32 v13, 2, v13
	s_delay_alu instid0(VALU_DEP_3) | instskip(SKIP_1) | instid1(VALU_DEP_2)
	v_and_b32_e32 v14, 3, v12
	v_or_b32_e32 v9, v9, v12
	v_or3_b32 v8, v13, v8, v14
	s_delay_alu instid0(VALU_DEP_2) | instskip(NEXT) | instid1(VALU_DEP_2)
	v_cmp_ne_u32_e32 vcc_lo, 0, v9
	v_cndmask_b32_e32 v177, 0, v8, vcc_lo
.LBB6_13367:                            ;   in Loop: Header=BB6_12675 Depth=3
	s_or_b32 exec_lo, exec_lo, s31
.LBB6_13368:                            ;   in Loop: Header=BB6_12675 Depth=3
	s_delay_alu instid0(SALU_CYCLE_1) | instskip(SKIP_3) | instid1(VALU_DEP_1)
	s_or_b32 exec_lo, exec_lo, s30
	v_lshrrev_b16 v8, 8, v10
	s_mov_b32 s13, 0
	s_mov_b32 s31, exec_lo
                                        ; implicit-def: $sgpr30
	v_cmpx_lt_i16_e32 0x7f, v8
	s_xor_b32 s31, exec_lo, s31
	s_cbranch_execnz .LBB6_14702
; %bb.13369:                            ;   in Loop: Header=BB6_12675 Depth=3
	s_or_saveexec_b32 s31, s31
	v_mov_b32_e32 v9, s30
	s_xor_b32 exec_lo, exec_lo, s31
	s_cbranch_execnz .LBB6_14705
.LBB6_13370:                            ;   in Loop: Header=BB6_12675 Depth=3
	s_or_b32 exec_lo, exec_lo, s31
	s_and_saveexec_b32 s30, s13
	s_cbranch_execz .LBB6_13372
.LBB6_13371:                            ;   in Loop: Header=BB6_12675 Depth=3
	v_and_b32_e32 v9, 0xffff, v8
	v_lshlrev_b32_e32 v8, 24, v8
	s_delay_alu instid0(VALU_DEP_2) | instskip(NEXT) | instid1(VALU_DEP_2)
	v_and_b32_e32 v12, 3, v9
	v_and_b32_e32 v8, 0x80000000, v8
	s_delay_alu instid0(VALU_DEP_2) | instskip(NEXT) | instid1(VALU_DEP_1)
	v_clz_i32_u32_e32 v13, v12
	v_min_u32_e32 v13, 32, v13
	s_delay_alu instid0(VALU_DEP_1) | instskip(SKIP_1) | instid1(VALU_DEP_2)
	v_subrev_nc_u32_e32 v14, 29, v13
	v_sub_nc_u32_e32 v13, 30, v13
	v_lshlrev_b32_e32 v14, v14, v9
	v_bfe_u32 v9, v9, 2, 5
	s_delay_alu instid0(VALU_DEP_1) | instskip(NEXT) | instid1(VALU_DEP_3)
	v_cmp_eq_u32_e32 vcc_lo, 0, v9
	v_dual_cndmask_b32 v9, v9, v13 :: v_dual_and_b32 v14, 3, v14
	s_delay_alu instid0(VALU_DEP_1) | instskip(NEXT) | instid1(VALU_DEP_2)
	v_cndmask_b32_e32 v12, v12, v14, vcc_lo
	v_lshl_add_u32 v9, v9, 23, 0x37800000
	s_delay_alu instid0(VALU_DEP_2) | instskip(NEXT) | instid1(VALU_DEP_1)
	v_lshlrev_b32_e32 v12, 21, v12
	v_or3_b32 v9, v8, v9, v12
.LBB6_13372:                            ;   in Loop: Header=BB6_12675 Depth=3
	s_or_b32 exec_lo, exec_lo, s30
	s_delay_alu instid0(VALU_DEP_1) | instskip(SKIP_2) | instid1(VALU_DEP_2)
	v_mul_f32_e32 v8, s17, v9
	v_mov_b32_e32 v166, 0x80
	s_mov_b32 s30, exec_lo
	v_and_b32_e32 v9, 0x7f800000, v8
	s_delay_alu instid0(VALU_DEP_1)
	v_cmpx_ne_u32_e32 0x7f800000, v9
	s_cbranch_execz .LBB6_13380
; %bb.13373:                            ;   in Loop: Header=BB6_12675 Depth=3
	v_mov_b32_e32 v166, 0
	s_mov_b32 s31, exec_lo
	v_cmpx_ne_u32_e32 0, v8
	s_cbranch_execz .LBB6_13379
; %bb.13374:                            ;   in Loop: Header=BB6_12675 Depth=3
	v_bfe_u32 v9, v8, 23, 8
	s_delay_alu instid0(VALU_DEP_1) | instskip(SKIP_1) | instid1(VALU_DEP_2)
	v_sub_nc_u32_e32 v13, 0x70, v9
	v_cmp_gt_u32_e32 vcc_lo, 0x71, v9
	v_dual_cndmask_b32 v13, 0, v13 :: v_dual_and_b32 v12, 0x7fffff, v8
	s_delay_alu instid0(VALU_DEP_1) | instskip(SKIP_2) | instid1(VALU_DEP_4)
	v_or_b32_e32 v14, 0x800000, v12
	v_cmp_eq_u32_e32 vcc_lo, 0, v9
	v_add_nc_u32_e32 v9, 0xffffff91, v9
	v_cndmask_b32_e64 v13, v13, 0x6f, vcc_lo
	s_delay_alu instid0(VALU_DEP_4) | instskip(NEXT) | instid1(VALU_DEP_3)
	v_cndmask_b32_e32 v12, v14, v12, vcc_lo
	v_cndmask_b32_e64 v9, v9, 0xffffff92, vcc_lo
	s_delay_alu instid0(VALU_DEP_3) | instskip(NEXT) | instid1(VALU_DEP_3)
	v_lshl_add_u32 v14, 0x200000, v13, -1
	v_lshrrev_b32_e32 v15, v13, v12
	v_lshlrev_b32_e64 v17, v13, 0x100000
	s_delay_alu instid0(VALU_DEP_4) | instskip(NEXT) | instid1(VALU_DEP_4)
	v_add_nc_u32_e32 v13, v13, v9
	v_and_b32_e32 v12, v14, v12
	s_delay_alu instid0(VALU_DEP_4) | instskip(NEXT) | instid1(VALU_DEP_2)
	v_bfe_u32 v16, v15, 21, 1
	v_cmp_eq_u32_e64 s13, v12, v17
	s_delay_alu instid0(VALU_DEP_2) | instskip(NEXT) | instid1(VALU_DEP_1)
	v_add_nc_u32_e32 v14, -1, v16
	v_cndmask_b32_e64 v12, 0, v14, s13
	v_lshrrev_b32_e32 v14, 23, v15
	s_mov_b32 s13, exec_lo
	s_delay_alu instid0(VALU_DEP_2) | instskip(NEXT) | instid1(VALU_DEP_2)
	v_add_nc_u32_e32 v12, v12, v15
	v_xor_b32_e32 v14, 1, v14
	s_delay_alu instid0(VALU_DEP_2) | instskip(NEXT) | instid1(VALU_DEP_1)
	v_and_b32_e32 v9, 0x1fffff, v12
	v_add_nc_u32_e32 v12, v9, v15
                                        ; implicit-def: $vgpr9
	s_delay_alu instid0(VALU_DEP_3)
	v_cmpx_ne_u32_e64 v13, v14
	s_xor_b32 s13, exec_lo, s13
; %bb.13375:                            ;   in Loop: Header=BB6_12675 Depth=3
	s_delay_alu instid0(VALU_DEP_2) | instskip(SKIP_2) | instid1(VALU_DEP_2)
	v_cmp_lt_u32_e32 vcc_lo, 0xffffff, v12
	v_sub_nc_u32_e32 v9, v13, v14
	v_cndmask_b32_e64 v13, 0, 1, vcc_lo
	v_add_co_ci_u32_e32 v9, vcc_lo, 0, v9, vcc_lo
	s_delay_alu instid0(VALU_DEP_2)
	v_lshrrev_b32_e32 v12, v13, v12
; %bb.13376:                            ;   in Loop: Header=BB6_12675 Depth=3
	s_and_not1_saveexec_b32 s13, s13
; %bb.13377:                            ;   in Loop: Header=BB6_12675 Depth=3
	s_delay_alu instid0(VALU_DEP_1)
	v_bfe_u32 v9, v12, 23, 1
; %bb.13378:                            ;   in Loop: Header=BB6_12675 Depth=3
	s_or_b32 exec_lo, exec_lo, s13
	v_lshrrev_b32_e32 v12, 21, v12
	s_delay_alu instid0(VALU_DEP_2) | instskip(SKIP_2) | instid1(VALU_DEP_4)
	v_cmp_gt_i32_e32 vcc_lo, 32, v9
	v_lshrrev_b32_e32 v8, 24, v8
	v_min_i32_e32 v13, 31, v9
	v_cndmask_b32_e32 v12, 3, v12, vcc_lo
	s_delay_alu instid0(VALU_DEP_3) | instskip(NEXT) | instid1(VALU_DEP_3)
	v_and_b32_e32 v8, 0x80, v8
	v_lshlrev_b32_e32 v13, 2, v13
	s_delay_alu instid0(VALU_DEP_3) | instskip(SKIP_1) | instid1(VALU_DEP_2)
	v_and_b32_e32 v14, 3, v12
	v_or_b32_e32 v9, v9, v12
	v_or3_b32 v8, v13, v8, v14
	s_delay_alu instid0(VALU_DEP_2) | instskip(NEXT) | instid1(VALU_DEP_2)
	v_cmp_ne_u32_e32 vcc_lo, 0, v9
	v_cndmask_b32_e32 v166, 0, v8, vcc_lo
.LBB6_13379:                            ;   in Loop: Header=BB6_12675 Depth=3
	s_or_b32 exec_lo, exec_lo, s31
.LBB6_13380:                            ;   in Loop: Header=BB6_12675 Depth=3
	s_delay_alu instid0(SALU_CYCLE_1) | instskip(SKIP_3) | instid1(VALU_DEP_1)
	s_or_b32 exec_lo, exec_lo, s30
	v_lshrrev_b32_e32 v8, 16, v10
	s_mov_b32 s13, 0
	s_mov_b32 s31, exec_lo
                                        ; implicit-def: $sgpr30
	v_and_b32_e32 v12, 0xff, v8
	s_delay_alu instid0(VALU_DEP_1)
	v_cmpx_lt_i16_e32 0x7f, v12
	s_xor_b32 s31, exec_lo, s31
	s_cbranch_execnz .LBB6_14706
; %bb.13381:                            ;   in Loop: Header=BB6_12675 Depth=3
	s_or_saveexec_b32 s31, s31
	v_mov_b32_e32 v9, s30
	s_xor_b32 exec_lo, exec_lo, s31
	s_cbranch_execnz .LBB6_14709
.LBB6_13382:                            ;   in Loop: Header=BB6_12675 Depth=3
	s_or_b32 exec_lo, exec_lo, s31
	s_and_saveexec_b32 s30, s13
	s_cbranch_execz .LBB6_13384
.LBB6_13383:                            ;   in Loop: Header=BB6_12675 Depth=3
	v_bfe_u32 v9, v10, 16, 2
	v_lshlrev_b32_e32 v14, 8, v10
	s_delay_alu instid0(VALU_DEP_2) | instskip(NEXT) | instid1(VALU_DEP_1)
	v_clz_i32_u32_e32 v12, v9
	v_min_u32_e32 v12, 32, v12
	s_delay_alu instid0(VALU_DEP_1) | instskip(SKIP_1) | instid1(VALU_DEP_2)
	v_subrev_nc_u32_e32 v13, 29, v12
	v_sub_nc_u32_e32 v12, 30, v12
	v_lshlrev_b32_e32 v8, v13, v8
	v_bfe_u32 v13, v10, 18, 5
	s_delay_alu instid0(VALU_DEP_2) | instskip(NEXT) | instid1(VALU_DEP_2)
	v_and_b32_e32 v8, 3, v8
	v_cmp_eq_u32_e32 vcc_lo, 0, v13
	v_cndmask_b32_e32 v12, v13, v12, vcc_lo
	s_delay_alu instid0(VALU_DEP_3) | instskip(NEXT) | instid1(VALU_DEP_2)
	v_dual_cndmask_b32 v8, v9, v8 :: v_dual_and_b32 v9, 0x80000000, v14
	v_lshl_add_u32 v12, v12, 23, 0x37800000
	s_delay_alu instid0(VALU_DEP_2) | instskip(NEXT) | instid1(VALU_DEP_1)
	v_lshlrev_b32_e32 v8, 21, v8
	v_or3_b32 v9, v9, v12, v8
.LBB6_13384:                            ;   in Loop: Header=BB6_12675 Depth=3
	s_or_b32 exec_lo, exec_lo, s30
	s_delay_alu instid0(VALU_DEP_1) | instskip(SKIP_1) | instid1(VALU_DEP_1)
	v_dual_mul_f32 v8, s17, v9 :: v_dual_mov_b32 v165, 0x80
	s_mov_b32 s30, exec_lo
	v_and_b32_e32 v9, 0x7f800000, v8
	s_delay_alu instid0(VALU_DEP_1)
	v_cmpx_ne_u32_e32 0x7f800000, v9
	s_cbranch_execz .LBB6_13392
; %bb.13385:                            ;   in Loop: Header=BB6_12675 Depth=3
	v_mov_b32_e32 v165, 0
	s_mov_b32 s31, exec_lo
	v_cmpx_ne_u32_e32 0, v8
	s_cbranch_execz .LBB6_13391
; %bb.13386:                            ;   in Loop: Header=BB6_12675 Depth=3
	v_bfe_u32 v9, v8, 23, 8
	s_delay_alu instid0(VALU_DEP_1) | instskip(SKIP_1) | instid1(VALU_DEP_2)
	v_sub_nc_u32_e32 v13, 0x70, v9
	v_cmp_gt_u32_e32 vcc_lo, 0x71, v9
	v_dual_cndmask_b32 v13, 0, v13 :: v_dual_and_b32 v12, 0x7fffff, v8
	s_delay_alu instid0(VALU_DEP_1) | instskip(SKIP_2) | instid1(VALU_DEP_4)
	v_or_b32_e32 v14, 0x800000, v12
	v_cmp_eq_u32_e32 vcc_lo, 0, v9
	v_add_nc_u32_e32 v9, 0xffffff91, v9
	v_cndmask_b32_e64 v13, v13, 0x6f, vcc_lo
	s_delay_alu instid0(VALU_DEP_4) | instskip(NEXT) | instid1(VALU_DEP_3)
	v_cndmask_b32_e32 v12, v14, v12, vcc_lo
	v_cndmask_b32_e64 v9, v9, 0xffffff92, vcc_lo
	s_delay_alu instid0(VALU_DEP_3) | instskip(NEXT) | instid1(VALU_DEP_3)
	v_lshl_add_u32 v14, 0x200000, v13, -1
	v_lshrrev_b32_e32 v15, v13, v12
	v_lshlrev_b32_e64 v17, v13, 0x100000
	s_delay_alu instid0(VALU_DEP_4) | instskip(NEXT) | instid1(VALU_DEP_4)
	v_add_nc_u32_e32 v13, v13, v9
	v_and_b32_e32 v12, v14, v12
	s_delay_alu instid0(VALU_DEP_4) | instskip(NEXT) | instid1(VALU_DEP_2)
	v_bfe_u32 v16, v15, 21, 1
	v_cmp_eq_u32_e64 s13, v12, v17
	s_delay_alu instid0(VALU_DEP_2) | instskip(NEXT) | instid1(VALU_DEP_1)
	v_add_nc_u32_e32 v14, -1, v16
	v_cndmask_b32_e64 v12, 0, v14, s13
	v_lshrrev_b32_e32 v14, 23, v15
	s_mov_b32 s13, exec_lo
	s_delay_alu instid0(VALU_DEP_2) | instskip(NEXT) | instid1(VALU_DEP_2)
	v_add_nc_u32_e32 v12, v12, v15
	v_xor_b32_e32 v14, 1, v14
	s_delay_alu instid0(VALU_DEP_2) | instskip(NEXT) | instid1(VALU_DEP_1)
	v_and_b32_e32 v9, 0x1fffff, v12
	v_add_nc_u32_e32 v12, v9, v15
                                        ; implicit-def: $vgpr9
	s_delay_alu instid0(VALU_DEP_3)
	v_cmpx_ne_u32_e64 v13, v14
	s_xor_b32 s13, exec_lo, s13
; %bb.13387:                            ;   in Loop: Header=BB6_12675 Depth=3
	s_delay_alu instid0(VALU_DEP_2) | instskip(SKIP_2) | instid1(VALU_DEP_2)
	v_cmp_lt_u32_e32 vcc_lo, 0xffffff, v12
	v_sub_nc_u32_e32 v9, v13, v14
	v_cndmask_b32_e64 v13, 0, 1, vcc_lo
	v_add_co_ci_u32_e32 v9, vcc_lo, 0, v9, vcc_lo
	s_delay_alu instid0(VALU_DEP_2)
	v_lshrrev_b32_e32 v12, v13, v12
; %bb.13388:                            ;   in Loop: Header=BB6_12675 Depth=3
	s_and_not1_saveexec_b32 s13, s13
; %bb.13389:                            ;   in Loop: Header=BB6_12675 Depth=3
	s_delay_alu instid0(VALU_DEP_1)
	v_bfe_u32 v9, v12, 23, 1
; %bb.13390:                            ;   in Loop: Header=BB6_12675 Depth=3
	s_or_b32 exec_lo, exec_lo, s13
	v_lshrrev_b32_e32 v12, 21, v12
	s_delay_alu instid0(VALU_DEP_2) | instskip(SKIP_2) | instid1(VALU_DEP_4)
	v_cmp_gt_i32_e32 vcc_lo, 32, v9
	v_lshrrev_b32_e32 v8, 24, v8
	v_min_i32_e32 v13, 31, v9
	v_cndmask_b32_e32 v12, 3, v12, vcc_lo
	s_delay_alu instid0(VALU_DEP_3) | instskip(NEXT) | instid1(VALU_DEP_3)
	v_and_b32_e32 v8, 0x80, v8
	v_lshlrev_b32_e32 v13, 2, v13
	s_delay_alu instid0(VALU_DEP_3) | instskip(SKIP_1) | instid1(VALU_DEP_2)
	v_and_b32_e32 v14, 3, v12
	v_or_b32_e32 v9, v9, v12
	v_or3_b32 v8, v13, v8, v14
	s_delay_alu instid0(VALU_DEP_2) | instskip(NEXT) | instid1(VALU_DEP_2)
	v_cmp_ne_u32_e32 vcc_lo, 0, v9
	v_cndmask_b32_e32 v165, 0, v8, vcc_lo
.LBB6_13391:                            ;   in Loop: Header=BB6_12675 Depth=3
	s_or_b32 exec_lo, exec_lo, s31
.LBB6_13392:                            ;   in Loop: Header=BB6_12675 Depth=3
	s_delay_alu instid0(SALU_CYCLE_1) | instskip(SKIP_3) | instid1(VALU_DEP_1)
	s_or_b32 exec_lo, exec_lo, s30
	v_lshrrev_b32_e32 v8, 24, v10
	s_mov_b32 s13, 0
	s_mov_b32 s31, exec_lo
                                        ; implicit-def: $sgpr30
	v_cmpx_lt_i16_e32 0x7f, v8
	s_xor_b32 s31, exec_lo, s31
	s_cbranch_execnz .LBB6_14710
; %bb.13393:                            ;   in Loop: Header=BB6_12675 Depth=3
	s_or_saveexec_b32 s31, s31
	v_mov_b32_e32 v9, s30
	s_xor_b32 exec_lo, exec_lo, s31
	s_cbranch_execnz .LBB6_14713
.LBB6_13394:                            ;   in Loop: Header=BB6_12675 Depth=3
	s_or_b32 exec_lo, exec_lo, s31
	s_and_saveexec_b32 s30, s13
	s_cbranch_execz .LBB6_13396
.LBB6_13395:                            ;   in Loop: Header=BB6_12675 Depth=3
	v_bfe_u32 v9, v10, 24, 2
	s_delay_alu instid0(VALU_DEP_1) | instskip(NEXT) | instid1(VALU_DEP_1)
	v_clz_i32_u32_e32 v12, v9
	v_min_u32_e32 v12, 32, v12
	s_delay_alu instid0(VALU_DEP_1) | instskip(SKIP_1) | instid1(VALU_DEP_2)
	v_subrev_nc_u32_e32 v13, 29, v12
	v_sub_nc_u32_e32 v12, 30, v12
	v_lshlrev_b32_e32 v8, v13, v8
	v_bfe_u32 v13, v10, 26, 5
	s_delay_alu instid0(VALU_DEP_2) | instskip(NEXT) | instid1(VALU_DEP_2)
	v_and_b32_e32 v8, 3, v8
	v_cmp_eq_u32_e32 vcc_lo, 0, v13
	v_cndmask_b32_e32 v12, v13, v12, vcc_lo
	s_delay_alu instid0(VALU_DEP_3) | instskip(NEXT) | instid1(VALU_DEP_2)
	v_dual_cndmask_b32 v8, v9, v8 :: v_dual_and_b32 v9, 0x80000000, v10
	v_lshl_add_u32 v10, v12, 23, 0x37800000
	s_delay_alu instid0(VALU_DEP_2) | instskip(NEXT) | instid1(VALU_DEP_1)
	v_lshlrev_b32_e32 v8, 21, v8
	v_or3_b32 v9, v9, v10, v8
.LBB6_13396:                            ;   in Loop: Header=BB6_12675 Depth=3
	s_or_b32 exec_lo, exec_lo, s30
	s_delay_alu instid0(VALU_DEP_1) | instskip(SKIP_1) | instid1(VALU_DEP_1)
	v_dual_mul_f32 v8, s17, v9 :: v_dual_mov_b32 v163, 0x80
	s_mov_b32 s30, exec_lo
	v_and_b32_e32 v9, 0x7f800000, v8
	s_delay_alu instid0(VALU_DEP_1)
	v_cmpx_ne_u32_e32 0x7f800000, v9
	s_cbranch_execz .LBB6_13404
; %bb.13397:                            ;   in Loop: Header=BB6_12675 Depth=3
	v_mov_b32_e32 v163, 0
	s_mov_b32 s31, exec_lo
	v_cmpx_ne_u32_e32 0, v8
	s_cbranch_execz .LBB6_13403
; %bb.13398:                            ;   in Loop: Header=BB6_12675 Depth=3
	v_bfe_u32 v9, v8, 23, 8
	v_and_b32_e32 v10, 0x7fffff, v8
	s_delay_alu instid0(VALU_DEP_2) | instskip(SKIP_1) | instid1(VALU_DEP_3)
	v_sub_nc_u32_e32 v12, 0x70, v9
	v_cmp_gt_u32_e32 vcc_lo, 0x71, v9
	v_or_b32_e32 v13, 0x800000, v10
	s_delay_alu instid0(VALU_DEP_3) | instskip(SKIP_2) | instid1(VALU_DEP_3)
	v_cndmask_b32_e32 v12, 0, v12, vcc_lo
	v_cmp_eq_u32_e32 vcc_lo, 0, v9
	v_add_nc_u32_e32 v9, 0xffffff91, v9
	v_cndmask_b32_e64 v12, v12, 0x6f, vcc_lo
	v_cndmask_b32_e32 v10, v13, v10, vcc_lo
	s_delay_alu instid0(VALU_DEP_3) | instskip(NEXT) | instid1(VALU_DEP_3)
	v_cndmask_b32_e64 v9, v9, 0xffffff92, vcc_lo
	v_lshl_add_u32 v13, 0x200000, v12, -1
	s_delay_alu instid0(VALU_DEP_3) | instskip(SKIP_1) | instid1(VALU_DEP_4)
	v_lshrrev_b32_e32 v14, v12, v10
	v_lshlrev_b32_e64 v16, v12, 0x100000
	v_add_nc_u32_e32 v12, v12, v9
	s_delay_alu instid0(VALU_DEP_4) | instskip(NEXT) | instid1(VALU_DEP_4)
	v_and_b32_e32 v10, v13, v10
	v_bfe_u32 v15, v14, 21, 1
	s_delay_alu instid0(VALU_DEP_2) | instskip(NEXT) | instid1(VALU_DEP_2)
	v_cmp_eq_u32_e64 s13, v10, v16
	v_add_nc_u32_e32 v13, -1, v15
	s_delay_alu instid0(VALU_DEP_1) | instskip(SKIP_2) | instid1(VALU_DEP_2)
	v_cndmask_b32_e64 v10, 0, v13, s13
	v_lshrrev_b32_e32 v13, 23, v14
	s_mov_b32 s13, exec_lo
	v_add_nc_u32_e32 v10, v10, v14
	s_delay_alu instid0(VALU_DEP_2) | instskip(NEXT) | instid1(VALU_DEP_2)
	v_xor_b32_e32 v13, 1, v13
	v_and_b32_e32 v9, 0x1fffff, v10
	s_delay_alu instid0(VALU_DEP_1) | instskip(NEXT) | instid1(VALU_DEP_3)
	v_add_nc_u32_e32 v10, v9, v14
                                        ; implicit-def: $vgpr9
	v_cmpx_ne_u32_e64 v12, v13
	s_xor_b32 s13, exec_lo, s13
; %bb.13399:                            ;   in Loop: Header=BB6_12675 Depth=3
	s_delay_alu instid0(VALU_DEP_2) | instskip(SKIP_2) | instid1(VALU_DEP_2)
	v_cmp_lt_u32_e32 vcc_lo, 0xffffff, v10
	v_sub_nc_u32_e32 v9, v12, v13
	v_cndmask_b32_e64 v12, 0, 1, vcc_lo
	v_add_co_ci_u32_e32 v9, vcc_lo, 0, v9, vcc_lo
	s_delay_alu instid0(VALU_DEP_2)
	v_lshrrev_b32_e32 v10, v12, v10
; %bb.13400:                            ;   in Loop: Header=BB6_12675 Depth=3
	s_and_not1_saveexec_b32 s13, s13
; %bb.13401:                            ;   in Loop: Header=BB6_12675 Depth=3
	s_delay_alu instid0(VALU_DEP_1)
	v_bfe_u32 v9, v10, 23, 1
; %bb.13402:                            ;   in Loop: Header=BB6_12675 Depth=3
	s_or_b32 exec_lo, exec_lo, s13
	v_lshrrev_b32_e32 v10, 21, v10
	s_delay_alu instid0(VALU_DEP_2) | instskip(SKIP_2) | instid1(VALU_DEP_4)
	v_cmp_gt_i32_e32 vcc_lo, 32, v9
	v_lshrrev_b32_e32 v8, 24, v8
	v_min_i32_e32 v12, 31, v9
	v_cndmask_b32_e32 v10, 3, v10, vcc_lo
	s_delay_alu instid0(VALU_DEP_3) | instskip(NEXT) | instid1(VALU_DEP_3)
	v_and_b32_e32 v8, 0x80, v8
	v_lshlrev_b32_e32 v12, 2, v12
	s_delay_alu instid0(VALU_DEP_3) | instskip(SKIP_1) | instid1(VALU_DEP_2)
	v_and_b32_e32 v13, 3, v10
	v_or_b32_e32 v9, v9, v10
	v_or3_b32 v8, v12, v8, v13
	s_delay_alu instid0(VALU_DEP_2) | instskip(NEXT) | instid1(VALU_DEP_2)
	v_cmp_ne_u32_e32 vcc_lo, 0, v9
	v_cndmask_b32_e32 v163, 0, v8, vcc_lo
.LBB6_13403:                            ;   in Loop: Header=BB6_12675 Depth=3
	s_or_b32 exec_lo, exec_lo, s31
.LBB6_13404:                            ;   in Loop: Header=BB6_12675 Depth=3
	s_delay_alu instid0(SALU_CYCLE_1) | instskip(SKIP_3) | instid1(VALU_DEP_1)
	s_or_b32 exec_lo, exec_lo, s30
	v_and_b32_e32 v9, 0xff, v11
	s_mov_b32 s13, 0
	s_mov_b32 s31, exec_lo
                                        ; implicit-def: $sgpr30
	v_cmpx_lt_i16_e32 0x7f, v9
	s_xor_b32 s31, exec_lo, s31
	s_cbranch_execnz .LBB6_14714
; %bb.13405:                            ;   in Loop: Header=BB6_12675 Depth=3
	s_or_saveexec_b32 s31, s31
	v_mov_b32_e32 v8, s30
	s_xor_b32 exec_lo, exec_lo, s31
	s_cbranch_execnz .LBB6_14717
.LBB6_13406:                            ;   in Loop: Header=BB6_12675 Depth=3
	s_or_b32 exec_lo, exec_lo, s31
	s_and_saveexec_b32 s30, s13
	s_cbranch_execz .LBB6_13408
.LBB6_13407:                            ;   in Loop: Header=BB6_12675 Depth=3
	v_bfe_u32 v12, v11, 2, 5
	s_delay_alu instid0(VALU_DEP_1) | instskip(SKIP_1) | instid1(VALU_DEP_1)
	v_cmp_eq_u32_e32 vcc_lo, 0, v12
	v_and_b32_e32 v8, 3, v11
	v_clz_i32_u32_e32 v9, v8
	s_delay_alu instid0(VALU_DEP_1) | instskip(NEXT) | instid1(VALU_DEP_1)
	v_min_u32_e32 v9, 32, v9
	v_subrev_nc_u32_e32 v10, 29, v9
	v_sub_nc_u32_e32 v9, 30, v9
	s_delay_alu instid0(VALU_DEP_1) | instskip(NEXT) | instid1(VALU_DEP_1)
	v_dual_cndmask_b32 v9, v12, v9 :: v_dual_lshlrev_b32 v10, v10, v11
	v_and_b32_e32 v10, 3, v10
	v_lshlrev_b32_e32 v13, 24, v11
	s_delay_alu instid0(VALU_DEP_3) | instskip(NEXT) | instid1(VALU_DEP_3)
	v_lshl_add_u32 v9, v9, 23, 0x37800000
	v_cndmask_b32_e32 v8, v8, v10, vcc_lo
	s_delay_alu instid0(VALU_DEP_3) | instskip(NEXT) | instid1(VALU_DEP_2)
	v_and_b32_e32 v10, 0x80000000, v13
	v_lshlrev_b32_e32 v8, 21, v8
	s_delay_alu instid0(VALU_DEP_1)
	v_or3_b32 v8, v10, v9, v8
.LBB6_13408:                            ;   in Loop: Header=BB6_12675 Depth=3
	s_or_b32 exec_lo, exec_lo, s30
	s_delay_alu instid0(VALU_DEP_1) | instskip(SKIP_2) | instid1(VALU_DEP_2)
	v_mul_f32_e32 v8, s17, v8
	v_mov_b32_e32 v162, 0x80
	s_mov_b32 s30, exec_lo
	v_and_b32_e32 v9, 0x7f800000, v8
	s_delay_alu instid0(VALU_DEP_1)
	v_cmpx_ne_u32_e32 0x7f800000, v9
	s_cbranch_execz .LBB6_13416
; %bb.13409:                            ;   in Loop: Header=BB6_12675 Depth=3
	v_mov_b32_e32 v162, 0
	s_mov_b32 s31, exec_lo
	v_cmpx_ne_u32_e32 0, v8
	s_cbranch_execz .LBB6_13415
; %bb.13410:                            ;   in Loop: Header=BB6_12675 Depth=3
	v_bfe_u32 v9, v8, 23, 8
	v_and_b32_e32 v10, 0x7fffff, v8
	s_delay_alu instid0(VALU_DEP_2) | instskip(SKIP_1) | instid1(VALU_DEP_3)
	v_sub_nc_u32_e32 v12, 0x70, v9
	v_cmp_gt_u32_e32 vcc_lo, 0x71, v9
	v_or_b32_e32 v13, 0x800000, v10
	s_delay_alu instid0(VALU_DEP_3) | instskip(SKIP_2) | instid1(VALU_DEP_3)
	v_cndmask_b32_e32 v12, 0, v12, vcc_lo
	v_cmp_eq_u32_e32 vcc_lo, 0, v9
	v_add_nc_u32_e32 v9, 0xffffff91, v9
	v_cndmask_b32_e64 v12, v12, 0x6f, vcc_lo
	v_cndmask_b32_e32 v10, v13, v10, vcc_lo
	s_delay_alu instid0(VALU_DEP_3) | instskip(NEXT) | instid1(VALU_DEP_3)
	v_cndmask_b32_e64 v9, v9, 0xffffff92, vcc_lo
	v_lshl_add_u32 v13, 0x200000, v12, -1
	s_delay_alu instid0(VALU_DEP_3) | instskip(SKIP_1) | instid1(VALU_DEP_4)
	v_lshrrev_b32_e32 v14, v12, v10
	v_lshlrev_b32_e64 v16, v12, 0x100000
	v_add_nc_u32_e32 v12, v12, v9
	s_delay_alu instid0(VALU_DEP_4) | instskip(NEXT) | instid1(VALU_DEP_4)
	v_and_b32_e32 v10, v13, v10
	v_bfe_u32 v15, v14, 21, 1
	s_delay_alu instid0(VALU_DEP_2) | instskip(NEXT) | instid1(VALU_DEP_2)
	v_cmp_eq_u32_e64 s13, v10, v16
	v_add_nc_u32_e32 v13, -1, v15
	s_delay_alu instid0(VALU_DEP_1) | instskip(SKIP_2) | instid1(VALU_DEP_2)
	v_cndmask_b32_e64 v10, 0, v13, s13
	v_lshrrev_b32_e32 v13, 23, v14
	s_mov_b32 s13, exec_lo
	v_add_nc_u32_e32 v10, v10, v14
	s_delay_alu instid0(VALU_DEP_2) | instskip(NEXT) | instid1(VALU_DEP_2)
	v_xor_b32_e32 v13, 1, v13
	v_and_b32_e32 v9, 0x1fffff, v10
	s_delay_alu instid0(VALU_DEP_1) | instskip(NEXT) | instid1(VALU_DEP_3)
	v_add_nc_u32_e32 v10, v9, v14
                                        ; implicit-def: $vgpr9
	v_cmpx_ne_u32_e64 v12, v13
	s_xor_b32 s13, exec_lo, s13
; %bb.13411:                            ;   in Loop: Header=BB6_12675 Depth=3
	s_delay_alu instid0(VALU_DEP_2) | instskip(SKIP_2) | instid1(VALU_DEP_2)
	v_cmp_lt_u32_e32 vcc_lo, 0xffffff, v10
	v_sub_nc_u32_e32 v9, v12, v13
	v_cndmask_b32_e64 v12, 0, 1, vcc_lo
	v_add_co_ci_u32_e32 v9, vcc_lo, 0, v9, vcc_lo
	s_delay_alu instid0(VALU_DEP_2)
	v_lshrrev_b32_e32 v10, v12, v10
; %bb.13412:                            ;   in Loop: Header=BB6_12675 Depth=3
	s_and_not1_saveexec_b32 s13, s13
; %bb.13413:                            ;   in Loop: Header=BB6_12675 Depth=3
	s_delay_alu instid0(VALU_DEP_1)
	v_bfe_u32 v9, v10, 23, 1
; %bb.13414:                            ;   in Loop: Header=BB6_12675 Depth=3
	s_or_b32 exec_lo, exec_lo, s13
	v_lshrrev_b32_e32 v10, 21, v10
	s_delay_alu instid0(VALU_DEP_2) | instskip(SKIP_2) | instid1(VALU_DEP_4)
	v_cmp_gt_i32_e32 vcc_lo, 32, v9
	v_min_i32_e32 v12, 31, v9
	v_lshrrev_b32_e32 v8, 24, v8
	v_cndmask_b32_e32 v10, 3, v10, vcc_lo
	s_delay_alu instid0(VALU_DEP_3) | instskip(NEXT) | instid1(VALU_DEP_3)
	v_lshlrev_b32_e32 v12, 2, v12
	v_and_b32_e32 v8, 0x80, v8
	s_delay_alu instid0(VALU_DEP_3) | instskip(NEXT) | instid1(VALU_DEP_3)
	v_or_b32_e32 v9, v9, v10
	v_and_b32_e32 v12, 0xfc, v12
	s_delay_alu instid0(VALU_DEP_2) | instskip(SKIP_1) | instid1(VALU_DEP_1)
	v_cmp_ne_u32_e32 vcc_lo, 0, v9
	v_and_b32_e32 v13, 3, v10
	v_or3_b32 v8, v12, v8, v13
	s_delay_alu instid0(VALU_DEP_1)
	v_cndmask_b32_e32 v162, 0, v8, vcc_lo
.LBB6_13415:                            ;   in Loop: Header=BB6_12675 Depth=3
	s_or_b32 exec_lo, exec_lo, s31
.LBB6_13416:                            ;   in Loop: Header=BB6_12675 Depth=3
	s_delay_alu instid0(SALU_CYCLE_1) | instskip(SKIP_3) | instid1(VALU_DEP_1)
	s_or_b32 exec_lo, exec_lo, s30
	v_lshrrev_b16 v8, 8, v11
	s_mov_b32 s13, 0
	s_mov_b32 s31, exec_lo
                                        ; implicit-def: $sgpr30
	v_cmpx_lt_i16_e32 0x7f, v8
	s_xor_b32 s31, exec_lo, s31
	s_cbranch_execnz .LBB6_14718
; %bb.13417:                            ;   in Loop: Header=BB6_12675 Depth=3
	s_or_saveexec_b32 s31, s31
	v_mov_b32_e32 v9, s30
	s_xor_b32 exec_lo, exec_lo, s31
	s_cbranch_execnz .LBB6_14721
.LBB6_13418:                            ;   in Loop: Header=BB6_12675 Depth=3
	s_or_b32 exec_lo, exec_lo, s31
	s_and_saveexec_b32 s30, s13
	s_cbranch_execz .LBB6_13420
.LBB6_13419:                            ;   in Loop: Header=BB6_12675 Depth=3
	v_and_b32_e32 v9, 0xffff, v8
	v_lshlrev_b32_e32 v8, 24, v8
	s_delay_alu instid0(VALU_DEP_2) | instskip(NEXT) | instid1(VALU_DEP_2)
	v_and_b32_e32 v10, 3, v9
	v_and_b32_e32 v8, 0x80000000, v8
	s_delay_alu instid0(VALU_DEP_2) | instskip(NEXT) | instid1(VALU_DEP_1)
	v_clz_i32_u32_e32 v12, v10
	v_min_u32_e32 v12, 32, v12
	s_delay_alu instid0(VALU_DEP_1) | instskip(SKIP_1) | instid1(VALU_DEP_2)
	v_subrev_nc_u32_e32 v13, 29, v12
	v_sub_nc_u32_e32 v12, 30, v12
	v_lshlrev_b32_e32 v13, v13, v9
	v_bfe_u32 v9, v9, 2, 5
	s_delay_alu instid0(VALU_DEP_2) | instskip(NEXT) | instid1(VALU_DEP_2)
	v_and_b32_e32 v13, 3, v13
	v_cmp_eq_u32_e32 vcc_lo, 0, v9
	s_delay_alu instid0(VALU_DEP_2) | instskip(NEXT) | instid1(VALU_DEP_1)
	v_dual_cndmask_b32 v9, v9, v12 :: v_dual_cndmask_b32 v10, v10, v13
	v_lshl_add_u32 v9, v9, 23, 0x37800000
	s_delay_alu instid0(VALU_DEP_2) | instskip(NEXT) | instid1(VALU_DEP_1)
	v_lshlrev_b32_e32 v10, 21, v10
	v_or3_b32 v9, v8, v9, v10
.LBB6_13420:                            ;   in Loop: Header=BB6_12675 Depth=3
	s_or_b32 exec_lo, exec_lo, s30
	s_delay_alu instid0(VALU_DEP_1) | instskip(SKIP_1) | instid1(VALU_DEP_1)
	v_dual_mul_f32 v8, s17, v9 :: v_dual_mov_b32 v167, 0x8000
	s_mov_b32 s30, exec_lo
	v_and_b32_e32 v9, 0x7f800000, v8
	s_delay_alu instid0(VALU_DEP_1)
	v_cmpx_ne_u32_e32 0x7f800000, v9
	s_cbranch_execz .LBB6_13428
; %bb.13421:                            ;   in Loop: Header=BB6_12675 Depth=3
	v_mov_b32_e32 v167, 0
	s_mov_b32 s31, exec_lo
	v_cmpx_ne_u32_e32 0, v8
	s_cbranch_execz .LBB6_13427
; %bb.13422:                            ;   in Loop: Header=BB6_12675 Depth=3
	v_bfe_u32 v9, v8, 23, 8
	v_and_b32_e32 v10, 0x7fffff, v8
	s_delay_alu instid0(VALU_DEP_2) | instskip(SKIP_1) | instid1(VALU_DEP_3)
	v_sub_nc_u32_e32 v12, 0x70, v9
	v_cmp_gt_u32_e32 vcc_lo, 0x71, v9
	v_or_b32_e32 v13, 0x800000, v10
	s_delay_alu instid0(VALU_DEP_3) | instskip(SKIP_2) | instid1(VALU_DEP_3)
	v_cndmask_b32_e32 v12, 0, v12, vcc_lo
	v_cmp_eq_u32_e32 vcc_lo, 0, v9
	v_add_nc_u32_e32 v9, 0xffffff91, v9
	v_cndmask_b32_e64 v12, v12, 0x6f, vcc_lo
	v_cndmask_b32_e32 v10, v13, v10, vcc_lo
	s_delay_alu instid0(VALU_DEP_3) | instskip(NEXT) | instid1(VALU_DEP_3)
	v_cndmask_b32_e64 v9, v9, 0xffffff92, vcc_lo
	v_lshl_add_u32 v13, 0x200000, v12, -1
	s_delay_alu instid0(VALU_DEP_3) | instskip(SKIP_1) | instid1(VALU_DEP_4)
	v_lshrrev_b32_e32 v14, v12, v10
	v_lshlrev_b32_e64 v16, v12, 0x100000
	v_add_nc_u32_e32 v12, v12, v9
	s_delay_alu instid0(VALU_DEP_4) | instskip(NEXT) | instid1(VALU_DEP_4)
	v_and_b32_e32 v10, v13, v10
	v_bfe_u32 v15, v14, 21, 1
	s_delay_alu instid0(VALU_DEP_2) | instskip(NEXT) | instid1(VALU_DEP_2)
	v_cmp_eq_u32_e64 s13, v10, v16
	v_add_nc_u32_e32 v13, -1, v15
	s_delay_alu instid0(VALU_DEP_1) | instskip(SKIP_2) | instid1(VALU_DEP_2)
	v_cndmask_b32_e64 v10, 0, v13, s13
	v_lshrrev_b32_e32 v13, 23, v14
	s_mov_b32 s13, exec_lo
	v_add_nc_u32_e32 v10, v10, v14
	s_delay_alu instid0(VALU_DEP_2) | instskip(NEXT) | instid1(VALU_DEP_2)
	v_xor_b32_e32 v13, 1, v13
	v_and_b32_e32 v9, 0x1fffff, v10
	s_delay_alu instid0(VALU_DEP_1) | instskip(NEXT) | instid1(VALU_DEP_3)
	v_add_nc_u32_e32 v10, v9, v14
                                        ; implicit-def: $vgpr9
	v_cmpx_ne_u32_e64 v12, v13
	s_xor_b32 s13, exec_lo, s13
; %bb.13423:                            ;   in Loop: Header=BB6_12675 Depth=3
	s_delay_alu instid0(VALU_DEP_2) | instskip(SKIP_2) | instid1(VALU_DEP_2)
	v_cmp_lt_u32_e32 vcc_lo, 0xffffff, v10
	v_sub_nc_u32_e32 v9, v12, v13
	v_cndmask_b32_e64 v12, 0, 1, vcc_lo
	v_add_co_ci_u32_e32 v9, vcc_lo, 0, v9, vcc_lo
	s_delay_alu instid0(VALU_DEP_2)
	v_lshrrev_b32_e32 v10, v12, v10
; %bb.13424:                            ;   in Loop: Header=BB6_12675 Depth=3
	s_and_not1_saveexec_b32 s13, s13
; %bb.13425:                            ;   in Loop: Header=BB6_12675 Depth=3
	s_delay_alu instid0(VALU_DEP_1)
	v_bfe_u32 v9, v10, 23, 1
; %bb.13426:                            ;   in Loop: Header=BB6_12675 Depth=3
	s_or_b32 exec_lo, exec_lo, s13
	v_lshrrev_b32_e32 v10, 21, v10
	s_delay_alu instid0(VALU_DEP_2) | instskip(SKIP_2) | instid1(VALU_DEP_3)
	v_min_i32_e32 v12, 31, v9
	v_cmp_gt_i32_e32 vcc_lo, 32, v9
	v_lshrrev_b32_e32 v8, 24, v8
	v_lshlrev_b32_e32 v12, 2, v12
	v_cndmask_b32_e32 v10, 3, v10, vcc_lo
	s_delay_alu instid0(VALU_DEP_3) | instskip(NEXT) | instid1(VALU_DEP_3)
	v_and_b32_e32 v8, 0x80, v8
	v_and_b32_e32 v12, 0xfc, v12
	s_delay_alu instid0(VALU_DEP_3) | instskip(SKIP_1) | instid1(VALU_DEP_2)
	v_and_b32_e32 v13, 3, v10
	v_or_b32_e32 v9, v9, v10
	v_or3_b32 v8, v8, v12, v13
	s_delay_alu instid0(VALU_DEP_2) | instskip(NEXT) | instid1(VALU_DEP_2)
	v_cmp_ne_u32_e32 vcc_lo, 0, v9
	v_lshlrev_b32_e32 v8, 8, v8
	s_delay_alu instid0(VALU_DEP_1)
	v_cndmask_b32_e32 v167, 0, v8, vcc_lo
.LBB6_13427:                            ;   in Loop: Header=BB6_12675 Depth=3
	s_or_b32 exec_lo, exec_lo, s31
.LBB6_13428:                            ;   in Loop: Header=BB6_12675 Depth=3
	s_delay_alu instid0(SALU_CYCLE_1) | instskip(SKIP_3) | instid1(VALU_DEP_1)
	s_or_b32 exec_lo, exec_lo, s30
	v_lshrrev_b32_e32 v8, 16, v11
	s_mov_b32 s13, 0
	s_mov_b32 s31, exec_lo
                                        ; implicit-def: $sgpr30
	v_and_b32_e32 v10, 0xff, v8
	s_delay_alu instid0(VALU_DEP_1)
	v_cmpx_lt_i16_e32 0x7f, v10
	s_xor_b32 s31, exec_lo, s31
	s_cbranch_execnz .LBB6_14722
; %bb.13429:                            ;   in Loop: Header=BB6_12675 Depth=3
	s_or_saveexec_b32 s31, s31
	v_mov_b32_e32 v9, s30
	s_xor_b32 exec_lo, exec_lo, s31
	s_cbranch_execnz .LBB6_14725
.LBB6_13430:                            ;   in Loop: Header=BB6_12675 Depth=3
	s_or_b32 exec_lo, exec_lo, s31
	s_and_saveexec_b32 s30, s13
	s_cbranch_execz .LBB6_13432
.LBB6_13431:                            ;   in Loop: Header=BB6_12675 Depth=3
	v_bfe_u32 v9, v11, 16, 2
	s_delay_alu instid0(VALU_DEP_1) | instskip(NEXT) | instid1(VALU_DEP_1)
	v_clz_i32_u32_e32 v10, v9
	v_min_u32_e32 v10, 32, v10
	s_delay_alu instid0(VALU_DEP_1) | instskip(SKIP_1) | instid1(VALU_DEP_2)
	v_subrev_nc_u32_e32 v12, 29, v10
	v_sub_nc_u32_e32 v10, 30, v10
	v_lshlrev_b32_e32 v8, v12, v8
	v_bfe_u32 v12, v11, 18, 5
	s_delay_alu instid0(VALU_DEP_2) | instskip(NEXT) | instid1(VALU_DEP_2)
	v_and_b32_e32 v8, 3, v8
	v_cmp_eq_u32_e32 vcc_lo, 0, v12
	v_dual_cndmask_b32 v10, v12, v10 :: v_dual_lshlrev_b32 v13, 8, v11
	s_delay_alu instid0(VALU_DEP_1) | instskip(NEXT) | instid1(VALU_DEP_2)
	v_dual_cndmask_b32 v8, v9, v8 :: v_dual_and_b32 v9, 0x80000000, v13
	v_lshl_add_u32 v10, v10, 23, 0x37800000
	s_delay_alu instid0(VALU_DEP_2) | instskip(NEXT) | instid1(VALU_DEP_1)
	v_lshlrev_b32_e32 v8, 21, v8
	v_or3_b32 v9, v9, v10, v8
.LBB6_13432:                            ;   in Loop: Header=BB6_12675 Depth=3
	s_or_b32 exec_lo, exec_lo, s30
	s_delay_alu instid0(VALU_DEP_1) | instskip(SKIP_2) | instid1(VALU_DEP_2)
	v_mul_f32_e32 v8, s17, v9
	v_mov_b32_e32 v160, 0x80
	s_mov_b32 s30, exec_lo
	v_and_b32_e32 v9, 0x7f800000, v8
	s_delay_alu instid0(VALU_DEP_1)
	v_cmpx_ne_u32_e32 0x7f800000, v9
	s_cbranch_execz .LBB6_13440
; %bb.13433:                            ;   in Loop: Header=BB6_12675 Depth=3
	v_mov_b32_e32 v160, 0
	s_mov_b32 s31, exec_lo
	v_cmpx_ne_u32_e32 0, v8
	s_cbranch_execz .LBB6_13439
; %bb.13434:                            ;   in Loop: Header=BB6_12675 Depth=3
	v_bfe_u32 v9, v8, 23, 8
	v_and_b32_e32 v10, 0x7fffff, v8
	s_delay_alu instid0(VALU_DEP_2) | instskip(SKIP_1) | instid1(VALU_DEP_3)
	v_sub_nc_u32_e32 v12, 0x70, v9
	v_cmp_gt_u32_e32 vcc_lo, 0x71, v9
	v_or_b32_e32 v13, 0x800000, v10
	s_delay_alu instid0(VALU_DEP_3) | instskip(SKIP_2) | instid1(VALU_DEP_3)
	v_cndmask_b32_e32 v12, 0, v12, vcc_lo
	v_cmp_eq_u32_e32 vcc_lo, 0, v9
	v_add_nc_u32_e32 v9, 0xffffff91, v9
	v_cndmask_b32_e64 v12, v12, 0x6f, vcc_lo
	v_cndmask_b32_e32 v10, v13, v10, vcc_lo
	s_delay_alu instid0(VALU_DEP_3) | instskip(NEXT) | instid1(VALU_DEP_3)
	v_cndmask_b32_e64 v9, v9, 0xffffff92, vcc_lo
	v_lshl_add_u32 v13, 0x200000, v12, -1
	s_delay_alu instid0(VALU_DEP_3) | instskip(SKIP_1) | instid1(VALU_DEP_4)
	v_lshrrev_b32_e32 v14, v12, v10
	v_lshlrev_b32_e64 v16, v12, 0x100000
	v_add_nc_u32_e32 v12, v12, v9
	s_delay_alu instid0(VALU_DEP_4) | instskip(NEXT) | instid1(VALU_DEP_4)
	v_and_b32_e32 v10, v13, v10
	v_bfe_u32 v15, v14, 21, 1
	s_delay_alu instid0(VALU_DEP_2) | instskip(NEXT) | instid1(VALU_DEP_2)
	v_cmp_eq_u32_e64 s13, v10, v16
	v_add_nc_u32_e32 v13, -1, v15
	s_delay_alu instid0(VALU_DEP_1) | instskip(SKIP_2) | instid1(VALU_DEP_2)
	v_cndmask_b32_e64 v10, 0, v13, s13
	v_lshrrev_b32_e32 v13, 23, v14
	s_mov_b32 s13, exec_lo
	v_add_nc_u32_e32 v10, v10, v14
	s_delay_alu instid0(VALU_DEP_2) | instskip(NEXT) | instid1(VALU_DEP_2)
	v_xor_b32_e32 v13, 1, v13
	v_and_b32_e32 v9, 0x1fffff, v10
	s_delay_alu instid0(VALU_DEP_1) | instskip(NEXT) | instid1(VALU_DEP_3)
	v_add_nc_u32_e32 v10, v9, v14
                                        ; implicit-def: $vgpr9
	v_cmpx_ne_u32_e64 v12, v13
	s_xor_b32 s13, exec_lo, s13
; %bb.13435:                            ;   in Loop: Header=BB6_12675 Depth=3
	s_delay_alu instid0(VALU_DEP_2) | instskip(SKIP_2) | instid1(VALU_DEP_2)
	v_cmp_lt_u32_e32 vcc_lo, 0xffffff, v10
	v_sub_nc_u32_e32 v9, v12, v13
	v_cndmask_b32_e64 v12, 0, 1, vcc_lo
	v_add_co_ci_u32_e32 v9, vcc_lo, 0, v9, vcc_lo
	s_delay_alu instid0(VALU_DEP_2)
	v_lshrrev_b32_e32 v10, v12, v10
; %bb.13436:                            ;   in Loop: Header=BB6_12675 Depth=3
	s_and_not1_saveexec_b32 s13, s13
; %bb.13437:                            ;   in Loop: Header=BB6_12675 Depth=3
	s_delay_alu instid0(VALU_DEP_1)
	v_bfe_u32 v9, v10, 23, 1
; %bb.13438:                            ;   in Loop: Header=BB6_12675 Depth=3
	s_or_b32 exec_lo, exec_lo, s13
	v_lshrrev_b32_e32 v10, 21, v10
	s_delay_alu instid0(VALU_DEP_2) | instskip(SKIP_2) | instid1(VALU_DEP_4)
	v_cmp_gt_i32_e32 vcc_lo, 32, v9
	v_min_i32_e32 v12, 31, v9
	v_lshrrev_b32_e32 v8, 24, v8
	v_cndmask_b32_e32 v10, 3, v10, vcc_lo
	s_delay_alu instid0(VALU_DEP_3) | instskip(NEXT) | instid1(VALU_DEP_3)
	v_lshlrev_b32_e32 v12, 2, v12
	v_and_b32_e32 v8, 0x80, v8
	s_delay_alu instid0(VALU_DEP_3) | instskip(NEXT) | instid1(VALU_DEP_3)
	v_or_b32_e32 v9, v9, v10
	v_and_b32_e32 v12, 0xfc, v12
	s_delay_alu instid0(VALU_DEP_2) | instskip(SKIP_1) | instid1(VALU_DEP_1)
	v_cmp_ne_u32_e32 vcc_lo, 0, v9
	v_and_b32_e32 v13, 3, v10
	v_or3_b32 v8, v12, v8, v13
	s_delay_alu instid0(VALU_DEP_1)
	v_cndmask_b32_e32 v160, 0, v8, vcc_lo
.LBB6_13439:                            ;   in Loop: Header=BB6_12675 Depth=3
	s_or_b32 exec_lo, exec_lo, s31
.LBB6_13440:                            ;   in Loop: Header=BB6_12675 Depth=3
	s_delay_alu instid0(SALU_CYCLE_1) | instskip(SKIP_3) | instid1(VALU_DEP_1)
	s_or_b32 exec_lo, exec_lo, s30
	v_lshrrev_b32_e32 v8, 24, v11
	s_mov_b32 s13, 0
	s_mov_b32 s31, exec_lo
                                        ; implicit-def: $sgpr30
	v_cmpx_lt_i16_e32 0x7f, v8
	s_xor_b32 s31, exec_lo, s31
	s_cbranch_execnz .LBB6_14726
; %bb.13441:                            ;   in Loop: Header=BB6_12675 Depth=3
	s_or_saveexec_b32 s31, s31
	v_mov_b32_e32 v9, s30
	s_xor_b32 exec_lo, exec_lo, s31
	s_cbranch_execnz .LBB6_14729
.LBB6_13442:                            ;   in Loop: Header=BB6_12675 Depth=3
	s_or_b32 exec_lo, exec_lo, s31
	s_and_saveexec_b32 s30, s13
	s_cbranch_execz .LBB6_13444
.LBB6_13443:                            ;   in Loop: Header=BB6_12675 Depth=3
	v_bfe_u32 v9, v11, 24, 2
	s_delay_alu instid0(VALU_DEP_1) | instskip(NEXT) | instid1(VALU_DEP_1)
	v_clz_i32_u32_e32 v10, v9
	v_min_u32_e32 v10, 32, v10
	s_delay_alu instid0(VALU_DEP_1) | instskip(SKIP_1) | instid1(VALU_DEP_2)
	v_subrev_nc_u32_e32 v12, 29, v10
	v_sub_nc_u32_e32 v10, 30, v10
	v_lshlrev_b32_e32 v8, v12, v8
	v_bfe_u32 v12, v11, 26, 5
	s_delay_alu instid0(VALU_DEP_2) | instskip(NEXT) | instid1(VALU_DEP_2)
	v_and_b32_e32 v8, 3, v8
	v_cmp_eq_u32_e32 vcc_lo, 0, v12
	v_cndmask_b32_e32 v10, v12, v10, vcc_lo
	s_delay_alu instid0(VALU_DEP_3) | instskip(NEXT) | instid1(VALU_DEP_2)
	v_dual_cndmask_b32 v8, v9, v8 :: v_dual_and_b32 v9, 0x80000000, v11
	v_lshl_add_u32 v10, v10, 23, 0x37800000
	s_delay_alu instid0(VALU_DEP_2) | instskip(NEXT) | instid1(VALU_DEP_1)
	v_lshlrev_b32_e32 v8, 21, v8
	v_or3_b32 v9, v9, v10, v8
.LBB6_13444:                            ;   in Loop: Header=BB6_12675 Depth=3
	s_or_b32 exec_lo, exec_lo, s30
	s_delay_alu instid0(VALU_DEP_1) | instskip(SKIP_2) | instid1(VALU_DEP_2)
	v_mul_f32_e32 v8, s17, v9
	v_mov_b32_e32 v164, 0x8000
	s_mov_b32 s17, exec_lo
	v_and_b32_e32 v9, 0x7f800000, v8
	s_delay_alu instid0(VALU_DEP_1)
	v_cmpx_ne_u32_e32 0x7f800000, v9
	s_cbranch_execz .LBB6_13452
; %bb.13445:                            ;   in Loop: Header=BB6_12675 Depth=3
	v_mov_b32_e32 v164, 0
	s_mov_b32 s30, exec_lo
	v_cmpx_ne_u32_e32 0, v8
	s_cbranch_execz .LBB6_13451
; %bb.13446:                            ;   in Loop: Header=BB6_12675 Depth=3
	v_bfe_u32 v9, v8, 23, 8
	s_delay_alu instid0(VALU_DEP_1) | instskip(SKIP_1) | instid1(VALU_DEP_2)
	v_sub_nc_u32_e32 v11, 0x70, v9
	v_cmp_gt_u32_e32 vcc_lo, 0x71, v9
	v_dual_cndmask_b32 v11, 0, v11 :: v_dual_and_b32 v10, 0x7fffff, v8
	s_delay_alu instid0(VALU_DEP_1) | instskip(SKIP_2) | instid1(VALU_DEP_4)
	v_or_b32_e32 v12, 0x800000, v10
	v_cmp_eq_u32_e32 vcc_lo, 0, v9
	v_add_nc_u32_e32 v9, 0xffffff91, v9
	v_cndmask_b32_e64 v11, v11, 0x6f, vcc_lo
	s_delay_alu instid0(VALU_DEP_4) | instskip(NEXT) | instid1(VALU_DEP_3)
	v_cndmask_b32_e32 v10, v12, v10, vcc_lo
	v_cndmask_b32_e64 v9, v9, 0xffffff92, vcc_lo
	s_delay_alu instid0(VALU_DEP_3) | instskip(NEXT) | instid1(VALU_DEP_3)
	v_lshl_add_u32 v12, 0x200000, v11, -1
	v_lshrrev_b32_e32 v13, v11, v10
	v_lshlrev_b32_e64 v15, v11, 0x100000
	s_delay_alu instid0(VALU_DEP_4) | instskip(NEXT) | instid1(VALU_DEP_4)
	v_add_nc_u32_e32 v11, v11, v9
	v_and_b32_e32 v10, v12, v10
	s_delay_alu instid0(VALU_DEP_4) | instskip(NEXT) | instid1(VALU_DEP_2)
	v_bfe_u32 v14, v13, 21, 1
	v_cmp_eq_u32_e64 s13, v10, v15
	s_delay_alu instid0(VALU_DEP_2) | instskip(NEXT) | instid1(VALU_DEP_1)
	v_add_nc_u32_e32 v12, -1, v14
	v_cndmask_b32_e64 v10, 0, v12, s13
	v_lshrrev_b32_e32 v12, 23, v13
	s_mov_b32 s13, exec_lo
	s_delay_alu instid0(VALU_DEP_2) | instskip(NEXT) | instid1(VALU_DEP_2)
	v_add_nc_u32_e32 v10, v10, v13
	v_xor_b32_e32 v12, 1, v12
	s_delay_alu instid0(VALU_DEP_2) | instskip(NEXT) | instid1(VALU_DEP_1)
	v_and_b32_e32 v9, 0x1fffff, v10
	v_add_nc_u32_e32 v10, v9, v13
                                        ; implicit-def: $vgpr9
	s_delay_alu instid0(VALU_DEP_3)
	v_cmpx_ne_u32_e64 v11, v12
	s_xor_b32 s13, exec_lo, s13
; %bb.13447:                            ;   in Loop: Header=BB6_12675 Depth=3
	s_delay_alu instid0(VALU_DEP_2) | instskip(SKIP_2) | instid1(VALU_DEP_2)
	v_cmp_lt_u32_e32 vcc_lo, 0xffffff, v10
	v_sub_nc_u32_e32 v9, v11, v12
	v_cndmask_b32_e64 v11, 0, 1, vcc_lo
	v_add_co_ci_u32_e32 v9, vcc_lo, 0, v9, vcc_lo
	s_delay_alu instid0(VALU_DEP_2)
	v_lshrrev_b32_e32 v10, v11, v10
; %bb.13448:                            ;   in Loop: Header=BB6_12675 Depth=3
	s_and_not1_saveexec_b32 s13, s13
; %bb.13449:                            ;   in Loop: Header=BB6_12675 Depth=3
	s_delay_alu instid0(VALU_DEP_1)
	v_bfe_u32 v9, v10, 23, 1
; %bb.13450:                            ;   in Loop: Header=BB6_12675 Depth=3
	s_or_b32 exec_lo, exec_lo, s13
	v_lshrrev_b32_e32 v10, 21, v10
	s_delay_alu instid0(VALU_DEP_2) | instskip(SKIP_2) | instid1(VALU_DEP_2)
	v_cmp_gt_i32_e32 vcc_lo, 32, v9
	v_min_i32_e32 v11, 31, v9
	v_lshrrev_b32_e32 v8, 24, v8
	v_dual_cndmask_b32 v10, 3, v10 :: v_dual_lshlrev_b32 v11, 2, v11
	s_delay_alu instid0(VALU_DEP_2) | instskip(NEXT) | instid1(VALU_DEP_2)
	v_and_b32_e32 v8, 0x80, v8
	v_or_b32_e32 v9, v9, v10
	v_and_b32_e32 v12, 3, v10
	s_delay_alu instid0(VALU_DEP_2) | instskip(SKIP_1) | instid1(VALU_DEP_1)
	v_cmp_ne_u32_e32 vcc_lo, 0, v9
	v_and_b32_e32 v11, 0xfc, v11
	v_or3_b32 v8, v8, v11, v12
	s_delay_alu instid0(VALU_DEP_1) | instskip(NEXT) | instid1(VALU_DEP_1)
	v_lshlrev_b32_e32 v8, 8, v8
	v_cndmask_b32_e32 v164, 0, v8, vcc_lo
.LBB6_13451:                            ;   in Loop: Header=BB6_12675 Depth=3
	s_or_b32 exec_lo, exec_lo, s30
.LBB6_13452:                            ;   in Loop: Header=BB6_12675 Depth=3
	s_delay_alu instid0(SALU_CYCLE_1)
	s_or_b32 exec_lo, exec_lo, s17
	s_clause 0x3
	global_load_b128 v[20:23], v[80:81], off slc dlc
	global_load_b128 v[16:19], v[80:81], off offset:512 slc dlc
	global_load_b128 v[12:15], v[80:81], off offset:1024 slc dlc
	;; [unrolled: 1-line block ×3, first 2 shown]
	v_and_b32_e32 v27, 0xff, v151
	s_mov_b32 s13, 0
	s_mov_b32 s30, exec_lo
                                        ; implicit-def: $sgpr17
	s_delay_alu instid0(VALU_DEP_1)
	v_cmpx_lt_i16_e32 0x7f, v27
	s_xor_b32 s30, exec_lo, s30
	s_cbranch_execnz .LBB6_14730
; %bb.13453:                            ;   in Loop: Header=BB6_12675 Depth=3
	s_or_saveexec_b32 s30, s30
	v_mov_b32_e32 v26, s17
	s_xor_b32 exec_lo, exec_lo, s30
	s_cbranch_execnz .LBB6_14733
.LBB6_13454:                            ;   in Loop: Header=BB6_12675 Depth=3
	s_or_b32 exec_lo, exec_lo, s30
	s_and_saveexec_b32 s17, s13
	s_cbranch_execz .LBB6_13456
.LBB6_13455:                            ;   in Loop: Header=BB6_12675 Depth=3
	v_and_b32_e32 v26, 3, v151
	v_bfe_u32 v37, v151, 2, 5
	v_lshlrev_b32_e32 v38, 24, v151
	s_delay_alu instid0(VALU_DEP_3) | instskip(NEXT) | instid1(VALU_DEP_3)
	v_clz_i32_u32_e32 v27, v26
	v_cmp_eq_u32_e32 vcc_lo, 0, v37
	s_delay_alu instid0(VALU_DEP_2) | instskip(NEXT) | instid1(VALU_DEP_1)
	v_min_u32_e32 v27, 32, v27
	v_subrev_nc_u32_e32 v36, 29, v27
	v_sub_nc_u32_e32 v27, 30, v27
	s_delay_alu instid0(VALU_DEP_2) | instskip(NEXT) | instid1(VALU_DEP_1)
	v_lshlrev_b32_e32 v36, v36, v151
	v_dual_cndmask_b32 v27, v37, v27 :: v_dual_and_b32 v36, 3, v36
	s_delay_alu instid0(VALU_DEP_1) | instskip(NEXT) | instid1(VALU_DEP_2)
	v_lshl_add_u32 v27, v27, 23, 0x37800000
	v_cndmask_b32_e32 v26, v26, v36, vcc_lo
	v_and_b32_e32 v36, 0x80000000, v38
	s_delay_alu instid0(VALU_DEP_2) | instskip(NEXT) | instid1(VALU_DEP_1)
	v_lshlrev_b32_e32 v26, 21, v26
	v_or3_b32 v26, v36, v27, v26
.LBB6_13456:                            ;   in Loop: Header=BB6_12675 Depth=3
	s_or_b32 exec_lo, exec_lo, s17
	s_waitcnt vmcnt(3)
	v_and_b32_e32 v36, 0xff, v20
	s_mov_b32 s13, 0
	s_mov_b32 s30, exec_lo
                                        ; implicit-def: $sgpr17
	s_delay_alu instid0(VALU_DEP_1)
	v_cmpx_lt_i16_e32 0x7f, v36
	s_xor_b32 s30, exec_lo, s30
	s_cbranch_execnz .LBB6_14734
; %bb.13457:                            ;   in Loop: Header=BB6_12675 Depth=3
	s_or_saveexec_b32 s30, s30
	v_mov_b32_e32 v27, s17
	s_xor_b32 exec_lo, exec_lo, s30
	s_cbranch_execnz .LBB6_14737
.LBB6_13458:                            ;   in Loop: Header=BB6_12675 Depth=3
	s_or_b32 exec_lo, exec_lo, s30
	s_and_saveexec_b32 s17, s13
	s_cbranch_execz .LBB6_13460
.LBB6_13459:                            ;   in Loop: Header=BB6_12675 Depth=3
	v_and_b32_e32 v27, 3, v20
	v_bfe_u32 v38, v20, 2, 5
	v_lshlrev_b32_e32 v39, 24, v20
	s_delay_alu instid0(VALU_DEP_3) | instskip(NEXT) | instid1(VALU_DEP_3)
	v_clz_i32_u32_e32 v36, v27
	v_cmp_eq_u32_e32 vcc_lo, 0, v38
	s_delay_alu instid0(VALU_DEP_2) | instskip(NEXT) | instid1(VALU_DEP_1)
	v_min_u32_e32 v36, 32, v36
	v_subrev_nc_u32_e32 v37, 29, v36
	v_sub_nc_u32_e32 v36, 30, v36
	s_delay_alu instid0(VALU_DEP_2) | instskip(NEXT) | instid1(VALU_DEP_1)
	v_lshlrev_b32_e32 v37, v37, v20
	v_dual_cndmask_b32 v36, v38, v36 :: v_dual_and_b32 v37, 3, v37
	s_delay_alu instid0(VALU_DEP_1) | instskip(NEXT) | instid1(VALU_DEP_2)
	v_lshl_add_u32 v36, v36, 23, 0x37800000
	v_cndmask_b32_e32 v27, v27, v37, vcc_lo
	v_and_b32_e32 v37, 0x80000000, v39
	s_delay_alu instid0(VALU_DEP_2) | instskip(NEXT) | instid1(VALU_DEP_1)
	v_lshlrev_b32_e32 v27, 21, v27
	v_or3_b32 v27, v37, v36, v27
.LBB6_13460:                            ;   in Loop: Header=BB6_12675 Depth=3
	s_or_b32 exec_lo, exec_lo, s17
	s_delay_alu instid0(VALU_DEP_1) | instskip(SKIP_1) | instid1(VALU_DEP_1)
	v_dual_add_f32 v26, v26, v27 :: v_dual_mov_b32 v151, 0x80
	s_mov_b32 s17, exec_lo
	v_and_b32_e32 v27, 0x7f800000, v26
	s_delay_alu instid0(VALU_DEP_1)
	v_cmpx_ne_u32_e32 0x7f800000, v27
	s_cbranch_execz .LBB6_13468
; %bb.13461:                            ;   in Loop: Header=BB6_12675 Depth=3
	v_mov_b32_e32 v151, 0
	s_mov_b32 s30, exec_lo
	v_cmpx_ne_u32_e32 0, v26
	s_cbranch_execz .LBB6_13467
; %bb.13462:                            ;   in Loop: Header=BB6_12675 Depth=3
	v_bfe_u32 v27, v26, 23, 8
	s_delay_alu instid0(VALU_DEP_1) | instskip(SKIP_1) | instid1(VALU_DEP_2)
	v_sub_nc_u32_e32 v37, 0x70, v27
	v_cmp_gt_u32_e32 vcc_lo, 0x71, v27
	v_dual_cndmask_b32 v37, 0, v37 :: v_dual_and_b32 v36, 0x7fffff, v26
	s_delay_alu instid0(VALU_DEP_1) | instskip(SKIP_2) | instid1(VALU_DEP_4)
	v_or_b32_e32 v38, 0x800000, v36
	v_cmp_eq_u32_e32 vcc_lo, 0, v27
	v_add_nc_u32_e32 v27, 0xffffff91, v27
	v_cndmask_b32_e64 v37, v37, 0x6f, vcc_lo
	s_delay_alu instid0(VALU_DEP_4) | instskip(NEXT) | instid1(VALU_DEP_3)
	v_cndmask_b32_e32 v36, v38, v36, vcc_lo
	v_cndmask_b32_e64 v27, v27, 0xffffff92, vcc_lo
	s_delay_alu instid0(VALU_DEP_3) | instskip(NEXT) | instid1(VALU_DEP_3)
	v_lshl_add_u32 v38, 0x200000, v37, -1
	v_lshrrev_b32_e32 v39, v37, v36
	v_lshlrev_b32_e64 v49, v37, 0x100000
	s_delay_alu instid0(VALU_DEP_4) | instskip(NEXT) | instid1(VALU_DEP_4)
	v_add_nc_u32_e32 v37, v37, v27
	v_and_b32_e32 v36, v38, v36
	s_delay_alu instid0(VALU_DEP_4) | instskip(NEXT) | instid1(VALU_DEP_2)
	v_bfe_u32 v48, v39, 21, 1
	v_cmp_eq_u32_e64 s13, v36, v49
	s_delay_alu instid0(VALU_DEP_2) | instskip(NEXT) | instid1(VALU_DEP_1)
	v_add_nc_u32_e32 v38, -1, v48
	v_cndmask_b32_e64 v36, 0, v38, s13
	v_lshrrev_b32_e32 v38, 23, v39
	s_mov_b32 s13, exec_lo
	s_delay_alu instid0(VALU_DEP_2) | instskip(NEXT) | instid1(VALU_DEP_2)
	v_add_nc_u32_e32 v36, v36, v39
	v_xor_b32_e32 v38, 1, v38
	s_delay_alu instid0(VALU_DEP_2) | instskip(NEXT) | instid1(VALU_DEP_1)
	v_and_b32_e32 v27, 0x1fffff, v36
	v_add_nc_u32_e32 v36, v27, v39
                                        ; implicit-def: $vgpr27
	s_delay_alu instid0(VALU_DEP_3)
	v_cmpx_ne_u32_e64 v37, v38
	s_xor_b32 s13, exec_lo, s13
; %bb.13463:                            ;   in Loop: Header=BB6_12675 Depth=3
	s_delay_alu instid0(VALU_DEP_2) | instskip(SKIP_2) | instid1(VALU_DEP_2)
	v_cmp_lt_u32_e32 vcc_lo, 0xffffff, v36
	v_sub_nc_u32_e32 v27, v37, v38
	v_cndmask_b32_e64 v37, 0, 1, vcc_lo
	v_add_co_ci_u32_e32 v27, vcc_lo, 0, v27, vcc_lo
	s_delay_alu instid0(VALU_DEP_2)
	v_lshrrev_b32_e32 v36, v37, v36
; %bb.13464:                            ;   in Loop: Header=BB6_12675 Depth=3
	s_and_not1_saveexec_b32 s13, s13
; %bb.13465:                            ;   in Loop: Header=BB6_12675 Depth=3
	s_delay_alu instid0(VALU_DEP_1)
	v_bfe_u32 v27, v36, 23, 1
; %bb.13466:                            ;   in Loop: Header=BB6_12675 Depth=3
	s_or_b32 exec_lo, exec_lo, s13
	v_lshrrev_b32_e32 v36, 21, v36
	s_delay_alu instid0(VALU_DEP_2) | instskip(SKIP_2) | instid1(VALU_DEP_2)
	v_cmp_gt_i32_e32 vcc_lo, 32, v27
	v_min_i32_e32 v37, 31, v27
	v_lshrrev_b32_e32 v26, 24, v26
	v_dual_cndmask_b32 v36, 3, v36 :: v_dual_lshlrev_b32 v37, 2, v37
	s_delay_alu instid0(VALU_DEP_2) | instskip(NEXT) | instid1(VALU_DEP_2)
	v_and_b32_e32 v26, 0x80, v26
	v_or_b32_e32 v27, v27, v36
	s_delay_alu instid0(VALU_DEP_1) | instskip(SKIP_1) | instid1(VALU_DEP_1)
	v_cmp_ne_u32_e32 vcc_lo, 0, v27
	v_and_b32_e32 v38, 3, v36
	v_or3_b32 v26, v37, v26, v38
	s_delay_alu instid0(VALU_DEP_1)
	v_cndmask_b32_e32 v151, 0, v26, vcc_lo
.LBB6_13467:                            ;   in Loop: Header=BB6_12675 Depth=3
	s_or_b32 exec_lo, exec_lo, s30
.LBB6_13468:                            ;   in Loop: Header=BB6_12675 Depth=3
	s_delay_alu instid0(SALU_CYCLE_1) | instskip(SKIP_3) | instid1(VALU_DEP_1)
	s_or_b32 exec_lo, exec_lo, s17
	v_and_b32_e32 v27, 0xff, v161
	s_mov_b32 s13, 0
	s_mov_b32 s30, exec_lo
                                        ; implicit-def: $sgpr17
	v_cmpx_lt_i16_e32 0x7f, v27
	s_xor_b32 s30, exec_lo, s30
	s_cbranch_execnz .LBB6_14738
; %bb.13469:                            ;   in Loop: Header=BB6_12675 Depth=3
	s_or_saveexec_b32 s30, s30
	v_mov_b32_e32 v26, s17
	s_xor_b32 exec_lo, exec_lo, s30
	s_cbranch_execnz .LBB6_14741
.LBB6_13470:                            ;   in Loop: Header=BB6_12675 Depth=3
	s_or_b32 exec_lo, exec_lo, s30
	s_and_saveexec_b32 s17, s13
	s_cbranch_execz .LBB6_13472
.LBB6_13471:                            ;   in Loop: Header=BB6_12675 Depth=3
	v_bfe_u32 v37, v161, 2, 5
	v_lshlrev_b32_e32 v38, 24, v161
	s_delay_alu instid0(VALU_DEP_2) | instskip(SKIP_1) | instid1(VALU_DEP_1)
	v_cmp_eq_u32_e32 vcc_lo, 0, v37
	v_and_b32_e32 v26, 3, v161
	v_clz_i32_u32_e32 v27, v26
	s_delay_alu instid0(VALU_DEP_1) | instskip(NEXT) | instid1(VALU_DEP_1)
	v_min_u32_e32 v27, 32, v27
	v_subrev_nc_u32_e32 v36, 29, v27
	v_sub_nc_u32_e32 v27, 30, v27
	s_delay_alu instid0(VALU_DEP_1) | instskip(NEXT) | instid1(VALU_DEP_1)
	v_dual_cndmask_b32 v27, v37, v27 :: v_dual_lshlrev_b32 v36, v36, v161
	v_and_b32_e32 v36, 3, v36
	s_delay_alu instid0(VALU_DEP_2) | instskip(NEXT) | instid1(VALU_DEP_2)
	v_lshl_add_u32 v27, v27, 23, 0x37800000
	v_cndmask_b32_e32 v26, v26, v36, vcc_lo
	v_and_b32_e32 v36, 0x80000000, v38
	s_delay_alu instid0(VALU_DEP_2) | instskip(NEXT) | instid1(VALU_DEP_1)
	v_lshlrev_b32_e32 v26, 21, v26
	v_or3_b32 v26, v36, v27, v26
.LBB6_13472:                            ;   in Loop: Header=BB6_12675 Depth=3
	s_or_b32 exec_lo, exec_lo, s17
	v_lshrrev_b16 v27, 8, v20
	s_mov_b32 s13, 0
	s_mov_b32 s30, exec_lo
                                        ; implicit-def: $sgpr17
	s_delay_alu instid0(VALU_DEP_1)
	v_cmpx_lt_i16_e32 0x7f, v27
	s_xor_b32 s30, exec_lo, s30
	s_cbranch_execnz .LBB6_14742
; %bb.13473:                            ;   in Loop: Header=BB6_12675 Depth=3
	s_or_saveexec_b32 s30, s30
	v_mov_b32_e32 v36, s17
	s_xor_b32 exec_lo, exec_lo, s30
	s_cbranch_execnz .LBB6_14745
.LBB6_13474:                            ;   in Loop: Header=BB6_12675 Depth=3
	s_or_b32 exec_lo, exec_lo, s30
	s_and_saveexec_b32 s17, s13
	s_cbranch_execz .LBB6_13476
.LBB6_13475:                            ;   in Loop: Header=BB6_12675 Depth=3
	v_and_b32_e32 v36, 0xffff, v27
	v_lshlrev_b32_e32 v27, 24, v27
	s_delay_alu instid0(VALU_DEP_2) | instskip(NEXT) | instid1(VALU_DEP_2)
	v_and_b32_e32 v37, 3, v36
	v_and_b32_e32 v27, 0x80000000, v27
	s_delay_alu instid0(VALU_DEP_2) | instskip(NEXT) | instid1(VALU_DEP_1)
	v_clz_i32_u32_e32 v38, v37
	v_min_u32_e32 v38, 32, v38
	s_delay_alu instid0(VALU_DEP_1) | instskip(SKIP_1) | instid1(VALU_DEP_2)
	v_subrev_nc_u32_e32 v39, 29, v38
	v_sub_nc_u32_e32 v38, 30, v38
	v_lshlrev_b32_e32 v39, v39, v36
	v_bfe_u32 v36, v36, 2, 5
	s_delay_alu instid0(VALU_DEP_2) | instskip(NEXT) | instid1(VALU_DEP_2)
	v_and_b32_e32 v39, 3, v39
	v_cmp_eq_u32_e32 vcc_lo, 0, v36
	s_delay_alu instid0(VALU_DEP_2) | instskip(NEXT) | instid1(VALU_DEP_1)
	v_dual_cndmask_b32 v36, v36, v38 :: v_dual_cndmask_b32 v37, v37, v39
	v_lshl_add_u32 v36, v36, 23, 0x37800000
	s_delay_alu instid0(VALU_DEP_2) | instskip(NEXT) | instid1(VALU_DEP_1)
	v_lshlrev_b32_e32 v37, 21, v37
	v_or3_b32 v36, v27, v36, v37
.LBB6_13476:                            ;   in Loop: Header=BB6_12675 Depth=3
	s_or_b32 exec_lo, exec_lo, s17
	s_delay_alu instid0(VALU_DEP_1) | instskip(SKIP_1) | instid1(VALU_DEP_1)
	v_dual_add_f32 v26, v26, v36 :: v_dual_mov_b32 v161, 0x80
	s_mov_b32 s17, exec_lo
	v_and_b32_e32 v27, 0x7f800000, v26
	s_delay_alu instid0(VALU_DEP_1)
	v_cmpx_ne_u32_e32 0x7f800000, v27
	s_cbranch_execz .LBB6_13484
; %bb.13477:                            ;   in Loop: Header=BB6_12675 Depth=3
	v_mov_b32_e32 v161, 0
	s_mov_b32 s30, exec_lo
	v_cmpx_ne_u32_e32 0, v26
	s_cbranch_execz .LBB6_13483
; %bb.13478:                            ;   in Loop: Header=BB6_12675 Depth=3
	v_bfe_u32 v27, v26, 23, 8
	s_delay_alu instid0(VALU_DEP_1) | instskip(SKIP_1) | instid1(VALU_DEP_2)
	v_sub_nc_u32_e32 v37, 0x70, v27
	v_cmp_gt_u32_e32 vcc_lo, 0x71, v27
	v_dual_cndmask_b32 v37, 0, v37 :: v_dual_and_b32 v36, 0x7fffff, v26
	s_delay_alu instid0(VALU_DEP_1) | instskip(SKIP_2) | instid1(VALU_DEP_4)
	v_or_b32_e32 v38, 0x800000, v36
	v_cmp_eq_u32_e32 vcc_lo, 0, v27
	v_add_nc_u32_e32 v27, 0xffffff91, v27
	v_cndmask_b32_e64 v37, v37, 0x6f, vcc_lo
	s_delay_alu instid0(VALU_DEP_4) | instskip(NEXT) | instid1(VALU_DEP_3)
	v_cndmask_b32_e32 v36, v38, v36, vcc_lo
	v_cndmask_b32_e64 v27, v27, 0xffffff92, vcc_lo
	s_delay_alu instid0(VALU_DEP_3) | instskip(NEXT) | instid1(VALU_DEP_3)
	v_lshl_add_u32 v38, 0x200000, v37, -1
	v_lshrrev_b32_e32 v39, v37, v36
	v_lshlrev_b32_e64 v49, v37, 0x100000
	s_delay_alu instid0(VALU_DEP_4) | instskip(NEXT) | instid1(VALU_DEP_4)
	v_add_nc_u32_e32 v37, v37, v27
	v_and_b32_e32 v36, v38, v36
	s_delay_alu instid0(VALU_DEP_4) | instskip(NEXT) | instid1(VALU_DEP_2)
	v_bfe_u32 v48, v39, 21, 1
	v_cmp_eq_u32_e64 s13, v36, v49
	s_delay_alu instid0(VALU_DEP_2) | instskip(NEXT) | instid1(VALU_DEP_1)
	v_add_nc_u32_e32 v38, -1, v48
	v_cndmask_b32_e64 v36, 0, v38, s13
	v_lshrrev_b32_e32 v38, 23, v39
	s_mov_b32 s13, exec_lo
	s_delay_alu instid0(VALU_DEP_2) | instskip(NEXT) | instid1(VALU_DEP_2)
	v_add_nc_u32_e32 v36, v36, v39
	v_xor_b32_e32 v38, 1, v38
	s_delay_alu instid0(VALU_DEP_2) | instskip(NEXT) | instid1(VALU_DEP_1)
	v_and_b32_e32 v27, 0x1fffff, v36
	v_add_nc_u32_e32 v36, v27, v39
                                        ; implicit-def: $vgpr27
	s_delay_alu instid0(VALU_DEP_3)
	v_cmpx_ne_u32_e64 v37, v38
	s_xor_b32 s13, exec_lo, s13
; %bb.13479:                            ;   in Loop: Header=BB6_12675 Depth=3
	s_delay_alu instid0(VALU_DEP_2) | instskip(SKIP_2) | instid1(VALU_DEP_2)
	v_cmp_lt_u32_e32 vcc_lo, 0xffffff, v36
	v_sub_nc_u32_e32 v27, v37, v38
	v_cndmask_b32_e64 v37, 0, 1, vcc_lo
	v_add_co_ci_u32_e32 v27, vcc_lo, 0, v27, vcc_lo
	s_delay_alu instid0(VALU_DEP_2)
	v_lshrrev_b32_e32 v36, v37, v36
; %bb.13480:                            ;   in Loop: Header=BB6_12675 Depth=3
	s_and_not1_saveexec_b32 s13, s13
; %bb.13481:                            ;   in Loop: Header=BB6_12675 Depth=3
	s_delay_alu instid0(VALU_DEP_1)
	v_bfe_u32 v27, v36, 23, 1
; %bb.13482:                            ;   in Loop: Header=BB6_12675 Depth=3
	s_or_b32 exec_lo, exec_lo, s13
	v_lshrrev_b32_e32 v36, 21, v36
	s_delay_alu instid0(VALU_DEP_2) | instskip(SKIP_2) | instid1(VALU_DEP_2)
	v_cmp_gt_i32_e32 vcc_lo, 32, v27
	v_min_i32_e32 v37, 31, v27
	v_lshrrev_b32_e32 v26, 24, v26
	v_dual_cndmask_b32 v36, 3, v36 :: v_dual_lshlrev_b32 v37, 2, v37
	s_delay_alu instid0(VALU_DEP_2) | instskip(NEXT) | instid1(VALU_DEP_2)
	v_and_b32_e32 v26, 0x80, v26
	v_or_b32_e32 v27, v27, v36
	s_delay_alu instid0(VALU_DEP_1) | instskip(SKIP_1) | instid1(VALU_DEP_1)
	v_cmp_ne_u32_e32 vcc_lo, 0, v27
	v_and_b32_e32 v38, 3, v36
	v_or3_b32 v26, v37, v26, v38
	s_delay_alu instid0(VALU_DEP_1)
	v_cndmask_b32_e32 v161, 0, v26, vcc_lo
.LBB6_13483:                            ;   in Loop: Header=BB6_12675 Depth=3
	s_or_b32 exec_lo, exec_lo, s30
.LBB6_13484:                            ;   in Loop: Header=BB6_12675 Depth=3
	s_delay_alu instid0(SALU_CYCLE_1) | instskip(SKIP_3) | instid1(VALU_DEP_1)
	s_or_b32 exec_lo, exec_lo, s17
	v_and_b32_e32 v27, 0xff, v176
	s_mov_b32 s13, 0
	s_mov_b32 s30, exec_lo
                                        ; implicit-def: $sgpr17
	v_cmpx_lt_i16_e32 0x7f, v27
	s_xor_b32 s30, exec_lo, s30
	s_cbranch_execnz .LBB6_14746
; %bb.13485:                            ;   in Loop: Header=BB6_12675 Depth=3
	s_or_saveexec_b32 s30, s30
	v_mov_b32_e32 v26, s17
	s_xor_b32 exec_lo, exec_lo, s30
	s_cbranch_execnz .LBB6_14749
.LBB6_13486:                            ;   in Loop: Header=BB6_12675 Depth=3
	s_or_b32 exec_lo, exec_lo, s30
	s_and_saveexec_b32 s17, s13
	s_cbranch_execz .LBB6_13488
.LBB6_13487:                            ;   in Loop: Header=BB6_12675 Depth=3
	v_bfe_u32 v37, v176, 2, 5
	v_lshlrev_b32_e32 v38, 24, v176
	s_delay_alu instid0(VALU_DEP_2) | instskip(SKIP_1) | instid1(VALU_DEP_1)
	v_cmp_eq_u32_e32 vcc_lo, 0, v37
	v_and_b32_e32 v26, 3, v176
	v_clz_i32_u32_e32 v27, v26
	s_delay_alu instid0(VALU_DEP_1) | instskip(NEXT) | instid1(VALU_DEP_1)
	v_min_u32_e32 v27, 32, v27
	v_subrev_nc_u32_e32 v36, 29, v27
	v_sub_nc_u32_e32 v27, 30, v27
	s_delay_alu instid0(VALU_DEP_1) | instskip(NEXT) | instid1(VALU_DEP_1)
	v_dual_cndmask_b32 v27, v37, v27 :: v_dual_lshlrev_b32 v36, v36, v176
	v_and_b32_e32 v36, 3, v36
	s_delay_alu instid0(VALU_DEP_2) | instskip(NEXT) | instid1(VALU_DEP_2)
	v_lshl_add_u32 v27, v27, 23, 0x37800000
	v_cndmask_b32_e32 v26, v26, v36, vcc_lo
	v_and_b32_e32 v36, 0x80000000, v38
	s_delay_alu instid0(VALU_DEP_2) | instskip(NEXT) | instid1(VALU_DEP_1)
	v_lshlrev_b32_e32 v26, 21, v26
	v_or3_b32 v26, v36, v27, v26
.LBB6_13488:                            ;   in Loop: Header=BB6_12675 Depth=3
	s_or_b32 exec_lo, exec_lo, s17
	v_lshrrev_b32_e32 v27, 16, v20
	s_mov_b32 s13, 0
	s_mov_b32 s30, exec_lo
                                        ; implicit-def: $sgpr17
	s_delay_alu instid0(VALU_DEP_1) | instskip(NEXT) | instid1(VALU_DEP_1)
	v_and_b32_e32 v37, 0xff, v27
	v_cmpx_lt_i16_e32 0x7f, v37
	s_xor_b32 s30, exec_lo, s30
	s_cbranch_execnz .LBB6_14750
; %bb.13489:                            ;   in Loop: Header=BB6_12675 Depth=3
	s_or_saveexec_b32 s30, s30
	v_mov_b32_e32 v36, s17
	s_xor_b32 exec_lo, exec_lo, s30
	s_cbranch_execnz .LBB6_14753
.LBB6_13490:                            ;   in Loop: Header=BB6_12675 Depth=3
	s_or_b32 exec_lo, exec_lo, s30
	s_and_saveexec_b32 s17, s13
	s_cbranch_execz .LBB6_13492
.LBB6_13491:                            ;   in Loop: Header=BB6_12675 Depth=3
	v_bfe_u32 v36, v20, 16, 2
	v_lshlrev_b32_e32 v39, 8, v20
	s_delay_alu instid0(VALU_DEP_2) | instskip(NEXT) | instid1(VALU_DEP_1)
	v_clz_i32_u32_e32 v37, v36
	v_min_u32_e32 v37, 32, v37
	s_delay_alu instid0(VALU_DEP_1) | instskip(SKIP_1) | instid1(VALU_DEP_2)
	v_subrev_nc_u32_e32 v38, 29, v37
	v_sub_nc_u32_e32 v37, 30, v37
	v_lshlrev_b32_e32 v27, v38, v27
	v_bfe_u32 v38, v20, 18, 5
	s_delay_alu instid0(VALU_DEP_2) | instskip(NEXT) | instid1(VALU_DEP_2)
	v_and_b32_e32 v27, 3, v27
	v_cmp_eq_u32_e32 vcc_lo, 0, v38
	v_cndmask_b32_e32 v37, v38, v37, vcc_lo
	s_delay_alu instid0(VALU_DEP_3) | instskip(SKIP_1) | instid1(VALU_DEP_3)
	v_cndmask_b32_e32 v27, v36, v27, vcc_lo
	v_and_b32_e32 v36, 0x80000000, v39
	v_lshl_add_u32 v37, v37, 23, 0x37800000
	s_delay_alu instid0(VALU_DEP_3) | instskip(NEXT) | instid1(VALU_DEP_1)
	v_lshlrev_b32_e32 v27, 21, v27
	v_or3_b32 v36, v36, v37, v27
.LBB6_13492:                            ;   in Loop: Header=BB6_12675 Depth=3
	s_or_b32 exec_lo, exec_lo, s17
	s_delay_alu instid0(VALU_DEP_1) | instskip(SKIP_2) | instid1(VALU_DEP_2)
	v_add_f32_e32 v26, v26, v36
	v_mov_b32_e32 v176, 0x80
	s_mov_b32 s17, exec_lo
	v_and_b32_e32 v27, 0x7f800000, v26
	s_delay_alu instid0(VALU_DEP_1)
	v_cmpx_ne_u32_e32 0x7f800000, v27
	s_cbranch_execz .LBB6_13500
; %bb.13493:                            ;   in Loop: Header=BB6_12675 Depth=3
	v_mov_b32_e32 v176, 0
	s_mov_b32 s30, exec_lo
	v_cmpx_ne_u32_e32 0, v26
	s_cbranch_execz .LBB6_13499
; %bb.13494:                            ;   in Loop: Header=BB6_12675 Depth=3
	v_bfe_u32 v27, v26, 23, 8
	s_delay_alu instid0(VALU_DEP_1) | instskip(SKIP_1) | instid1(VALU_DEP_2)
	v_sub_nc_u32_e32 v37, 0x70, v27
	v_cmp_gt_u32_e32 vcc_lo, 0x71, v27
	v_dual_cndmask_b32 v37, 0, v37 :: v_dual_and_b32 v36, 0x7fffff, v26
	s_delay_alu instid0(VALU_DEP_1) | instskip(SKIP_2) | instid1(VALU_DEP_4)
	v_or_b32_e32 v38, 0x800000, v36
	v_cmp_eq_u32_e32 vcc_lo, 0, v27
	v_add_nc_u32_e32 v27, 0xffffff91, v27
	v_cndmask_b32_e64 v37, v37, 0x6f, vcc_lo
	s_delay_alu instid0(VALU_DEP_4) | instskip(NEXT) | instid1(VALU_DEP_3)
	v_cndmask_b32_e32 v36, v38, v36, vcc_lo
	v_cndmask_b32_e64 v27, v27, 0xffffff92, vcc_lo
	s_delay_alu instid0(VALU_DEP_3) | instskip(NEXT) | instid1(VALU_DEP_3)
	v_lshl_add_u32 v38, 0x200000, v37, -1
	v_lshrrev_b32_e32 v39, v37, v36
	v_lshlrev_b32_e64 v49, v37, 0x100000
	s_delay_alu instid0(VALU_DEP_4) | instskip(NEXT) | instid1(VALU_DEP_4)
	v_add_nc_u32_e32 v37, v37, v27
	v_and_b32_e32 v36, v38, v36
	s_delay_alu instid0(VALU_DEP_4) | instskip(NEXT) | instid1(VALU_DEP_2)
	v_bfe_u32 v48, v39, 21, 1
	v_cmp_eq_u32_e64 s13, v36, v49
	s_delay_alu instid0(VALU_DEP_2) | instskip(NEXT) | instid1(VALU_DEP_1)
	v_add_nc_u32_e32 v38, -1, v48
	v_cndmask_b32_e64 v36, 0, v38, s13
	v_lshrrev_b32_e32 v38, 23, v39
	s_mov_b32 s13, exec_lo
	s_delay_alu instid0(VALU_DEP_2) | instskip(NEXT) | instid1(VALU_DEP_2)
	v_add_nc_u32_e32 v36, v36, v39
	v_xor_b32_e32 v38, 1, v38
	s_delay_alu instid0(VALU_DEP_2) | instskip(NEXT) | instid1(VALU_DEP_1)
	v_and_b32_e32 v27, 0x1fffff, v36
	v_add_nc_u32_e32 v36, v27, v39
                                        ; implicit-def: $vgpr27
	s_delay_alu instid0(VALU_DEP_3)
	v_cmpx_ne_u32_e64 v37, v38
	s_xor_b32 s13, exec_lo, s13
; %bb.13495:                            ;   in Loop: Header=BB6_12675 Depth=3
	s_delay_alu instid0(VALU_DEP_2) | instskip(SKIP_2) | instid1(VALU_DEP_2)
	v_cmp_lt_u32_e32 vcc_lo, 0xffffff, v36
	v_sub_nc_u32_e32 v27, v37, v38
	v_cndmask_b32_e64 v37, 0, 1, vcc_lo
	v_add_co_ci_u32_e32 v27, vcc_lo, 0, v27, vcc_lo
	s_delay_alu instid0(VALU_DEP_2)
	v_lshrrev_b32_e32 v36, v37, v36
; %bb.13496:                            ;   in Loop: Header=BB6_12675 Depth=3
	s_and_not1_saveexec_b32 s13, s13
; %bb.13497:                            ;   in Loop: Header=BB6_12675 Depth=3
	s_delay_alu instid0(VALU_DEP_1)
	v_bfe_u32 v27, v36, 23, 1
; %bb.13498:                            ;   in Loop: Header=BB6_12675 Depth=3
	s_or_b32 exec_lo, exec_lo, s13
	v_lshrrev_b32_e32 v36, 21, v36
	s_delay_alu instid0(VALU_DEP_2) | instskip(SKIP_2) | instid1(VALU_DEP_4)
	v_cmp_gt_i32_e32 vcc_lo, 32, v27
	v_lshrrev_b32_e32 v26, 24, v26
	v_min_i32_e32 v37, 31, v27
	v_cndmask_b32_e32 v36, 3, v36, vcc_lo
	s_delay_alu instid0(VALU_DEP_3) | instskip(NEXT) | instid1(VALU_DEP_3)
	v_and_b32_e32 v26, 0x80, v26
	v_lshlrev_b32_e32 v37, 2, v37
	s_delay_alu instid0(VALU_DEP_3) | instskip(SKIP_1) | instid1(VALU_DEP_2)
	v_and_b32_e32 v38, 3, v36
	v_or_b32_e32 v27, v27, v36
	v_or3_b32 v26, v37, v26, v38
	s_delay_alu instid0(VALU_DEP_2) | instskip(NEXT) | instid1(VALU_DEP_2)
	v_cmp_ne_u32_e32 vcc_lo, 0, v27
	v_cndmask_b32_e32 v176, 0, v26, vcc_lo
.LBB6_13499:                            ;   in Loop: Header=BB6_12675 Depth=3
	s_or_b32 exec_lo, exec_lo, s30
.LBB6_13500:                            ;   in Loop: Header=BB6_12675 Depth=3
	s_delay_alu instid0(SALU_CYCLE_1) | instskip(SKIP_3) | instid1(VALU_DEP_1)
	s_or_b32 exec_lo, exec_lo, s17
	v_and_b32_e32 v27, 0xff, v53
	s_mov_b32 s13, 0
	s_mov_b32 s30, exec_lo
                                        ; implicit-def: $sgpr17
	v_cmpx_lt_i16_e32 0x7f, v27
	s_xor_b32 s30, exec_lo, s30
	s_cbranch_execnz .LBB6_14754
; %bb.13501:                            ;   in Loop: Header=BB6_12675 Depth=3
	s_or_saveexec_b32 s30, s30
	v_mov_b32_e32 v26, s17
	s_xor_b32 exec_lo, exec_lo, s30
	s_cbranch_execnz .LBB6_14757
.LBB6_13502:                            ;   in Loop: Header=BB6_12675 Depth=3
	s_or_b32 exec_lo, exec_lo, s30
	s_and_saveexec_b32 s17, s13
	s_cbranch_execz .LBB6_13504
.LBB6_13503:                            ;   in Loop: Header=BB6_12675 Depth=3
	v_lshlrev_b32_e32 v26, 8, v53
	s_delay_alu instid0(VALU_DEP_1) | instskip(SKIP_1) | instid1(VALU_DEP_2)
	v_and_b32_e32 v36, 0xff00, v26
	v_bfe_u32 v26, v26, 10, 5
	v_bfe_u32 v37, v36, 8, 2
	s_delay_alu instid0(VALU_DEP_2) | instskip(SKIP_1) | instid1(VALU_DEP_3)
	v_cmp_eq_u32_e32 vcc_lo, 0, v26
	v_lshlrev_b32_e32 v36, 16, v36
	v_clz_i32_u32_e32 v38, v37
	s_delay_alu instid0(VALU_DEP_2) | instskip(NEXT) | instid1(VALU_DEP_2)
	v_and_b32_e32 v36, 0x80000000, v36
	v_min_u32_e32 v38, 32, v38
	s_delay_alu instid0(VALU_DEP_1) | instskip(SKIP_1) | instid1(VALU_DEP_1)
	v_subrev_nc_u32_e32 v39, 29, v38
	v_sub_nc_u32_e32 v38, 30, v38
	v_dual_cndmask_b32 v26, v26, v38 :: v_dual_lshlrev_b32 v27, v39, v27
	s_delay_alu instid0(VALU_DEP_1) | instskip(NEXT) | instid1(VALU_DEP_2)
	v_and_b32_e32 v27, 3, v27
	v_lshl_add_u32 v26, v26, 23, 0x37800000
	s_delay_alu instid0(VALU_DEP_2) | instskip(NEXT) | instid1(VALU_DEP_1)
	v_cndmask_b32_e32 v27, v37, v27, vcc_lo
	v_lshlrev_b32_e32 v27, 21, v27
	s_delay_alu instid0(VALU_DEP_1)
	v_or3_b32 v26, v36, v26, v27
.LBB6_13504:                            ;   in Loop: Header=BB6_12675 Depth=3
	s_or_b32 exec_lo, exec_lo, s17
	v_lshrrev_b32_e32 v27, 24, v20
	s_mov_b32 s13, 0
	s_mov_b32 s30, exec_lo
                                        ; implicit-def: $sgpr17
	s_delay_alu instid0(VALU_DEP_1)
	v_cmpx_lt_i16_e32 0x7f, v27
	s_xor_b32 s30, exec_lo, s30
	s_cbranch_execnz .LBB6_14758
; %bb.13505:                            ;   in Loop: Header=BB6_12675 Depth=3
	s_or_saveexec_b32 s30, s30
	v_mov_b32_e32 v36, s17
	s_xor_b32 exec_lo, exec_lo, s30
	s_cbranch_execnz .LBB6_14761
.LBB6_13506:                            ;   in Loop: Header=BB6_12675 Depth=3
	s_or_b32 exec_lo, exec_lo, s30
	s_and_saveexec_b32 s17, s13
	s_cbranch_execz .LBB6_13508
.LBB6_13507:                            ;   in Loop: Header=BB6_12675 Depth=3
	v_bfe_u32 v36, v20, 24, 2
	s_delay_alu instid0(VALU_DEP_1) | instskip(NEXT) | instid1(VALU_DEP_1)
	v_clz_i32_u32_e32 v37, v36
	v_min_u32_e32 v37, 32, v37
	s_delay_alu instid0(VALU_DEP_1) | instskip(SKIP_1) | instid1(VALU_DEP_2)
	v_subrev_nc_u32_e32 v38, 29, v37
	v_sub_nc_u32_e32 v37, 30, v37
	v_lshlrev_b32_e32 v27, v38, v27
	v_bfe_u32 v38, v20, 26, 5
	v_and_b32_e32 v20, 0x80000000, v20
	s_delay_alu instid0(VALU_DEP_3) | instskip(NEXT) | instid1(VALU_DEP_3)
	v_and_b32_e32 v27, 3, v27
	v_cmp_eq_u32_e32 vcc_lo, 0, v38
	v_cndmask_b32_e32 v37, v38, v37, vcc_lo
	s_delay_alu instid0(VALU_DEP_3) | instskip(NEXT) | instid1(VALU_DEP_2)
	v_cndmask_b32_e32 v27, v36, v27, vcc_lo
	v_lshl_add_u32 v36, v37, 23, 0x37800000
	s_delay_alu instid0(VALU_DEP_2) | instskip(NEXT) | instid1(VALU_DEP_1)
	v_lshlrev_b32_e32 v27, 21, v27
	v_or3_b32 v36, v20, v36, v27
.LBB6_13508:                            ;   in Loop: Header=BB6_12675 Depth=3
	s_or_b32 exec_lo, exec_lo, s17
	s_delay_alu instid0(VALU_DEP_1) | instskip(NEXT) | instid1(VALU_DEP_1)
	v_add_f32_e32 v26, v26, v36
	v_and_b32_e32 v20, 0x7f800000, v26
	s_delay_alu instid0(VALU_DEP_1)
	v_cmp_ne_u32_e32 vcc_lo, 0x7f800000, v20
	v_mov_b32_e32 v20, 0x80
	s_and_saveexec_b32 s17, vcc_lo
	s_cbranch_execz .LBB6_13516
; %bb.13509:                            ;   in Loop: Header=BB6_12675 Depth=3
	v_mov_b32_e32 v20, 0
	s_mov_b32 s30, exec_lo
	v_cmpx_ne_u32_e32 0, v26
	s_cbranch_execz .LBB6_13515
; %bb.13510:                            ;   in Loop: Header=BB6_12675 Depth=3
	v_bfe_u32 v20, v26, 23, 8
	s_delay_alu instid0(VALU_DEP_1) | instskip(SKIP_1) | instid1(VALU_DEP_2)
	v_sub_nc_u32_e32 v36, 0x70, v20
	v_cmp_gt_u32_e32 vcc_lo, 0x71, v20
	v_dual_cndmask_b32 v36, 0, v36 :: v_dual_and_b32 v27, 0x7fffff, v26
	s_delay_alu instid0(VALU_DEP_1) | instskip(SKIP_2) | instid1(VALU_DEP_4)
	v_or_b32_e32 v37, 0x800000, v27
	v_cmp_eq_u32_e32 vcc_lo, 0, v20
	v_add_nc_u32_e32 v20, 0xffffff91, v20
	v_cndmask_b32_e64 v36, v36, 0x6f, vcc_lo
	s_delay_alu instid0(VALU_DEP_4) | instskip(NEXT) | instid1(VALU_DEP_3)
	v_cndmask_b32_e32 v27, v37, v27, vcc_lo
	v_cndmask_b32_e64 v20, v20, 0xffffff92, vcc_lo
	s_delay_alu instid0(VALU_DEP_3) | instskip(NEXT) | instid1(VALU_DEP_3)
	v_lshl_add_u32 v37, 0x200000, v36, -1
	v_lshrrev_b32_e32 v38, v36, v27
	v_lshlrev_b32_e64 v48, v36, 0x100000
	s_delay_alu instid0(VALU_DEP_4) | instskip(NEXT) | instid1(VALU_DEP_4)
	v_add_nc_u32_e32 v36, v36, v20
	v_and_b32_e32 v27, v37, v27
	s_delay_alu instid0(VALU_DEP_4) | instskip(NEXT) | instid1(VALU_DEP_2)
	v_bfe_u32 v39, v38, 21, 1
	v_cmp_eq_u32_e64 s13, v27, v48
	s_delay_alu instid0(VALU_DEP_2) | instskip(NEXT) | instid1(VALU_DEP_1)
	v_add_nc_u32_e32 v37, -1, v39
	v_cndmask_b32_e64 v27, 0, v37, s13
	v_lshrrev_b32_e32 v37, 23, v38
	s_mov_b32 s13, exec_lo
	s_delay_alu instid0(VALU_DEP_2) | instskip(NEXT) | instid1(VALU_DEP_2)
	v_add_nc_u32_e32 v27, v27, v38
	v_xor_b32_e32 v37, 1, v37
	s_delay_alu instid0(VALU_DEP_2) | instskip(NEXT) | instid1(VALU_DEP_1)
	v_and_b32_e32 v20, 0x1fffff, v27
	v_add_nc_u32_e32 v27, v20, v38
                                        ; implicit-def: $vgpr20
	s_delay_alu instid0(VALU_DEP_3)
	v_cmpx_ne_u32_e64 v36, v37
	s_xor_b32 s13, exec_lo, s13
; %bb.13511:                            ;   in Loop: Header=BB6_12675 Depth=3
	s_delay_alu instid0(VALU_DEP_2) | instskip(SKIP_2) | instid1(VALU_DEP_2)
	v_cmp_lt_u32_e32 vcc_lo, 0xffffff, v27
	v_sub_nc_u32_e32 v20, v36, v37
	v_cndmask_b32_e64 v36, 0, 1, vcc_lo
	v_add_co_ci_u32_e32 v20, vcc_lo, 0, v20, vcc_lo
	s_delay_alu instid0(VALU_DEP_2)
	v_lshrrev_b32_e32 v27, v36, v27
; %bb.13512:                            ;   in Loop: Header=BB6_12675 Depth=3
	s_and_not1_saveexec_b32 s13, s13
; %bb.13513:                            ;   in Loop: Header=BB6_12675 Depth=3
	s_delay_alu instid0(VALU_DEP_1)
	v_bfe_u32 v20, v27, 23, 1
; %bb.13514:                            ;   in Loop: Header=BB6_12675 Depth=3
	s_or_b32 exec_lo, exec_lo, s13
	v_lshrrev_b32_e32 v27, 21, v27
	s_delay_alu instid0(VALU_DEP_2) | instskip(SKIP_2) | instid1(VALU_DEP_2)
	v_cmp_gt_i32_e32 vcc_lo, 32, v20
	v_lshrrev_b32_e32 v26, 24, v26
	v_min_i32_e32 v36, 31, v20
	v_dual_cndmask_b32 v27, 3, v27 :: v_dual_and_b32 v26, 0x80, v26
	s_delay_alu instid0(VALU_DEP_2) | instskip(NEXT) | instid1(VALU_DEP_2)
	v_lshlrev_b32_e32 v36, 2, v36
	v_or_b32_e32 v20, v20, v27
	s_delay_alu instid0(VALU_DEP_1) | instskip(SKIP_1) | instid1(VALU_DEP_1)
	v_cmp_ne_u32_e32 vcc_lo, 0, v20
	v_and_b32_e32 v37, 3, v27
	v_or3_b32 v26, v36, v26, v37
	s_delay_alu instid0(VALU_DEP_1)
	v_cndmask_b32_e32 v20, 0, v26, vcc_lo
.LBB6_13515:                            ;   in Loop: Header=BB6_12675 Depth=3
	s_or_b32 exec_lo, exec_lo, s30
.LBB6_13516:                            ;   in Loop: Header=BB6_12675 Depth=3
	s_delay_alu instid0(SALU_CYCLE_1) | instskip(SKIP_3) | instid1(VALU_DEP_1)
	s_or_b32 exec_lo, exec_lo, s17
	v_or_b32_e32 v26, v126, v50
	s_mov_b32 s13, 0
	s_mov_b32 s30, exec_lo
                                        ; implicit-def: $sgpr17
	v_and_b32_e32 v36, 0xff, v26
	s_delay_alu instid0(VALU_DEP_1)
	v_cmpx_lt_i16_e32 0x7f, v36
	s_xor_b32 s30, exec_lo, s30
	s_cbranch_execnz .LBB6_14762
; %bb.13517:                            ;   in Loop: Header=BB6_12675 Depth=3
	s_or_saveexec_b32 s30, s30
	v_mov_b32_e32 v27, s17
	s_xor_b32 exec_lo, exec_lo, s30
	s_cbranch_execnz .LBB6_14765
.LBB6_13518:                            ;   in Loop: Header=BB6_12675 Depth=3
	s_or_b32 exec_lo, exec_lo, s30
	s_and_saveexec_b32 s17, s13
	s_cbranch_execz .LBB6_13520
.LBB6_13519:                            ;   in Loop: Header=BB6_12675 Depth=3
	v_bfe_u32 v38, v26, 2, 5
	v_lshlrev_b32_e32 v39, 24, v26
	s_delay_alu instid0(VALU_DEP_2) | instskip(SKIP_1) | instid1(VALU_DEP_1)
	v_cmp_eq_u32_e32 vcc_lo, 0, v38
	v_and_b32_e32 v27, 3, v26
	v_clz_i32_u32_e32 v36, v27
	s_delay_alu instid0(VALU_DEP_1) | instskip(NEXT) | instid1(VALU_DEP_1)
	v_min_u32_e32 v36, 32, v36
	v_subrev_nc_u32_e32 v37, 29, v36
	v_sub_nc_u32_e32 v36, 30, v36
	s_delay_alu instid0(VALU_DEP_1) | instskip(NEXT) | instid1(VALU_DEP_1)
	v_dual_cndmask_b32 v36, v38, v36 :: v_dual_lshlrev_b32 v37, v37, v26
	v_and_b32_e32 v37, 3, v37
	s_delay_alu instid0(VALU_DEP_2) | instskip(NEXT) | instid1(VALU_DEP_2)
	v_lshl_add_u32 v36, v36, 23, 0x37800000
	v_cndmask_b32_e32 v27, v27, v37, vcc_lo
	v_and_b32_e32 v37, 0x80000000, v39
	s_delay_alu instid0(VALU_DEP_2) | instskip(NEXT) | instid1(VALU_DEP_1)
	v_lshlrev_b32_e32 v27, 21, v27
	v_or3_b32 v27, v37, v36, v27
.LBB6_13520:                            ;   in Loop: Header=BB6_12675 Depth=3
	s_or_b32 exec_lo, exec_lo, s17
	v_and_b32_e32 v37, 0xff, v21
	s_mov_b32 s13, 0
	s_mov_b32 s30, exec_lo
                                        ; implicit-def: $sgpr17
	s_delay_alu instid0(VALU_DEP_1)
	v_cmpx_lt_i16_e32 0x7f, v37
	s_xor_b32 s30, exec_lo, s30
	s_cbranch_execnz .LBB6_14766
; %bb.13521:                            ;   in Loop: Header=BB6_12675 Depth=3
	s_or_saveexec_b32 s30, s30
	v_mov_b32_e32 v36, s17
	s_xor_b32 exec_lo, exec_lo, s30
	s_cbranch_execnz .LBB6_14769
.LBB6_13522:                            ;   in Loop: Header=BB6_12675 Depth=3
	s_or_b32 exec_lo, exec_lo, s30
	s_and_saveexec_b32 s17, s13
	s_cbranch_execz .LBB6_13524
.LBB6_13523:                            ;   in Loop: Header=BB6_12675 Depth=3
	v_and_b32_e32 v36, 3, v21
	v_bfe_u32 v39, v21, 2, 5
	v_lshlrev_b32_e32 v48, 24, v21
	s_delay_alu instid0(VALU_DEP_3) | instskip(NEXT) | instid1(VALU_DEP_3)
	v_clz_i32_u32_e32 v37, v36
	v_cmp_eq_u32_e32 vcc_lo, 0, v39
	s_delay_alu instid0(VALU_DEP_2) | instskip(NEXT) | instid1(VALU_DEP_1)
	v_min_u32_e32 v37, 32, v37
	v_subrev_nc_u32_e32 v38, 29, v37
	v_sub_nc_u32_e32 v37, 30, v37
	s_delay_alu instid0(VALU_DEP_2) | instskip(NEXT) | instid1(VALU_DEP_1)
	v_lshlrev_b32_e32 v38, v38, v21
	v_dual_cndmask_b32 v37, v39, v37 :: v_dual_and_b32 v38, 3, v38
	s_delay_alu instid0(VALU_DEP_1) | instskip(NEXT) | instid1(VALU_DEP_2)
	v_lshl_add_u32 v37, v37, 23, 0x37800000
	v_cndmask_b32_e32 v36, v36, v38, vcc_lo
	v_and_b32_e32 v38, 0x80000000, v48
	s_delay_alu instid0(VALU_DEP_2) | instskip(NEXT) | instid1(VALU_DEP_1)
	v_lshlrev_b32_e32 v36, 21, v36
	v_or3_b32 v36, v38, v37, v36
.LBB6_13524:                            ;   in Loop: Header=BB6_12675 Depth=3
	s_or_b32 exec_lo, exec_lo, s17
	s_delay_alu instid0(VALU_DEP_1) | instskip(SKIP_1) | instid1(VALU_DEP_1)
	v_dual_add_f32 v27, v27, v36 :: v_dual_mov_b32 v98, 0x80
	s_mov_b32 s17, exec_lo
	v_and_b32_e32 v36, 0x7f800000, v27
	s_delay_alu instid0(VALU_DEP_1)
	v_cmpx_ne_u32_e32 0x7f800000, v36
	s_cbranch_execz .LBB6_13532
; %bb.13525:                            ;   in Loop: Header=BB6_12675 Depth=3
	v_mov_b32_e32 v98, 0
	s_mov_b32 s30, exec_lo
	v_cmpx_ne_u32_e32 0, v27
	s_cbranch_execz .LBB6_13531
; %bb.13526:                            ;   in Loop: Header=BB6_12675 Depth=3
	v_bfe_u32 v36, v27, 23, 8
	s_delay_alu instid0(VALU_DEP_1) | instskip(SKIP_1) | instid1(VALU_DEP_2)
	v_sub_nc_u32_e32 v38, 0x70, v36
	v_cmp_gt_u32_e32 vcc_lo, 0x71, v36
	v_dual_cndmask_b32 v38, 0, v38 :: v_dual_and_b32 v37, 0x7fffff, v27
	s_delay_alu instid0(VALU_DEP_1) | instskip(SKIP_2) | instid1(VALU_DEP_4)
	v_or_b32_e32 v39, 0x800000, v37
	v_cmp_eq_u32_e32 vcc_lo, 0, v36
	v_add_nc_u32_e32 v36, 0xffffff91, v36
	v_cndmask_b32_e64 v38, v38, 0x6f, vcc_lo
	s_delay_alu instid0(VALU_DEP_4) | instskip(NEXT) | instid1(VALU_DEP_3)
	v_cndmask_b32_e32 v37, v39, v37, vcc_lo
	v_cndmask_b32_e64 v36, v36, 0xffffff92, vcc_lo
	s_delay_alu instid0(VALU_DEP_3) | instskip(NEXT) | instid1(VALU_DEP_3)
	v_lshl_add_u32 v39, 0x200000, v38, -1
	v_lshrrev_b32_e32 v48, v38, v37
	v_lshlrev_b32_e64 v50, v38, 0x100000
	s_delay_alu instid0(VALU_DEP_4) | instskip(NEXT) | instid1(VALU_DEP_4)
	v_add_nc_u32_e32 v38, v38, v36
	v_and_b32_e32 v37, v39, v37
	s_delay_alu instid0(VALU_DEP_4) | instskip(NEXT) | instid1(VALU_DEP_2)
	v_bfe_u32 v49, v48, 21, 1
	v_cmp_eq_u32_e64 s13, v37, v50
	s_delay_alu instid0(VALU_DEP_2) | instskip(NEXT) | instid1(VALU_DEP_1)
	v_add_nc_u32_e32 v39, -1, v49
	v_cndmask_b32_e64 v37, 0, v39, s13
	v_lshrrev_b32_e32 v39, 23, v48
	s_mov_b32 s13, exec_lo
	s_delay_alu instid0(VALU_DEP_2) | instskip(NEXT) | instid1(VALU_DEP_2)
	v_add_nc_u32_e32 v37, v37, v48
	v_xor_b32_e32 v39, 1, v39
	s_delay_alu instid0(VALU_DEP_2) | instskip(NEXT) | instid1(VALU_DEP_1)
	v_and_b32_e32 v36, 0x1fffff, v37
	v_add_nc_u32_e32 v37, v36, v48
                                        ; implicit-def: $vgpr36
	s_delay_alu instid0(VALU_DEP_3)
	v_cmpx_ne_u32_e64 v38, v39
	s_xor_b32 s13, exec_lo, s13
; %bb.13527:                            ;   in Loop: Header=BB6_12675 Depth=3
	s_delay_alu instid0(VALU_DEP_2) | instskip(SKIP_2) | instid1(VALU_DEP_2)
	v_cmp_lt_u32_e32 vcc_lo, 0xffffff, v37
	v_sub_nc_u32_e32 v36, v38, v39
	v_cndmask_b32_e64 v38, 0, 1, vcc_lo
	v_add_co_ci_u32_e32 v36, vcc_lo, 0, v36, vcc_lo
	s_delay_alu instid0(VALU_DEP_2)
	v_lshrrev_b32_e32 v37, v38, v37
; %bb.13528:                            ;   in Loop: Header=BB6_12675 Depth=3
	s_and_not1_saveexec_b32 s13, s13
; %bb.13529:                            ;   in Loop: Header=BB6_12675 Depth=3
	s_delay_alu instid0(VALU_DEP_1)
	v_bfe_u32 v36, v37, 23, 1
; %bb.13530:                            ;   in Loop: Header=BB6_12675 Depth=3
	s_or_b32 exec_lo, exec_lo, s13
	v_lshrrev_b32_e32 v37, 21, v37
	s_delay_alu instid0(VALU_DEP_2) | instskip(SKIP_2) | instid1(VALU_DEP_2)
	v_cmp_gt_i32_e32 vcc_lo, 32, v36
	v_min_i32_e32 v38, 31, v36
	v_lshrrev_b32_e32 v27, 24, v27
	v_dual_cndmask_b32 v37, 3, v37 :: v_dual_lshlrev_b32 v38, 2, v38
	s_delay_alu instid0(VALU_DEP_2) | instskip(NEXT) | instid1(VALU_DEP_2)
	v_and_b32_e32 v27, 0x80, v27
	v_or_b32_e32 v36, v36, v37
	s_delay_alu instid0(VALU_DEP_1) | instskip(SKIP_1) | instid1(VALU_DEP_1)
	v_cmp_ne_u32_e32 vcc_lo, 0, v36
	v_and_b32_e32 v39, 3, v37
	v_or3_b32 v27, v38, v27, v39
	s_delay_alu instid0(VALU_DEP_1)
	v_cndmask_b32_e32 v98, 0, v27, vcc_lo
.LBB6_13531:                            ;   in Loop: Header=BB6_12675 Depth=3
	s_or_b32 exec_lo, exec_lo, s30
.LBB6_13532:                            ;   in Loop: Header=BB6_12675 Depth=3
	s_delay_alu instid0(SALU_CYCLE_1) | instskip(SKIP_3) | instid1(VALU_DEP_1)
	s_or_b32 exec_lo, exec_lo, s17
	v_lshrrev_b16 v36, 8, v26
	s_mov_b32 s13, 0
	s_mov_b32 s30, exec_lo
                                        ; implicit-def: $sgpr17
	v_cmpx_lt_i16_e32 0x7f, v36
	s_xor_b32 s30, exec_lo, s30
	s_cbranch_execnz .LBB6_14770
; %bb.13533:                            ;   in Loop: Header=BB6_12675 Depth=3
	s_or_saveexec_b32 s30, s30
	v_mov_b32_e32 v27, s17
	s_xor_b32 exec_lo, exec_lo, s30
	s_cbranch_execnz .LBB6_14773
.LBB6_13534:                            ;   in Loop: Header=BB6_12675 Depth=3
	s_or_b32 exec_lo, exec_lo, s30
	s_and_saveexec_b32 s17, s13
	s_cbranch_execz .LBB6_13536
.LBB6_13535:                            ;   in Loop: Header=BB6_12675 Depth=3
	v_and_b32_e32 v27, 0xffff, v36
	s_delay_alu instid0(VALU_DEP_1) | instskip(NEXT) | instid1(VALU_DEP_1)
	v_and_b32_e32 v37, 3, v27
	v_clz_i32_u32_e32 v38, v37
	s_delay_alu instid0(VALU_DEP_1) | instskip(NEXT) | instid1(VALU_DEP_1)
	v_min_u32_e32 v38, 32, v38
	v_subrev_nc_u32_e32 v39, 29, v38
	v_sub_nc_u32_e32 v38, 30, v38
	s_delay_alu instid0(VALU_DEP_2) | instskip(SKIP_1) | instid1(VALU_DEP_2)
	v_lshlrev_b32_e32 v39, v39, v27
	v_bfe_u32 v27, v27, 2, 5
	v_and_b32_e32 v39, 3, v39
	s_delay_alu instid0(VALU_DEP_2) | instskip(SKIP_1) | instid1(VALU_DEP_1)
	v_cmp_eq_u32_e32 vcc_lo, 0, v27
	v_dual_cndmask_b32 v27, v27, v38 :: v_dual_lshlrev_b32 v36, 24, v36
	v_dual_cndmask_b32 v37, v37, v39 :: v_dual_and_b32 v36, 0x80000000, v36
	s_delay_alu instid0(VALU_DEP_2) | instskip(NEXT) | instid1(VALU_DEP_2)
	v_lshl_add_u32 v27, v27, 23, 0x37800000
	v_lshlrev_b32_e32 v37, 21, v37
	s_delay_alu instid0(VALU_DEP_1)
	v_or3_b32 v27, v36, v27, v37
.LBB6_13536:                            ;   in Loop: Header=BB6_12675 Depth=3
	s_or_b32 exec_lo, exec_lo, s17
	v_lshrrev_b16 v36, 8, v21
	s_mov_b32 s13, 0
	s_mov_b32 s30, exec_lo
                                        ; implicit-def: $sgpr17
	s_delay_alu instid0(VALU_DEP_1)
	v_cmpx_lt_i16_e32 0x7f, v36
	s_xor_b32 s30, exec_lo, s30
	s_cbranch_execnz .LBB6_14774
; %bb.13537:                            ;   in Loop: Header=BB6_12675 Depth=3
	s_or_saveexec_b32 s30, s30
	v_mov_b32_e32 v37, s17
	s_xor_b32 exec_lo, exec_lo, s30
	s_cbranch_execnz .LBB6_14777
.LBB6_13538:                            ;   in Loop: Header=BB6_12675 Depth=3
	s_or_b32 exec_lo, exec_lo, s30
	s_and_saveexec_b32 s17, s13
	s_cbranch_execz .LBB6_13540
.LBB6_13539:                            ;   in Loop: Header=BB6_12675 Depth=3
	v_and_b32_e32 v37, 0xffff, v36
	v_lshlrev_b32_e32 v36, 24, v36
	s_delay_alu instid0(VALU_DEP_2) | instskip(NEXT) | instid1(VALU_DEP_2)
	v_and_b32_e32 v38, 3, v37
	v_and_b32_e32 v36, 0x80000000, v36
	s_delay_alu instid0(VALU_DEP_2) | instskip(NEXT) | instid1(VALU_DEP_1)
	v_clz_i32_u32_e32 v39, v38
	v_min_u32_e32 v39, 32, v39
	s_delay_alu instid0(VALU_DEP_1) | instskip(SKIP_1) | instid1(VALU_DEP_2)
	v_subrev_nc_u32_e32 v48, 29, v39
	v_sub_nc_u32_e32 v39, 30, v39
	v_lshlrev_b32_e32 v48, v48, v37
	v_bfe_u32 v37, v37, 2, 5
	s_delay_alu instid0(VALU_DEP_2) | instskip(NEXT) | instid1(VALU_DEP_2)
	v_and_b32_e32 v48, 3, v48
	v_cmp_eq_u32_e32 vcc_lo, 0, v37
	s_delay_alu instid0(VALU_DEP_2) | instskip(NEXT) | instid1(VALU_DEP_1)
	v_dual_cndmask_b32 v37, v37, v39 :: v_dual_cndmask_b32 v38, v38, v48
	v_lshl_add_u32 v37, v37, 23, 0x37800000
	s_delay_alu instid0(VALU_DEP_2) | instskip(NEXT) | instid1(VALU_DEP_1)
	v_lshlrev_b32_e32 v38, 21, v38
	v_or3_b32 v37, v36, v37, v38
.LBB6_13540:                            ;   in Loop: Header=BB6_12675 Depth=3
	s_or_b32 exec_lo, exec_lo, s17
	s_delay_alu instid0(VALU_DEP_1) | instskip(SKIP_2) | instid1(VALU_DEP_2)
	v_add_f32_e32 v27, v27, v37
	v_mov_b32_e32 v101, 0x8000
	s_mov_b32 s17, exec_lo
	v_and_b32_e32 v36, 0x7f800000, v27
	s_delay_alu instid0(VALU_DEP_1)
	v_cmpx_ne_u32_e32 0x7f800000, v36
	s_cbranch_execz .LBB6_13548
; %bb.13541:                            ;   in Loop: Header=BB6_12675 Depth=3
	v_mov_b32_e32 v101, 0
	s_mov_b32 s30, exec_lo
	v_cmpx_ne_u32_e32 0, v27
	s_cbranch_execz .LBB6_13547
; %bb.13542:                            ;   in Loop: Header=BB6_12675 Depth=3
	v_bfe_u32 v36, v27, 23, 8
	s_delay_alu instid0(VALU_DEP_1) | instskip(SKIP_1) | instid1(VALU_DEP_2)
	v_sub_nc_u32_e32 v38, 0x70, v36
	v_cmp_gt_u32_e32 vcc_lo, 0x71, v36
	v_dual_cndmask_b32 v38, 0, v38 :: v_dual_and_b32 v37, 0x7fffff, v27
	s_delay_alu instid0(VALU_DEP_1) | instskip(SKIP_2) | instid1(VALU_DEP_4)
	v_or_b32_e32 v39, 0x800000, v37
	v_cmp_eq_u32_e32 vcc_lo, 0, v36
	v_add_nc_u32_e32 v36, 0xffffff91, v36
	v_cndmask_b32_e64 v38, v38, 0x6f, vcc_lo
	s_delay_alu instid0(VALU_DEP_4) | instskip(NEXT) | instid1(VALU_DEP_3)
	v_cndmask_b32_e32 v37, v39, v37, vcc_lo
	v_cndmask_b32_e64 v36, v36, 0xffffff92, vcc_lo
	s_delay_alu instid0(VALU_DEP_3) | instskip(NEXT) | instid1(VALU_DEP_3)
	v_lshl_add_u32 v39, 0x200000, v38, -1
	v_lshrrev_b32_e32 v48, v38, v37
	v_lshlrev_b32_e64 v50, v38, 0x100000
	s_delay_alu instid0(VALU_DEP_4) | instskip(NEXT) | instid1(VALU_DEP_4)
	v_add_nc_u32_e32 v38, v38, v36
	v_and_b32_e32 v37, v39, v37
	s_delay_alu instid0(VALU_DEP_4) | instskip(NEXT) | instid1(VALU_DEP_2)
	v_bfe_u32 v49, v48, 21, 1
	v_cmp_eq_u32_e64 s13, v37, v50
	s_delay_alu instid0(VALU_DEP_2) | instskip(NEXT) | instid1(VALU_DEP_1)
	v_add_nc_u32_e32 v39, -1, v49
	v_cndmask_b32_e64 v37, 0, v39, s13
	v_lshrrev_b32_e32 v39, 23, v48
	s_mov_b32 s13, exec_lo
	s_delay_alu instid0(VALU_DEP_2) | instskip(NEXT) | instid1(VALU_DEP_2)
	v_add_nc_u32_e32 v37, v37, v48
	v_xor_b32_e32 v39, 1, v39
	s_delay_alu instid0(VALU_DEP_2) | instskip(NEXT) | instid1(VALU_DEP_1)
	v_and_b32_e32 v36, 0x1fffff, v37
	v_add_nc_u32_e32 v37, v36, v48
                                        ; implicit-def: $vgpr36
	s_delay_alu instid0(VALU_DEP_3)
	v_cmpx_ne_u32_e64 v38, v39
	s_xor_b32 s13, exec_lo, s13
; %bb.13543:                            ;   in Loop: Header=BB6_12675 Depth=3
	s_delay_alu instid0(VALU_DEP_2) | instskip(SKIP_2) | instid1(VALU_DEP_2)
	v_cmp_lt_u32_e32 vcc_lo, 0xffffff, v37
	v_sub_nc_u32_e32 v36, v38, v39
	v_cndmask_b32_e64 v38, 0, 1, vcc_lo
	v_add_co_ci_u32_e32 v36, vcc_lo, 0, v36, vcc_lo
	s_delay_alu instid0(VALU_DEP_2)
	v_lshrrev_b32_e32 v37, v38, v37
; %bb.13544:                            ;   in Loop: Header=BB6_12675 Depth=3
	s_and_not1_saveexec_b32 s13, s13
; %bb.13545:                            ;   in Loop: Header=BB6_12675 Depth=3
	s_delay_alu instid0(VALU_DEP_1)
	v_bfe_u32 v36, v37, 23, 1
; %bb.13546:                            ;   in Loop: Header=BB6_12675 Depth=3
	s_or_b32 exec_lo, exec_lo, s13
	v_lshrrev_b32_e32 v37, 21, v37
	s_delay_alu instid0(VALU_DEP_2) | instskip(SKIP_2) | instid1(VALU_DEP_2)
	v_cmp_gt_i32_e32 vcc_lo, 32, v36
	v_min_i32_e32 v38, 31, v36
	v_lshrrev_b32_e32 v27, 24, v27
	v_dual_cndmask_b32 v37, 3, v37 :: v_dual_lshlrev_b32 v38, 2, v38
	s_delay_alu instid0(VALU_DEP_2) | instskip(NEXT) | instid1(VALU_DEP_2)
	v_and_b32_e32 v27, 0x80, v27
	v_or_b32_e32 v36, v36, v37
	v_and_b32_e32 v39, 3, v37
	s_delay_alu instid0(VALU_DEP_2) | instskip(SKIP_1) | instid1(VALU_DEP_1)
	v_cmp_ne_u32_e32 vcc_lo, 0, v36
	v_and_b32_e32 v38, 0xfc, v38
	v_or3_b32 v27, v27, v38, v39
	s_delay_alu instid0(VALU_DEP_1) | instskip(NEXT) | instid1(VALU_DEP_1)
	v_lshlrev_b32_e32 v27, 8, v27
	v_cndmask_b32_e32 v101, 0, v27, vcc_lo
.LBB6_13547:                            ;   in Loop: Header=BB6_12675 Depth=3
	s_or_b32 exec_lo, exec_lo, s30
.LBB6_13548:                            ;   in Loop: Header=BB6_12675 Depth=3
	s_delay_alu instid0(SALU_CYCLE_1) | instskip(SKIP_3) | instid1(VALU_DEP_1)
	s_or_b32 exec_lo, exec_lo, s17
	v_or_b32_e32 v36, v125, v56
	s_mov_b32 s13, 0
	s_mov_b32 s30, exec_lo
                                        ; implicit-def: $sgpr17
	v_and_b32_e32 v37, 0xff, v36
	s_delay_alu instid0(VALU_DEP_1)
	v_cmpx_lt_i16_e32 0x7f, v37
	s_xor_b32 s30, exec_lo, s30
	s_cbranch_execnz .LBB6_14778
; %bb.13549:                            ;   in Loop: Header=BB6_12675 Depth=3
	s_or_saveexec_b32 s30, s30
	v_mov_b32_e32 v27, s17
	s_xor_b32 exec_lo, exec_lo, s30
	s_cbranch_execnz .LBB6_14781
.LBB6_13550:                            ;   in Loop: Header=BB6_12675 Depth=3
	s_or_b32 exec_lo, exec_lo, s30
	v_lshl_or_b32 v26, v36, 16, v26
	s_and_saveexec_b32 s17, s13
	s_cbranch_execz .LBB6_13552
.LBB6_13551:                            ;   in Loop: Header=BB6_12675 Depth=3
	s_delay_alu instid0(VALU_DEP_1) | instskip(SKIP_2) | instid1(VALU_DEP_3)
	v_bfe_u32 v27, v26, 16, 2
	v_lshrrev_b32_e32 v37, 16, v26
	v_lshlrev_b32_e32 v39, 8, v26
	v_clz_i32_u32_e32 v36, v27
	s_delay_alu instid0(VALU_DEP_1) | instskip(NEXT) | instid1(VALU_DEP_1)
	v_min_u32_e32 v36, 32, v36
	v_subrev_nc_u32_e32 v38, 29, v36
	v_sub_nc_u32_e32 v36, 30, v36
	s_delay_alu instid0(VALU_DEP_2) | instskip(SKIP_1) | instid1(VALU_DEP_1)
	v_lshlrev_b32_e32 v37, v38, v37
	v_bfe_u32 v38, v26, 18, 5
	v_cmp_eq_u32_e32 vcc_lo, 0, v38
	s_delay_alu instid0(VALU_DEP_3) | instskip(NEXT) | instid1(VALU_DEP_1)
	v_dual_cndmask_b32 v36, v38, v36 :: v_dual_and_b32 v37, 3, v37
	v_cndmask_b32_e32 v27, v27, v37, vcc_lo
	v_and_b32_e32 v37, 0x80000000, v39
	s_delay_alu instid0(VALU_DEP_3) | instskip(NEXT) | instid1(VALU_DEP_3)
	v_lshl_add_u32 v36, v36, 23, 0x37800000
	v_lshlrev_b32_e32 v27, 21, v27
	s_delay_alu instid0(VALU_DEP_1)
	v_or3_b32 v27, v37, v36, v27
.LBB6_13552:                            ;   in Loop: Header=BB6_12675 Depth=3
	s_or_b32 exec_lo, exec_lo, s17
	v_lshrrev_b32_e32 v36, 16, v21
	s_mov_b32 s13, 0
	s_mov_b32 s30, exec_lo
                                        ; implicit-def: $sgpr17
	s_delay_alu instid0(VALU_DEP_1) | instskip(NEXT) | instid1(VALU_DEP_1)
	v_and_b32_e32 v38, 0xff, v36
	v_cmpx_lt_i16_e32 0x7f, v38
	s_xor_b32 s30, exec_lo, s30
	s_cbranch_execnz .LBB6_14782
; %bb.13553:                            ;   in Loop: Header=BB6_12675 Depth=3
	s_or_saveexec_b32 s30, s30
	v_mov_b32_e32 v37, s17
	s_xor_b32 exec_lo, exec_lo, s30
	s_cbranch_execnz .LBB6_14785
.LBB6_13554:                            ;   in Loop: Header=BB6_12675 Depth=3
	s_or_b32 exec_lo, exec_lo, s30
	s_and_saveexec_b32 s17, s13
	s_cbranch_execz .LBB6_13556
.LBB6_13555:                            ;   in Loop: Header=BB6_12675 Depth=3
	v_bfe_u32 v37, v21, 16, 2
	v_lshlrev_b32_e32 v48, 8, v21
	s_delay_alu instid0(VALU_DEP_2) | instskip(NEXT) | instid1(VALU_DEP_1)
	v_clz_i32_u32_e32 v38, v37
	v_min_u32_e32 v38, 32, v38
	s_delay_alu instid0(VALU_DEP_1) | instskip(SKIP_1) | instid1(VALU_DEP_2)
	v_subrev_nc_u32_e32 v39, 29, v38
	v_sub_nc_u32_e32 v38, 30, v38
	v_lshlrev_b32_e32 v36, v39, v36
	v_bfe_u32 v39, v21, 18, 5
	s_delay_alu instid0(VALU_DEP_2) | instskip(NEXT) | instid1(VALU_DEP_2)
	v_and_b32_e32 v36, 3, v36
	v_cmp_eq_u32_e32 vcc_lo, 0, v39
	v_cndmask_b32_e32 v38, v39, v38, vcc_lo
	s_delay_alu instid0(VALU_DEP_3) | instskip(SKIP_1) | instid1(VALU_DEP_3)
	v_cndmask_b32_e32 v36, v37, v36, vcc_lo
	v_and_b32_e32 v37, 0x80000000, v48
	v_lshl_add_u32 v38, v38, 23, 0x37800000
	s_delay_alu instid0(VALU_DEP_3) | instskip(NEXT) | instid1(VALU_DEP_1)
	v_lshlrev_b32_e32 v36, 21, v36
	v_or3_b32 v37, v37, v38, v36
.LBB6_13556:                            ;   in Loop: Header=BB6_12675 Depth=3
	s_or_b32 exec_lo, exec_lo, s17
	s_delay_alu instid0(VALU_DEP_1) | instskip(SKIP_1) | instid1(VALU_DEP_1)
	v_dual_add_f32 v27, v27, v37 :: v_dual_mov_b32 v56, 0x80
	s_mov_b32 s17, exec_lo
	v_and_b32_e32 v36, 0x7f800000, v27
	s_delay_alu instid0(VALU_DEP_1)
	v_cmpx_ne_u32_e32 0x7f800000, v36
	s_cbranch_execz .LBB6_13564
; %bb.13557:                            ;   in Loop: Header=BB6_12675 Depth=3
	v_mov_b32_e32 v56, 0
	s_mov_b32 s30, exec_lo
	v_cmpx_ne_u32_e32 0, v27
	s_cbranch_execz .LBB6_13563
; %bb.13558:                            ;   in Loop: Header=BB6_12675 Depth=3
	v_bfe_u32 v36, v27, 23, 8
	s_delay_alu instid0(VALU_DEP_1) | instskip(SKIP_1) | instid1(VALU_DEP_2)
	v_sub_nc_u32_e32 v38, 0x70, v36
	v_cmp_gt_u32_e32 vcc_lo, 0x71, v36
	v_dual_cndmask_b32 v38, 0, v38 :: v_dual_and_b32 v37, 0x7fffff, v27
	s_delay_alu instid0(VALU_DEP_1) | instskip(SKIP_2) | instid1(VALU_DEP_4)
	v_or_b32_e32 v39, 0x800000, v37
	v_cmp_eq_u32_e32 vcc_lo, 0, v36
	v_add_nc_u32_e32 v36, 0xffffff91, v36
	v_cndmask_b32_e64 v38, v38, 0x6f, vcc_lo
	s_delay_alu instid0(VALU_DEP_4) | instskip(NEXT) | instid1(VALU_DEP_3)
	v_cndmask_b32_e32 v37, v39, v37, vcc_lo
	v_cndmask_b32_e64 v36, v36, 0xffffff92, vcc_lo
	s_delay_alu instid0(VALU_DEP_3) | instskip(NEXT) | instid1(VALU_DEP_3)
	v_lshl_add_u32 v39, 0x200000, v38, -1
	v_lshrrev_b32_e32 v48, v38, v37
	v_lshlrev_b32_e64 v50, v38, 0x100000
	s_delay_alu instid0(VALU_DEP_4) | instskip(NEXT) | instid1(VALU_DEP_4)
	v_add_nc_u32_e32 v38, v38, v36
	v_and_b32_e32 v37, v39, v37
	s_delay_alu instid0(VALU_DEP_4) | instskip(NEXT) | instid1(VALU_DEP_2)
	v_bfe_u32 v49, v48, 21, 1
	v_cmp_eq_u32_e64 s13, v37, v50
	s_delay_alu instid0(VALU_DEP_2) | instskip(NEXT) | instid1(VALU_DEP_1)
	v_add_nc_u32_e32 v39, -1, v49
	v_cndmask_b32_e64 v37, 0, v39, s13
	v_lshrrev_b32_e32 v39, 23, v48
	s_mov_b32 s13, exec_lo
	s_delay_alu instid0(VALU_DEP_2) | instskip(NEXT) | instid1(VALU_DEP_2)
	v_add_nc_u32_e32 v37, v37, v48
	v_xor_b32_e32 v39, 1, v39
	s_delay_alu instid0(VALU_DEP_2) | instskip(NEXT) | instid1(VALU_DEP_1)
	v_and_b32_e32 v36, 0x1fffff, v37
	v_add_nc_u32_e32 v37, v36, v48
                                        ; implicit-def: $vgpr36
	s_delay_alu instid0(VALU_DEP_3)
	v_cmpx_ne_u32_e64 v38, v39
	s_xor_b32 s13, exec_lo, s13
; %bb.13559:                            ;   in Loop: Header=BB6_12675 Depth=3
	s_delay_alu instid0(VALU_DEP_2) | instskip(SKIP_2) | instid1(VALU_DEP_2)
	v_cmp_lt_u32_e32 vcc_lo, 0xffffff, v37
	v_sub_nc_u32_e32 v36, v38, v39
	v_cndmask_b32_e64 v38, 0, 1, vcc_lo
	v_add_co_ci_u32_e32 v36, vcc_lo, 0, v36, vcc_lo
	s_delay_alu instid0(VALU_DEP_2)
	v_lshrrev_b32_e32 v37, v38, v37
; %bb.13560:                            ;   in Loop: Header=BB6_12675 Depth=3
	s_and_not1_saveexec_b32 s13, s13
; %bb.13561:                            ;   in Loop: Header=BB6_12675 Depth=3
	s_delay_alu instid0(VALU_DEP_1)
	v_bfe_u32 v36, v37, 23, 1
; %bb.13562:                            ;   in Loop: Header=BB6_12675 Depth=3
	s_or_b32 exec_lo, exec_lo, s13
	v_lshrrev_b32_e32 v37, 21, v37
	s_delay_alu instid0(VALU_DEP_2) | instskip(SKIP_2) | instid1(VALU_DEP_2)
	v_cmp_gt_i32_e32 vcc_lo, 32, v36
	v_min_i32_e32 v38, 31, v36
	v_lshrrev_b32_e32 v27, 24, v27
	v_dual_cndmask_b32 v37, 3, v37 :: v_dual_lshlrev_b32 v38, 2, v38
	s_delay_alu instid0(VALU_DEP_2) | instskip(NEXT) | instid1(VALU_DEP_2)
	v_and_b32_e32 v27, 0x80, v27
	v_or_b32_e32 v36, v36, v37
	s_delay_alu instid0(VALU_DEP_3) | instskip(NEXT) | instid1(VALU_DEP_2)
	v_and_b32_e32 v38, 0xfc, v38
	v_cmp_ne_u32_e32 vcc_lo, 0, v36
	v_and_b32_e32 v39, 3, v37
	s_delay_alu instid0(VALU_DEP_1) | instskip(NEXT) | instid1(VALU_DEP_1)
	v_or3_b32 v27, v38, v27, v39
	v_cndmask_b32_e32 v56, 0, v27, vcc_lo
.LBB6_13563:                            ;   in Loop: Header=BB6_12675 Depth=3
	s_or_b32 exec_lo, exec_lo, s30
.LBB6_13564:                            ;   in Loop: Header=BB6_12675 Depth=3
	s_delay_alu instid0(SALU_CYCLE_1) | instskip(SKIP_3) | instid1(VALU_DEP_1)
	s_or_b32 exec_lo, exec_lo, s17
	v_lshrrev_b32_e32 v36, 24, v26
	s_mov_b32 s13, 0
	s_mov_b32 s30, exec_lo
                                        ; implicit-def: $sgpr17
	v_cmpx_lt_i16_e32 0x7f, v36
	s_xor_b32 s30, exec_lo, s30
	s_cbranch_execnz .LBB6_14786
; %bb.13565:                            ;   in Loop: Header=BB6_12675 Depth=3
	s_or_saveexec_b32 s30, s30
	v_mov_b32_e32 v27, s17
	s_xor_b32 exec_lo, exec_lo, s30
	s_cbranch_execnz .LBB6_14789
.LBB6_13566:                            ;   in Loop: Header=BB6_12675 Depth=3
	s_or_b32 exec_lo, exec_lo, s30
	s_and_saveexec_b32 s17, s13
	s_cbranch_execz .LBB6_13568
.LBB6_13567:                            ;   in Loop: Header=BB6_12675 Depth=3
	v_bfe_u32 v27, v26, 24, 2
	s_delay_alu instid0(VALU_DEP_1) | instskip(NEXT) | instid1(VALU_DEP_1)
	v_clz_i32_u32_e32 v37, v27
	v_min_u32_e32 v37, 32, v37
	s_delay_alu instid0(VALU_DEP_1) | instskip(SKIP_1) | instid1(VALU_DEP_2)
	v_subrev_nc_u32_e32 v38, 29, v37
	v_sub_nc_u32_e32 v37, 30, v37
	v_lshlrev_b32_e32 v36, v38, v36
	v_bfe_u32 v38, v26, 26, 5
	v_and_b32_e32 v26, 0x80000000, v26
	s_delay_alu instid0(VALU_DEP_2) | instskip(NEXT) | instid1(VALU_DEP_4)
	v_cmp_eq_u32_e32 vcc_lo, 0, v38
	v_dual_cndmask_b32 v37, v38, v37 :: v_dual_and_b32 v36, 3, v36
	s_delay_alu instid0(VALU_DEP_1) | instskip(NEXT) | instid1(VALU_DEP_2)
	v_cndmask_b32_e32 v27, v27, v36, vcc_lo
	v_lshl_add_u32 v36, v37, 23, 0x37800000
	s_delay_alu instid0(VALU_DEP_2) | instskip(NEXT) | instid1(VALU_DEP_1)
	v_lshlrev_b32_e32 v27, 21, v27
	v_or3_b32 v27, v26, v36, v27
.LBB6_13568:                            ;   in Loop: Header=BB6_12675 Depth=3
	s_or_b32 exec_lo, exec_lo, s17
	v_lshrrev_b32_e32 v26, 24, v21
	s_mov_b32 s13, 0
	s_mov_b32 s30, exec_lo
                                        ; implicit-def: $sgpr17
	s_delay_alu instid0(VALU_DEP_1)
	v_cmpx_lt_i16_e32 0x7f, v26
	s_xor_b32 s30, exec_lo, s30
	s_cbranch_execnz .LBB6_14790
; %bb.13569:                            ;   in Loop: Header=BB6_12675 Depth=3
	s_or_saveexec_b32 s30, s30
	v_mov_b32_e32 v36, s17
	s_xor_b32 exec_lo, exec_lo, s30
	s_cbranch_execnz .LBB6_14793
.LBB6_13570:                            ;   in Loop: Header=BB6_12675 Depth=3
	s_or_b32 exec_lo, exec_lo, s30
	s_and_saveexec_b32 s17, s13
	s_cbranch_execz .LBB6_13572
.LBB6_13571:                            ;   in Loop: Header=BB6_12675 Depth=3
	v_bfe_u32 v36, v21, 24, 2
	s_delay_alu instid0(VALU_DEP_1) | instskip(NEXT) | instid1(VALU_DEP_1)
	v_clz_i32_u32_e32 v37, v36
	v_min_u32_e32 v37, 32, v37
	s_delay_alu instid0(VALU_DEP_1) | instskip(SKIP_1) | instid1(VALU_DEP_2)
	v_subrev_nc_u32_e32 v38, 29, v37
	v_sub_nc_u32_e32 v37, 30, v37
	v_lshlrev_b32_e32 v26, v38, v26
	v_bfe_u32 v38, v21, 26, 5
	v_and_b32_e32 v21, 0x80000000, v21
	s_delay_alu instid0(VALU_DEP_2) | instskip(NEXT) | instid1(VALU_DEP_4)
	v_cmp_eq_u32_e32 vcc_lo, 0, v38
	v_dual_cndmask_b32 v37, v38, v37 :: v_dual_and_b32 v26, 3, v26
	s_delay_alu instid0(VALU_DEP_1) | instskip(NEXT) | instid1(VALU_DEP_2)
	v_cndmask_b32_e32 v26, v36, v26, vcc_lo
	v_lshl_add_u32 v36, v37, 23, 0x37800000
	s_delay_alu instid0(VALU_DEP_2) | instskip(NEXT) | instid1(VALU_DEP_1)
	v_lshlrev_b32_e32 v26, 21, v26
	v_or3_b32 v36, v21, v36, v26
.LBB6_13572:                            ;   in Loop: Header=BB6_12675 Depth=3
	s_or_b32 exec_lo, exec_lo, s17
	s_delay_alu instid0(VALU_DEP_1) | instskip(NEXT) | instid1(VALU_DEP_1)
	v_add_f32_e32 v26, v27, v36
	v_and_b32_e32 v21, 0x7f800000, v26
	s_delay_alu instid0(VALU_DEP_1)
	v_cmp_ne_u32_e32 vcc_lo, 0x7f800000, v21
	v_mov_b32_e32 v21, 0x8000
	s_and_saveexec_b32 s17, vcc_lo
	s_cbranch_execz .LBB6_13580
; %bb.13573:                            ;   in Loop: Header=BB6_12675 Depth=3
	v_mov_b32_e32 v21, 0
	s_mov_b32 s30, exec_lo
	v_cmpx_ne_u32_e32 0, v26
	s_cbranch_execz .LBB6_13579
; %bb.13574:                            ;   in Loop: Header=BB6_12675 Depth=3
	v_bfe_u32 v21, v26, 23, 8
	s_delay_alu instid0(VALU_DEP_1) | instskip(SKIP_1) | instid1(VALU_DEP_2)
	v_sub_nc_u32_e32 v36, 0x70, v21
	v_cmp_gt_u32_e32 vcc_lo, 0x71, v21
	v_dual_cndmask_b32 v36, 0, v36 :: v_dual_and_b32 v27, 0x7fffff, v26
	s_delay_alu instid0(VALU_DEP_1) | instskip(SKIP_2) | instid1(VALU_DEP_4)
	v_or_b32_e32 v37, 0x800000, v27
	v_cmp_eq_u32_e32 vcc_lo, 0, v21
	v_add_nc_u32_e32 v21, 0xffffff91, v21
	v_cndmask_b32_e64 v36, v36, 0x6f, vcc_lo
	s_delay_alu instid0(VALU_DEP_2) | instskip(SKIP_1) | instid1(VALU_DEP_3)
	v_cndmask_b32_e64 v21, v21, 0xffffff92, vcc_lo
	v_cndmask_b32_e32 v27, v37, v27, vcc_lo
	v_lshl_add_u32 v37, 0x200000, v36, -1
	v_lshlrev_b32_e64 v48, v36, 0x100000
	s_delay_alu instid0(VALU_DEP_3) | instskip(SKIP_1) | instid1(VALU_DEP_4)
	v_lshrrev_b32_e32 v38, v36, v27
	v_add_nc_u32_e32 v36, v36, v21
	v_and_b32_e32 v27, v37, v27
	s_delay_alu instid0(VALU_DEP_3) | instskip(NEXT) | instid1(VALU_DEP_2)
	v_bfe_u32 v39, v38, 21, 1
	v_cmp_eq_u32_e64 s13, v27, v48
	s_delay_alu instid0(VALU_DEP_2) | instskip(NEXT) | instid1(VALU_DEP_1)
	v_add_nc_u32_e32 v37, -1, v39
	v_cndmask_b32_e64 v27, 0, v37, s13
	v_lshrrev_b32_e32 v37, 23, v38
	s_mov_b32 s13, exec_lo
	s_delay_alu instid0(VALU_DEP_2) | instskip(NEXT) | instid1(VALU_DEP_2)
	v_add_nc_u32_e32 v27, v27, v38
	v_xor_b32_e32 v37, 1, v37
	s_delay_alu instid0(VALU_DEP_2) | instskip(NEXT) | instid1(VALU_DEP_1)
	v_and_b32_e32 v21, 0x1fffff, v27
	v_add_nc_u32_e32 v27, v21, v38
                                        ; implicit-def: $vgpr21
	s_delay_alu instid0(VALU_DEP_3)
	v_cmpx_ne_u32_e64 v36, v37
	s_xor_b32 s13, exec_lo, s13
; %bb.13575:                            ;   in Loop: Header=BB6_12675 Depth=3
	s_delay_alu instid0(VALU_DEP_2) | instskip(SKIP_2) | instid1(VALU_DEP_2)
	v_cmp_lt_u32_e32 vcc_lo, 0xffffff, v27
	v_sub_nc_u32_e32 v21, v36, v37
	v_cndmask_b32_e64 v36, 0, 1, vcc_lo
	v_add_co_ci_u32_e32 v21, vcc_lo, 0, v21, vcc_lo
	s_delay_alu instid0(VALU_DEP_2)
	v_lshrrev_b32_e32 v27, v36, v27
; %bb.13576:                            ;   in Loop: Header=BB6_12675 Depth=3
	s_and_not1_saveexec_b32 s13, s13
; %bb.13577:                            ;   in Loop: Header=BB6_12675 Depth=3
	s_delay_alu instid0(VALU_DEP_1)
	v_bfe_u32 v21, v27, 23, 1
; %bb.13578:                            ;   in Loop: Header=BB6_12675 Depth=3
	s_or_b32 exec_lo, exec_lo, s13
	v_lshrrev_b32_e32 v27, 21, v27
	s_delay_alu instid0(VALU_DEP_2) | instskip(SKIP_2) | instid1(VALU_DEP_2)
	v_cmp_gt_i32_e32 vcc_lo, 32, v21
	v_min_i32_e32 v36, 31, v21
	v_lshrrev_b32_e32 v26, 24, v26
	v_dual_cndmask_b32 v27, 3, v27 :: v_dual_lshlrev_b32 v36, 2, v36
	s_delay_alu instid0(VALU_DEP_2) | instskip(NEXT) | instid1(VALU_DEP_2)
	v_and_b32_e32 v26, 0x80, v26
	v_or_b32_e32 v21, v21, v27
	v_and_b32_e32 v37, 3, v27
	s_delay_alu instid0(VALU_DEP_2) | instskip(SKIP_1) | instid1(VALU_DEP_1)
	v_cmp_ne_u32_e32 vcc_lo, 0, v21
	v_and_b32_e32 v36, 0xfc, v36
	v_or3_b32 v26, v26, v36, v37
	s_delay_alu instid0(VALU_DEP_1) | instskip(NEXT) | instid1(VALU_DEP_1)
	v_lshlrev_b32_e32 v26, 8, v26
	v_cndmask_b32_e32 v21, 0, v26, vcc_lo
.LBB6_13579:                            ;   in Loop: Header=BB6_12675 Depth=3
	s_or_b32 exec_lo, exec_lo, s30
.LBB6_13580:                            ;   in Loop: Header=BB6_12675 Depth=3
	s_delay_alu instid0(SALU_CYCLE_1) | instskip(SKIP_3) | instid1(VALU_DEP_1)
	s_or_b32 exec_lo, exec_lo, s17
	v_and_b32_e32 v27, 0xff, v62
	s_mov_b32 s13, 0
	s_mov_b32 s30, exec_lo
                                        ; implicit-def: $sgpr17
	v_cmpx_lt_i16_e32 0x7f, v27
	s_xor_b32 s30, exec_lo, s30
	s_cbranch_execnz .LBB6_14794
; %bb.13581:                            ;   in Loop: Header=BB6_12675 Depth=3
	s_or_saveexec_b32 s30, s30
	v_mov_b32_e32 v26, s17
	s_xor_b32 exec_lo, exec_lo, s30
	s_cbranch_execnz .LBB6_14797
.LBB6_13582:                            ;   in Loop: Header=BB6_12675 Depth=3
	s_or_b32 exec_lo, exec_lo, s30
	s_and_saveexec_b32 s17, s13
	s_cbranch_execz .LBB6_13584
.LBB6_13583:                            ;   in Loop: Header=BB6_12675 Depth=3
	v_bfe_u32 v37, v62, 2, 5
	v_lshlrev_b32_e32 v38, 24, v62
	s_delay_alu instid0(VALU_DEP_2) | instskip(SKIP_1) | instid1(VALU_DEP_1)
	v_cmp_eq_u32_e32 vcc_lo, 0, v37
	v_and_b32_e32 v26, 3, v62
	v_clz_i32_u32_e32 v27, v26
	s_delay_alu instid0(VALU_DEP_1) | instskip(NEXT) | instid1(VALU_DEP_1)
	v_min_u32_e32 v27, 32, v27
	v_subrev_nc_u32_e32 v36, 29, v27
	v_sub_nc_u32_e32 v27, 30, v27
	s_delay_alu instid0(VALU_DEP_1) | instskip(NEXT) | instid1(VALU_DEP_1)
	v_dual_cndmask_b32 v27, v37, v27 :: v_dual_lshlrev_b32 v36, v36, v62
	v_and_b32_e32 v36, 3, v36
	s_delay_alu instid0(VALU_DEP_2) | instskip(NEXT) | instid1(VALU_DEP_2)
	v_lshl_add_u32 v27, v27, 23, 0x37800000
	v_cndmask_b32_e32 v26, v26, v36, vcc_lo
	v_and_b32_e32 v36, 0x80000000, v38
	s_delay_alu instid0(VALU_DEP_2) | instskip(NEXT) | instid1(VALU_DEP_1)
	v_lshlrev_b32_e32 v26, 21, v26
	v_or3_b32 v26, v36, v27, v26
.LBB6_13584:                            ;   in Loop: Header=BB6_12675 Depth=3
	s_or_b32 exec_lo, exec_lo, s17
	v_and_b32_e32 v36, 0xff, v22
	s_mov_b32 s13, 0
	s_mov_b32 s30, exec_lo
                                        ; implicit-def: $sgpr17
	s_delay_alu instid0(VALU_DEP_1)
	v_cmpx_lt_i16_e32 0x7f, v36
	s_xor_b32 s30, exec_lo, s30
	s_cbranch_execnz .LBB6_14798
; %bb.13585:                            ;   in Loop: Header=BB6_12675 Depth=3
	s_or_saveexec_b32 s30, s30
	v_mov_b32_e32 v27, s17
	s_xor_b32 exec_lo, exec_lo, s30
	s_cbranch_execnz .LBB6_14801
.LBB6_13586:                            ;   in Loop: Header=BB6_12675 Depth=3
	s_or_b32 exec_lo, exec_lo, s30
	s_and_saveexec_b32 s17, s13
	s_cbranch_execz .LBB6_13588
.LBB6_13587:                            ;   in Loop: Header=BB6_12675 Depth=3
	v_bfe_u32 v38, v22, 2, 5
	v_lshlrev_b32_e32 v39, 24, v22
	s_delay_alu instid0(VALU_DEP_2) | instskip(SKIP_1) | instid1(VALU_DEP_1)
	v_cmp_eq_u32_e32 vcc_lo, 0, v38
	v_and_b32_e32 v27, 3, v22
	v_clz_i32_u32_e32 v36, v27
	s_delay_alu instid0(VALU_DEP_1) | instskip(NEXT) | instid1(VALU_DEP_1)
	v_min_u32_e32 v36, 32, v36
	v_subrev_nc_u32_e32 v37, 29, v36
	v_sub_nc_u32_e32 v36, 30, v36
	s_delay_alu instid0(VALU_DEP_1) | instskip(NEXT) | instid1(VALU_DEP_1)
	v_dual_cndmask_b32 v36, v38, v36 :: v_dual_lshlrev_b32 v37, v37, v22
	v_and_b32_e32 v37, 3, v37
	s_delay_alu instid0(VALU_DEP_2) | instskip(NEXT) | instid1(VALU_DEP_2)
	v_lshl_add_u32 v36, v36, 23, 0x37800000
	v_cndmask_b32_e32 v27, v27, v37, vcc_lo
	v_and_b32_e32 v37, 0x80000000, v39
	s_delay_alu instid0(VALU_DEP_2) | instskip(NEXT) | instid1(VALU_DEP_1)
	v_lshlrev_b32_e32 v27, 21, v27
	v_or3_b32 v27, v37, v36, v27
.LBB6_13588:                            ;   in Loop: Header=BB6_12675 Depth=3
	s_or_b32 exec_lo, exec_lo, s17
	s_delay_alu instid0(VALU_DEP_1) | instskip(SKIP_2) | instid1(VALU_DEP_2)
	v_add_f32_e32 v26, v26, v27
	v_mov_b32_e32 v62, 0x80
	s_mov_b32 s17, exec_lo
	v_and_b32_e32 v27, 0x7f800000, v26
	s_delay_alu instid0(VALU_DEP_1)
	v_cmpx_ne_u32_e32 0x7f800000, v27
	s_cbranch_execz .LBB6_13596
; %bb.13589:                            ;   in Loop: Header=BB6_12675 Depth=3
	v_mov_b32_e32 v62, 0
	s_mov_b32 s30, exec_lo
	v_cmpx_ne_u32_e32 0, v26
	s_cbranch_execz .LBB6_13595
; %bb.13590:                            ;   in Loop: Header=BB6_12675 Depth=3
	v_bfe_u32 v27, v26, 23, 8
	s_delay_alu instid0(VALU_DEP_1) | instskip(SKIP_1) | instid1(VALU_DEP_2)
	v_sub_nc_u32_e32 v37, 0x70, v27
	v_cmp_gt_u32_e32 vcc_lo, 0x71, v27
	v_dual_cndmask_b32 v37, 0, v37 :: v_dual_and_b32 v36, 0x7fffff, v26
	s_delay_alu instid0(VALU_DEP_1) | instskip(SKIP_2) | instid1(VALU_DEP_4)
	v_or_b32_e32 v38, 0x800000, v36
	v_cmp_eq_u32_e32 vcc_lo, 0, v27
	v_add_nc_u32_e32 v27, 0xffffff91, v27
	v_cndmask_b32_e64 v37, v37, 0x6f, vcc_lo
	s_delay_alu instid0(VALU_DEP_4) | instskip(NEXT) | instid1(VALU_DEP_3)
	v_cndmask_b32_e32 v36, v38, v36, vcc_lo
	v_cndmask_b32_e64 v27, v27, 0xffffff92, vcc_lo
	s_delay_alu instid0(VALU_DEP_3) | instskip(NEXT) | instid1(VALU_DEP_3)
	v_lshl_add_u32 v38, 0x200000, v37, -1
	v_lshrrev_b32_e32 v39, v37, v36
	v_lshlrev_b32_e64 v49, v37, 0x100000
	s_delay_alu instid0(VALU_DEP_4) | instskip(NEXT) | instid1(VALU_DEP_4)
	v_add_nc_u32_e32 v37, v37, v27
	v_and_b32_e32 v36, v38, v36
	s_delay_alu instid0(VALU_DEP_4) | instskip(NEXT) | instid1(VALU_DEP_2)
	v_bfe_u32 v48, v39, 21, 1
	v_cmp_eq_u32_e64 s13, v36, v49
	s_delay_alu instid0(VALU_DEP_2) | instskip(NEXT) | instid1(VALU_DEP_1)
	v_add_nc_u32_e32 v38, -1, v48
	v_cndmask_b32_e64 v36, 0, v38, s13
	v_lshrrev_b32_e32 v38, 23, v39
	s_mov_b32 s13, exec_lo
	s_delay_alu instid0(VALU_DEP_2) | instskip(NEXT) | instid1(VALU_DEP_2)
	v_add_nc_u32_e32 v36, v36, v39
	v_xor_b32_e32 v38, 1, v38
	s_delay_alu instid0(VALU_DEP_2) | instskip(NEXT) | instid1(VALU_DEP_1)
	v_and_b32_e32 v27, 0x1fffff, v36
	v_add_nc_u32_e32 v36, v27, v39
                                        ; implicit-def: $vgpr27
	s_delay_alu instid0(VALU_DEP_3)
	v_cmpx_ne_u32_e64 v37, v38
	s_xor_b32 s13, exec_lo, s13
; %bb.13591:                            ;   in Loop: Header=BB6_12675 Depth=3
	s_delay_alu instid0(VALU_DEP_2) | instskip(SKIP_2) | instid1(VALU_DEP_2)
	v_cmp_lt_u32_e32 vcc_lo, 0xffffff, v36
	v_sub_nc_u32_e32 v27, v37, v38
	v_cndmask_b32_e64 v37, 0, 1, vcc_lo
	v_add_co_ci_u32_e32 v27, vcc_lo, 0, v27, vcc_lo
	s_delay_alu instid0(VALU_DEP_2)
	v_lshrrev_b32_e32 v36, v37, v36
; %bb.13592:                            ;   in Loop: Header=BB6_12675 Depth=3
	s_and_not1_saveexec_b32 s13, s13
; %bb.13593:                            ;   in Loop: Header=BB6_12675 Depth=3
	s_delay_alu instid0(VALU_DEP_1)
	v_bfe_u32 v27, v36, 23, 1
; %bb.13594:                            ;   in Loop: Header=BB6_12675 Depth=3
	s_or_b32 exec_lo, exec_lo, s13
	v_lshrrev_b32_e32 v36, 21, v36
	s_delay_alu instid0(VALU_DEP_2) | instskip(SKIP_2) | instid1(VALU_DEP_4)
	v_cmp_gt_i32_e32 vcc_lo, 32, v27
	v_lshrrev_b32_e32 v26, 24, v26
	v_min_i32_e32 v37, 31, v27
	v_cndmask_b32_e32 v36, 3, v36, vcc_lo
	s_delay_alu instid0(VALU_DEP_3) | instskip(NEXT) | instid1(VALU_DEP_3)
	v_and_b32_e32 v26, 0x80, v26
	v_lshlrev_b32_e32 v37, 2, v37
	s_delay_alu instid0(VALU_DEP_3) | instskip(SKIP_1) | instid1(VALU_DEP_2)
	v_and_b32_e32 v38, 3, v36
	v_or_b32_e32 v27, v27, v36
	v_or3_b32 v26, v37, v26, v38
	s_delay_alu instid0(VALU_DEP_2) | instskip(NEXT) | instid1(VALU_DEP_2)
	v_cmp_ne_u32_e32 vcc_lo, 0, v27
	v_cndmask_b32_e32 v62, 0, v26, vcc_lo
.LBB6_13595:                            ;   in Loop: Header=BB6_12675 Depth=3
	s_or_b32 exec_lo, exec_lo, s30
.LBB6_13596:                            ;   in Loop: Header=BB6_12675 Depth=3
	s_delay_alu instid0(SALU_CYCLE_1) | instskip(SKIP_3) | instid1(VALU_DEP_1)
	s_or_b32 exec_lo, exec_lo, s17
	v_and_b32_e32 v27, 0xff, v75
	s_mov_b32 s13, 0
	s_mov_b32 s30, exec_lo
                                        ; implicit-def: $sgpr17
	v_cmpx_lt_i16_e32 0x7f, v27
	s_xor_b32 s30, exec_lo, s30
	s_cbranch_execnz .LBB6_14802
; %bb.13597:                            ;   in Loop: Header=BB6_12675 Depth=3
	s_or_saveexec_b32 s30, s30
	v_mov_b32_e32 v26, s17
	s_xor_b32 exec_lo, exec_lo, s30
	s_cbranch_execnz .LBB6_14805
.LBB6_13598:                            ;   in Loop: Header=BB6_12675 Depth=3
	s_or_b32 exec_lo, exec_lo, s30
	s_and_saveexec_b32 s17, s13
	s_cbranch_execz .LBB6_13600
.LBB6_13599:                            ;   in Loop: Header=BB6_12675 Depth=3
	v_and_b32_e32 v26, 3, v75
	v_bfe_u32 v37, v75, 2, 5
	v_lshlrev_b32_e32 v38, 24, v75
	s_delay_alu instid0(VALU_DEP_3) | instskip(NEXT) | instid1(VALU_DEP_3)
	v_clz_i32_u32_e32 v27, v26
	v_cmp_eq_u32_e32 vcc_lo, 0, v37
	s_delay_alu instid0(VALU_DEP_2) | instskip(NEXT) | instid1(VALU_DEP_1)
	v_min_u32_e32 v27, 32, v27
	v_subrev_nc_u32_e32 v36, 29, v27
	v_sub_nc_u32_e32 v27, 30, v27
	s_delay_alu instid0(VALU_DEP_2) | instskip(NEXT) | instid1(VALU_DEP_1)
	v_lshlrev_b32_e32 v36, v36, v75
	v_dual_cndmask_b32 v27, v37, v27 :: v_dual_and_b32 v36, 3, v36
	s_delay_alu instid0(VALU_DEP_1) | instskip(NEXT) | instid1(VALU_DEP_2)
	v_lshl_add_u32 v27, v27, 23, 0x37800000
	v_cndmask_b32_e32 v26, v26, v36, vcc_lo
	v_and_b32_e32 v36, 0x80000000, v38
	s_delay_alu instid0(VALU_DEP_2) | instskip(NEXT) | instid1(VALU_DEP_1)
	v_lshlrev_b32_e32 v26, 21, v26
	v_or3_b32 v26, v36, v27, v26
.LBB6_13600:                            ;   in Loop: Header=BB6_12675 Depth=3
	s_or_b32 exec_lo, exec_lo, s17
	v_lshrrev_b16 v27, 8, v22
	s_mov_b32 s13, 0
	s_mov_b32 s30, exec_lo
                                        ; implicit-def: $sgpr17
	s_delay_alu instid0(VALU_DEP_1)
	v_cmpx_lt_i16_e32 0x7f, v27
	s_xor_b32 s30, exec_lo, s30
	s_cbranch_execnz .LBB6_14806
; %bb.13601:                            ;   in Loop: Header=BB6_12675 Depth=3
	s_or_saveexec_b32 s30, s30
	v_mov_b32_e32 v36, s17
	s_xor_b32 exec_lo, exec_lo, s30
	s_cbranch_execnz .LBB6_14809
.LBB6_13602:                            ;   in Loop: Header=BB6_12675 Depth=3
	s_or_b32 exec_lo, exec_lo, s30
	s_and_saveexec_b32 s17, s13
	s_cbranch_execz .LBB6_13604
.LBB6_13603:                            ;   in Loop: Header=BB6_12675 Depth=3
	v_and_b32_e32 v36, 0xffff, v27
	v_lshlrev_b32_e32 v27, 24, v27
	s_delay_alu instid0(VALU_DEP_2) | instskip(NEXT) | instid1(VALU_DEP_2)
	v_and_b32_e32 v37, 3, v36
	v_and_b32_e32 v27, 0x80000000, v27
	s_delay_alu instid0(VALU_DEP_2) | instskip(NEXT) | instid1(VALU_DEP_1)
	v_clz_i32_u32_e32 v38, v37
	v_min_u32_e32 v38, 32, v38
	s_delay_alu instid0(VALU_DEP_1) | instskip(SKIP_1) | instid1(VALU_DEP_2)
	v_subrev_nc_u32_e32 v39, 29, v38
	v_sub_nc_u32_e32 v38, 30, v38
	v_lshlrev_b32_e32 v39, v39, v36
	v_bfe_u32 v36, v36, 2, 5
	s_delay_alu instid0(VALU_DEP_2) | instskip(NEXT) | instid1(VALU_DEP_2)
	v_and_b32_e32 v39, 3, v39
	v_cmp_eq_u32_e32 vcc_lo, 0, v36
	s_delay_alu instid0(VALU_DEP_2) | instskip(NEXT) | instid1(VALU_DEP_1)
	v_dual_cndmask_b32 v36, v36, v38 :: v_dual_cndmask_b32 v37, v37, v39
	v_lshl_add_u32 v36, v36, 23, 0x37800000
	s_delay_alu instid0(VALU_DEP_2) | instskip(NEXT) | instid1(VALU_DEP_1)
	v_lshlrev_b32_e32 v37, 21, v37
	v_or3_b32 v36, v27, v36, v37
.LBB6_13604:                            ;   in Loop: Header=BB6_12675 Depth=3
	s_or_b32 exec_lo, exec_lo, s17
	s_delay_alu instid0(VALU_DEP_1) | instskip(SKIP_1) | instid1(VALU_DEP_1)
	v_dual_add_f32 v26, v26, v36 :: v_dual_mov_b32 v75, 0x80
	s_mov_b32 s17, exec_lo
	v_and_b32_e32 v27, 0x7f800000, v26
	s_delay_alu instid0(VALU_DEP_1)
	v_cmpx_ne_u32_e32 0x7f800000, v27
	s_cbranch_execz .LBB6_13612
; %bb.13605:                            ;   in Loop: Header=BB6_12675 Depth=3
	v_mov_b32_e32 v75, 0
	s_mov_b32 s30, exec_lo
	v_cmpx_ne_u32_e32 0, v26
	s_cbranch_execz .LBB6_13611
; %bb.13606:                            ;   in Loop: Header=BB6_12675 Depth=3
	v_bfe_u32 v27, v26, 23, 8
	s_delay_alu instid0(VALU_DEP_1) | instskip(SKIP_1) | instid1(VALU_DEP_2)
	v_sub_nc_u32_e32 v37, 0x70, v27
	v_cmp_gt_u32_e32 vcc_lo, 0x71, v27
	v_dual_cndmask_b32 v37, 0, v37 :: v_dual_and_b32 v36, 0x7fffff, v26
	s_delay_alu instid0(VALU_DEP_1) | instskip(SKIP_2) | instid1(VALU_DEP_4)
	v_or_b32_e32 v38, 0x800000, v36
	v_cmp_eq_u32_e32 vcc_lo, 0, v27
	v_add_nc_u32_e32 v27, 0xffffff91, v27
	v_cndmask_b32_e64 v37, v37, 0x6f, vcc_lo
	s_delay_alu instid0(VALU_DEP_4) | instskip(NEXT) | instid1(VALU_DEP_3)
	v_cndmask_b32_e32 v36, v38, v36, vcc_lo
	v_cndmask_b32_e64 v27, v27, 0xffffff92, vcc_lo
	s_delay_alu instid0(VALU_DEP_3) | instskip(NEXT) | instid1(VALU_DEP_3)
	v_lshl_add_u32 v38, 0x200000, v37, -1
	v_lshrrev_b32_e32 v39, v37, v36
	v_lshlrev_b32_e64 v49, v37, 0x100000
	s_delay_alu instid0(VALU_DEP_4) | instskip(NEXT) | instid1(VALU_DEP_4)
	v_add_nc_u32_e32 v37, v37, v27
	v_and_b32_e32 v36, v38, v36
	s_delay_alu instid0(VALU_DEP_4) | instskip(NEXT) | instid1(VALU_DEP_2)
	v_bfe_u32 v48, v39, 21, 1
	v_cmp_eq_u32_e64 s13, v36, v49
	s_delay_alu instid0(VALU_DEP_2) | instskip(NEXT) | instid1(VALU_DEP_1)
	v_add_nc_u32_e32 v38, -1, v48
	v_cndmask_b32_e64 v36, 0, v38, s13
	v_lshrrev_b32_e32 v38, 23, v39
	s_mov_b32 s13, exec_lo
	s_delay_alu instid0(VALU_DEP_2) | instskip(NEXT) | instid1(VALU_DEP_2)
	v_add_nc_u32_e32 v36, v36, v39
	v_xor_b32_e32 v38, 1, v38
	s_delay_alu instid0(VALU_DEP_2) | instskip(NEXT) | instid1(VALU_DEP_1)
	v_and_b32_e32 v27, 0x1fffff, v36
	v_add_nc_u32_e32 v36, v27, v39
                                        ; implicit-def: $vgpr27
	s_delay_alu instid0(VALU_DEP_3)
	v_cmpx_ne_u32_e64 v37, v38
	s_xor_b32 s13, exec_lo, s13
; %bb.13607:                            ;   in Loop: Header=BB6_12675 Depth=3
	s_delay_alu instid0(VALU_DEP_2) | instskip(SKIP_2) | instid1(VALU_DEP_2)
	v_cmp_lt_u32_e32 vcc_lo, 0xffffff, v36
	v_sub_nc_u32_e32 v27, v37, v38
	v_cndmask_b32_e64 v37, 0, 1, vcc_lo
	v_add_co_ci_u32_e32 v27, vcc_lo, 0, v27, vcc_lo
	s_delay_alu instid0(VALU_DEP_2)
	v_lshrrev_b32_e32 v36, v37, v36
; %bb.13608:                            ;   in Loop: Header=BB6_12675 Depth=3
	s_and_not1_saveexec_b32 s13, s13
; %bb.13609:                            ;   in Loop: Header=BB6_12675 Depth=3
	s_delay_alu instid0(VALU_DEP_1)
	v_bfe_u32 v27, v36, 23, 1
; %bb.13610:                            ;   in Loop: Header=BB6_12675 Depth=3
	s_or_b32 exec_lo, exec_lo, s13
	v_lshrrev_b32_e32 v36, 21, v36
	s_delay_alu instid0(VALU_DEP_2) | instskip(SKIP_2) | instid1(VALU_DEP_2)
	v_cmp_gt_i32_e32 vcc_lo, 32, v27
	v_min_i32_e32 v37, 31, v27
	v_lshrrev_b32_e32 v26, 24, v26
	v_dual_cndmask_b32 v36, 3, v36 :: v_dual_lshlrev_b32 v37, 2, v37
	s_delay_alu instid0(VALU_DEP_2) | instskip(NEXT) | instid1(VALU_DEP_2)
	v_and_b32_e32 v26, 0x80, v26
	v_or_b32_e32 v27, v27, v36
	s_delay_alu instid0(VALU_DEP_1) | instskip(SKIP_1) | instid1(VALU_DEP_1)
	v_cmp_ne_u32_e32 vcc_lo, 0, v27
	v_and_b32_e32 v38, 3, v36
	v_or3_b32 v26, v37, v26, v38
	s_delay_alu instid0(VALU_DEP_1)
	v_cndmask_b32_e32 v75, 0, v26, vcc_lo
.LBB6_13611:                            ;   in Loop: Header=BB6_12675 Depth=3
	s_or_b32 exec_lo, exec_lo, s30
.LBB6_13612:                            ;   in Loop: Header=BB6_12675 Depth=3
	s_delay_alu instid0(SALU_CYCLE_1) | instskip(SKIP_3) | instid1(VALU_DEP_1)
	s_or_b32 exec_lo, exec_lo, s17
	v_and_b32_e32 v27, 0xff, v79
	s_mov_b32 s13, 0
	s_mov_b32 s30, exec_lo
                                        ; implicit-def: $sgpr17
	v_cmpx_lt_i16_e32 0x7f, v27
	s_xor_b32 s30, exec_lo, s30
	s_cbranch_execnz .LBB6_14810
; %bb.13613:                            ;   in Loop: Header=BB6_12675 Depth=3
	s_or_saveexec_b32 s30, s30
	v_mov_b32_e32 v26, s17
	s_xor_b32 exec_lo, exec_lo, s30
	s_cbranch_execnz .LBB6_14813
.LBB6_13614:                            ;   in Loop: Header=BB6_12675 Depth=3
	s_or_b32 exec_lo, exec_lo, s30
	s_and_saveexec_b32 s17, s13
	s_cbranch_execz .LBB6_13616
.LBB6_13615:                            ;   in Loop: Header=BB6_12675 Depth=3
	v_and_b32_e32 v26, 3, v79
	v_bfe_u32 v37, v79, 2, 5
	v_lshlrev_b32_e32 v38, 24, v79
	s_delay_alu instid0(VALU_DEP_3) | instskip(NEXT) | instid1(VALU_DEP_3)
	v_clz_i32_u32_e32 v27, v26
	v_cmp_eq_u32_e32 vcc_lo, 0, v37
	s_delay_alu instid0(VALU_DEP_2) | instskip(NEXT) | instid1(VALU_DEP_1)
	v_min_u32_e32 v27, 32, v27
	v_subrev_nc_u32_e32 v36, 29, v27
	v_sub_nc_u32_e32 v27, 30, v27
	s_delay_alu instid0(VALU_DEP_2) | instskip(NEXT) | instid1(VALU_DEP_1)
	v_lshlrev_b32_e32 v36, v36, v79
	v_dual_cndmask_b32 v27, v37, v27 :: v_dual_and_b32 v36, 3, v36
	s_delay_alu instid0(VALU_DEP_1) | instskip(NEXT) | instid1(VALU_DEP_2)
	v_lshl_add_u32 v27, v27, 23, 0x37800000
	v_cndmask_b32_e32 v26, v26, v36, vcc_lo
	v_and_b32_e32 v36, 0x80000000, v38
	s_delay_alu instid0(VALU_DEP_2) | instskip(NEXT) | instid1(VALU_DEP_1)
	v_lshlrev_b32_e32 v26, 21, v26
	v_or3_b32 v26, v36, v27, v26
.LBB6_13616:                            ;   in Loop: Header=BB6_12675 Depth=3
	s_or_b32 exec_lo, exec_lo, s17
	v_lshrrev_b32_e32 v27, 16, v22
	s_mov_b32 s13, 0
	s_mov_b32 s30, exec_lo
                                        ; implicit-def: $sgpr17
	s_delay_alu instid0(VALU_DEP_1) | instskip(NEXT) | instid1(VALU_DEP_1)
	v_and_b32_e32 v37, 0xff, v27
	v_cmpx_lt_i16_e32 0x7f, v37
	s_xor_b32 s30, exec_lo, s30
	s_cbranch_execnz .LBB6_14814
; %bb.13617:                            ;   in Loop: Header=BB6_12675 Depth=3
	s_or_saveexec_b32 s30, s30
	v_mov_b32_e32 v36, s17
	s_xor_b32 exec_lo, exec_lo, s30
	s_cbranch_execnz .LBB6_14817
.LBB6_13618:                            ;   in Loop: Header=BB6_12675 Depth=3
	s_or_b32 exec_lo, exec_lo, s30
	s_and_saveexec_b32 s17, s13
	s_cbranch_execz .LBB6_13620
.LBB6_13619:                            ;   in Loop: Header=BB6_12675 Depth=3
	v_bfe_u32 v36, v22, 16, 2
	v_lshlrev_b32_e32 v39, 8, v22
	s_delay_alu instid0(VALU_DEP_2) | instskip(NEXT) | instid1(VALU_DEP_1)
	v_clz_i32_u32_e32 v37, v36
	v_min_u32_e32 v37, 32, v37
	s_delay_alu instid0(VALU_DEP_1) | instskip(SKIP_1) | instid1(VALU_DEP_2)
	v_subrev_nc_u32_e32 v38, 29, v37
	v_sub_nc_u32_e32 v37, 30, v37
	v_lshlrev_b32_e32 v27, v38, v27
	v_bfe_u32 v38, v22, 18, 5
	s_delay_alu instid0(VALU_DEP_2) | instskip(NEXT) | instid1(VALU_DEP_2)
	v_and_b32_e32 v27, 3, v27
	v_cmp_eq_u32_e32 vcc_lo, 0, v38
	v_cndmask_b32_e32 v37, v38, v37, vcc_lo
	s_delay_alu instid0(VALU_DEP_3) | instskip(SKIP_1) | instid1(VALU_DEP_3)
	v_cndmask_b32_e32 v27, v36, v27, vcc_lo
	v_and_b32_e32 v36, 0x80000000, v39
	v_lshl_add_u32 v37, v37, 23, 0x37800000
	s_delay_alu instid0(VALU_DEP_3) | instskip(NEXT) | instid1(VALU_DEP_1)
	v_lshlrev_b32_e32 v27, 21, v27
	v_or3_b32 v36, v36, v37, v27
.LBB6_13620:                            ;   in Loop: Header=BB6_12675 Depth=3
	s_or_b32 exec_lo, exec_lo, s17
	s_delay_alu instid0(VALU_DEP_1) | instskip(SKIP_1) | instid1(VALU_DEP_1)
	v_dual_add_f32 v26, v26, v36 :: v_dual_mov_b32 v79, 0x80
	s_mov_b32 s17, exec_lo
	v_and_b32_e32 v27, 0x7f800000, v26
	s_delay_alu instid0(VALU_DEP_1)
	v_cmpx_ne_u32_e32 0x7f800000, v27
	s_cbranch_execz .LBB6_13628
; %bb.13621:                            ;   in Loop: Header=BB6_12675 Depth=3
	v_mov_b32_e32 v79, 0
	s_mov_b32 s30, exec_lo
	v_cmpx_ne_u32_e32 0, v26
	s_cbranch_execz .LBB6_13627
; %bb.13622:                            ;   in Loop: Header=BB6_12675 Depth=3
	v_bfe_u32 v27, v26, 23, 8
	s_delay_alu instid0(VALU_DEP_1) | instskip(SKIP_1) | instid1(VALU_DEP_2)
	v_sub_nc_u32_e32 v37, 0x70, v27
	v_cmp_gt_u32_e32 vcc_lo, 0x71, v27
	v_dual_cndmask_b32 v37, 0, v37 :: v_dual_and_b32 v36, 0x7fffff, v26
	s_delay_alu instid0(VALU_DEP_1) | instskip(SKIP_2) | instid1(VALU_DEP_4)
	v_or_b32_e32 v38, 0x800000, v36
	v_cmp_eq_u32_e32 vcc_lo, 0, v27
	v_add_nc_u32_e32 v27, 0xffffff91, v27
	v_cndmask_b32_e64 v37, v37, 0x6f, vcc_lo
	s_delay_alu instid0(VALU_DEP_4) | instskip(NEXT) | instid1(VALU_DEP_3)
	v_cndmask_b32_e32 v36, v38, v36, vcc_lo
	v_cndmask_b32_e64 v27, v27, 0xffffff92, vcc_lo
	s_delay_alu instid0(VALU_DEP_3) | instskip(NEXT) | instid1(VALU_DEP_3)
	v_lshl_add_u32 v38, 0x200000, v37, -1
	v_lshrrev_b32_e32 v39, v37, v36
	v_lshlrev_b32_e64 v49, v37, 0x100000
	s_delay_alu instid0(VALU_DEP_4) | instskip(NEXT) | instid1(VALU_DEP_4)
	v_add_nc_u32_e32 v37, v37, v27
	v_and_b32_e32 v36, v38, v36
	s_delay_alu instid0(VALU_DEP_4) | instskip(NEXT) | instid1(VALU_DEP_2)
	v_bfe_u32 v48, v39, 21, 1
	v_cmp_eq_u32_e64 s13, v36, v49
	s_delay_alu instid0(VALU_DEP_2) | instskip(NEXT) | instid1(VALU_DEP_1)
	v_add_nc_u32_e32 v38, -1, v48
	v_cndmask_b32_e64 v36, 0, v38, s13
	v_lshrrev_b32_e32 v38, 23, v39
	s_mov_b32 s13, exec_lo
	s_delay_alu instid0(VALU_DEP_2) | instskip(NEXT) | instid1(VALU_DEP_2)
	v_add_nc_u32_e32 v36, v36, v39
	v_xor_b32_e32 v38, 1, v38
	s_delay_alu instid0(VALU_DEP_2) | instskip(NEXT) | instid1(VALU_DEP_1)
	v_and_b32_e32 v27, 0x1fffff, v36
	v_add_nc_u32_e32 v36, v27, v39
                                        ; implicit-def: $vgpr27
	s_delay_alu instid0(VALU_DEP_3)
	v_cmpx_ne_u32_e64 v37, v38
	s_xor_b32 s13, exec_lo, s13
; %bb.13623:                            ;   in Loop: Header=BB6_12675 Depth=3
	s_delay_alu instid0(VALU_DEP_2) | instskip(SKIP_2) | instid1(VALU_DEP_2)
	v_cmp_lt_u32_e32 vcc_lo, 0xffffff, v36
	v_sub_nc_u32_e32 v27, v37, v38
	v_cndmask_b32_e64 v37, 0, 1, vcc_lo
	v_add_co_ci_u32_e32 v27, vcc_lo, 0, v27, vcc_lo
	s_delay_alu instid0(VALU_DEP_2)
	v_lshrrev_b32_e32 v36, v37, v36
; %bb.13624:                            ;   in Loop: Header=BB6_12675 Depth=3
	s_and_not1_saveexec_b32 s13, s13
; %bb.13625:                            ;   in Loop: Header=BB6_12675 Depth=3
	s_delay_alu instid0(VALU_DEP_1)
	v_bfe_u32 v27, v36, 23, 1
; %bb.13626:                            ;   in Loop: Header=BB6_12675 Depth=3
	s_or_b32 exec_lo, exec_lo, s13
	v_lshrrev_b32_e32 v36, 21, v36
	s_delay_alu instid0(VALU_DEP_2) | instskip(SKIP_2) | instid1(VALU_DEP_2)
	v_cmp_gt_i32_e32 vcc_lo, 32, v27
	v_min_i32_e32 v37, 31, v27
	v_lshrrev_b32_e32 v26, 24, v26
	v_dual_cndmask_b32 v36, 3, v36 :: v_dual_lshlrev_b32 v37, 2, v37
	s_delay_alu instid0(VALU_DEP_2) | instskip(NEXT) | instid1(VALU_DEP_2)
	v_and_b32_e32 v26, 0x80, v26
	v_or_b32_e32 v27, v27, v36
	s_delay_alu instid0(VALU_DEP_1) | instskip(SKIP_1) | instid1(VALU_DEP_1)
	v_cmp_ne_u32_e32 vcc_lo, 0, v27
	v_and_b32_e32 v38, 3, v36
	v_or3_b32 v26, v37, v26, v38
	s_delay_alu instid0(VALU_DEP_1)
	v_cndmask_b32_e32 v79, 0, v26, vcc_lo
.LBB6_13627:                            ;   in Loop: Header=BB6_12675 Depth=3
	s_or_b32 exec_lo, exec_lo, s30
.LBB6_13628:                            ;   in Loop: Header=BB6_12675 Depth=3
	s_delay_alu instid0(SALU_CYCLE_1) | instskip(SKIP_3) | instid1(VALU_DEP_1)
	s_or_b32 exec_lo, exec_lo, s17
	v_and_b32_e32 v27, 0xff, v106
	s_mov_b32 s13, 0
	s_mov_b32 s30, exec_lo
                                        ; implicit-def: $sgpr17
	v_cmpx_lt_i16_e32 0x7f, v27
	s_xor_b32 s30, exec_lo, s30
	s_cbranch_execnz .LBB6_14818
; %bb.13629:                            ;   in Loop: Header=BB6_12675 Depth=3
	s_or_saveexec_b32 s30, s30
	v_mov_b32_e32 v26, s17
	s_xor_b32 exec_lo, exec_lo, s30
	s_cbranch_execnz .LBB6_14821
.LBB6_13630:                            ;   in Loop: Header=BB6_12675 Depth=3
	s_or_b32 exec_lo, exec_lo, s30
	s_and_saveexec_b32 s17, s13
	s_cbranch_execz .LBB6_13632
.LBB6_13631:                            ;   in Loop: Header=BB6_12675 Depth=3
	v_lshlrev_b32_e32 v26, 8, v106
	s_delay_alu instid0(VALU_DEP_1) | instskip(SKIP_1) | instid1(VALU_DEP_2)
	v_and_b32_e32 v36, 0xff00, v26
	v_bfe_u32 v26, v26, 10, 5
	v_bfe_u32 v37, v36, 8, 2
	s_delay_alu instid0(VALU_DEP_2) | instskip(SKIP_1) | instid1(VALU_DEP_3)
	v_cmp_eq_u32_e32 vcc_lo, 0, v26
	v_lshlrev_b32_e32 v36, 16, v36
	v_clz_i32_u32_e32 v38, v37
	s_delay_alu instid0(VALU_DEP_2) | instskip(NEXT) | instid1(VALU_DEP_2)
	v_and_b32_e32 v36, 0x80000000, v36
	v_min_u32_e32 v38, 32, v38
	s_delay_alu instid0(VALU_DEP_1) | instskip(SKIP_1) | instid1(VALU_DEP_1)
	v_subrev_nc_u32_e32 v39, 29, v38
	v_sub_nc_u32_e32 v38, 30, v38
	v_dual_cndmask_b32 v26, v26, v38 :: v_dual_lshlrev_b32 v27, v39, v27
	s_delay_alu instid0(VALU_DEP_1) | instskip(NEXT) | instid1(VALU_DEP_2)
	v_and_b32_e32 v27, 3, v27
	v_lshl_add_u32 v26, v26, 23, 0x37800000
	s_delay_alu instid0(VALU_DEP_2) | instskip(NEXT) | instid1(VALU_DEP_1)
	v_cndmask_b32_e32 v27, v37, v27, vcc_lo
	v_lshlrev_b32_e32 v27, 21, v27
	s_delay_alu instid0(VALU_DEP_1)
	v_or3_b32 v26, v36, v26, v27
.LBB6_13632:                            ;   in Loop: Header=BB6_12675 Depth=3
	s_or_b32 exec_lo, exec_lo, s17
	v_lshrrev_b32_e32 v27, 24, v22
	s_mov_b32 s13, 0
	s_mov_b32 s30, exec_lo
                                        ; implicit-def: $sgpr17
	s_delay_alu instid0(VALU_DEP_1)
	v_cmpx_lt_i16_e32 0x7f, v27
	s_xor_b32 s30, exec_lo, s30
	s_cbranch_execnz .LBB6_14822
; %bb.13633:                            ;   in Loop: Header=BB6_12675 Depth=3
	s_or_saveexec_b32 s30, s30
	v_mov_b32_e32 v36, s17
	s_xor_b32 exec_lo, exec_lo, s30
	s_cbranch_execnz .LBB6_14825
.LBB6_13634:                            ;   in Loop: Header=BB6_12675 Depth=3
	s_or_b32 exec_lo, exec_lo, s30
	s_and_saveexec_b32 s17, s13
	s_cbranch_execz .LBB6_13636
.LBB6_13635:                            ;   in Loop: Header=BB6_12675 Depth=3
	v_bfe_u32 v36, v22, 24, 2
	s_delay_alu instid0(VALU_DEP_1) | instskip(NEXT) | instid1(VALU_DEP_1)
	v_clz_i32_u32_e32 v37, v36
	v_min_u32_e32 v37, 32, v37
	s_delay_alu instid0(VALU_DEP_1) | instskip(SKIP_1) | instid1(VALU_DEP_2)
	v_subrev_nc_u32_e32 v38, 29, v37
	v_sub_nc_u32_e32 v37, 30, v37
	v_lshlrev_b32_e32 v27, v38, v27
	v_bfe_u32 v38, v22, 26, 5
	v_and_b32_e32 v22, 0x80000000, v22
	s_delay_alu instid0(VALU_DEP_3) | instskip(NEXT) | instid1(VALU_DEP_3)
	v_and_b32_e32 v27, 3, v27
	v_cmp_eq_u32_e32 vcc_lo, 0, v38
	v_cndmask_b32_e32 v37, v38, v37, vcc_lo
	s_delay_alu instid0(VALU_DEP_3) | instskip(NEXT) | instid1(VALU_DEP_2)
	v_cndmask_b32_e32 v27, v36, v27, vcc_lo
	v_lshl_add_u32 v36, v37, 23, 0x37800000
	s_delay_alu instid0(VALU_DEP_2) | instskip(NEXT) | instid1(VALU_DEP_1)
	v_lshlrev_b32_e32 v27, 21, v27
	v_or3_b32 v36, v22, v36, v27
.LBB6_13636:                            ;   in Loop: Header=BB6_12675 Depth=3
	s_or_b32 exec_lo, exec_lo, s17
	s_delay_alu instid0(VALU_DEP_1) | instskip(NEXT) | instid1(VALU_DEP_1)
	v_add_f32_e32 v26, v26, v36
	v_and_b32_e32 v22, 0x7f800000, v26
	s_delay_alu instid0(VALU_DEP_1)
	v_cmp_ne_u32_e32 vcc_lo, 0x7f800000, v22
	v_mov_b32_e32 v22, 0x80
	s_and_saveexec_b32 s17, vcc_lo
	s_cbranch_execz .LBB6_13644
; %bb.13637:                            ;   in Loop: Header=BB6_12675 Depth=3
	v_mov_b32_e32 v22, 0
	s_mov_b32 s30, exec_lo
	v_cmpx_ne_u32_e32 0, v26
	s_cbranch_execz .LBB6_13643
; %bb.13638:                            ;   in Loop: Header=BB6_12675 Depth=3
	v_bfe_u32 v22, v26, 23, 8
	s_delay_alu instid0(VALU_DEP_1) | instskip(SKIP_1) | instid1(VALU_DEP_2)
	v_sub_nc_u32_e32 v36, 0x70, v22
	v_cmp_gt_u32_e32 vcc_lo, 0x71, v22
	v_dual_cndmask_b32 v36, 0, v36 :: v_dual_and_b32 v27, 0x7fffff, v26
	s_delay_alu instid0(VALU_DEP_1) | instskip(SKIP_2) | instid1(VALU_DEP_4)
	v_or_b32_e32 v37, 0x800000, v27
	v_cmp_eq_u32_e32 vcc_lo, 0, v22
	v_add_nc_u32_e32 v22, 0xffffff91, v22
	v_cndmask_b32_e64 v36, v36, 0x6f, vcc_lo
	s_delay_alu instid0(VALU_DEP_4) | instskip(NEXT) | instid1(VALU_DEP_3)
	v_cndmask_b32_e32 v27, v37, v27, vcc_lo
	v_cndmask_b32_e64 v22, v22, 0xffffff92, vcc_lo
	s_delay_alu instid0(VALU_DEP_3) | instskip(NEXT) | instid1(VALU_DEP_3)
	v_lshl_add_u32 v37, 0x200000, v36, -1
	v_lshrrev_b32_e32 v38, v36, v27
	v_lshlrev_b32_e64 v48, v36, 0x100000
	s_delay_alu instid0(VALU_DEP_4) | instskip(NEXT) | instid1(VALU_DEP_4)
	v_add_nc_u32_e32 v36, v36, v22
	v_and_b32_e32 v27, v37, v27
	s_delay_alu instid0(VALU_DEP_4) | instskip(NEXT) | instid1(VALU_DEP_2)
	v_bfe_u32 v39, v38, 21, 1
	v_cmp_eq_u32_e64 s13, v27, v48
	s_delay_alu instid0(VALU_DEP_2) | instskip(NEXT) | instid1(VALU_DEP_1)
	v_add_nc_u32_e32 v37, -1, v39
	v_cndmask_b32_e64 v27, 0, v37, s13
	v_lshrrev_b32_e32 v37, 23, v38
	s_mov_b32 s13, exec_lo
	s_delay_alu instid0(VALU_DEP_2) | instskip(NEXT) | instid1(VALU_DEP_2)
	v_add_nc_u32_e32 v27, v27, v38
	v_xor_b32_e32 v37, 1, v37
	s_delay_alu instid0(VALU_DEP_2) | instskip(NEXT) | instid1(VALU_DEP_1)
	v_and_b32_e32 v22, 0x1fffff, v27
	v_add_nc_u32_e32 v27, v22, v38
                                        ; implicit-def: $vgpr22
	s_delay_alu instid0(VALU_DEP_3)
	v_cmpx_ne_u32_e64 v36, v37
	s_xor_b32 s13, exec_lo, s13
; %bb.13639:                            ;   in Loop: Header=BB6_12675 Depth=3
	s_delay_alu instid0(VALU_DEP_2) | instskip(SKIP_2) | instid1(VALU_DEP_2)
	v_cmp_lt_u32_e32 vcc_lo, 0xffffff, v27
	v_sub_nc_u32_e32 v22, v36, v37
	v_cndmask_b32_e64 v36, 0, 1, vcc_lo
	v_add_co_ci_u32_e32 v22, vcc_lo, 0, v22, vcc_lo
	s_delay_alu instid0(VALU_DEP_2)
	v_lshrrev_b32_e32 v27, v36, v27
; %bb.13640:                            ;   in Loop: Header=BB6_12675 Depth=3
	s_and_not1_saveexec_b32 s13, s13
; %bb.13641:                            ;   in Loop: Header=BB6_12675 Depth=3
	s_delay_alu instid0(VALU_DEP_1)
	v_bfe_u32 v22, v27, 23, 1
; %bb.13642:                            ;   in Loop: Header=BB6_12675 Depth=3
	s_or_b32 exec_lo, exec_lo, s13
	v_lshrrev_b32_e32 v27, 21, v27
	s_delay_alu instid0(VALU_DEP_2) | instskip(SKIP_2) | instid1(VALU_DEP_2)
	v_cmp_gt_i32_e32 vcc_lo, 32, v22
	v_lshrrev_b32_e32 v26, 24, v26
	v_min_i32_e32 v36, 31, v22
	v_dual_cndmask_b32 v27, 3, v27 :: v_dual_and_b32 v26, 0x80, v26
	s_delay_alu instid0(VALU_DEP_2) | instskip(NEXT) | instid1(VALU_DEP_2)
	v_lshlrev_b32_e32 v36, 2, v36
	v_or_b32_e32 v22, v22, v27
	s_delay_alu instid0(VALU_DEP_1) | instskip(SKIP_1) | instid1(VALU_DEP_1)
	v_cmp_ne_u32_e32 vcc_lo, 0, v22
	v_and_b32_e32 v37, 3, v27
	v_or3_b32 v26, v36, v26, v37
	s_delay_alu instid0(VALU_DEP_1)
	v_cndmask_b32_e32 v22, 0, v26, vcc_lo
.LBB6_13643:                            ;   in Loop: Header=BB6_12675 Depth=3
	s_or_b32 exec_lo, exec_lo, s30
.LBB6_13644:                            ;   in Loop: Header=BB6_12675 Depth=3
	s_delay_alu instid0(SALU_CYCLE_1) | instskip(SKIP_3) | instid1(VALU_DEP_1)
	s_or_b32 exec_lo, exec_lo, s17
	v_or_b32_e32 v26, v124, v104
	s_mov_b32 s13, 0
	s_mov_b32 s30, exec_lo
                                        ; implicit-def: $sgpr17
	v_and_b32_e32 v36, 0xff, v26
	s_delay_alu instid0(VALU_DEP_1)
	v_cmpx_lt_i16_e32 0x7f, v36
	s_xor_b32 s30, exec_lo, s30
	s_cbranch_execnz .LBB6_14826
; %bb.13645:                            ;   in Loop: Header=BB6_12675 Depth=3
	s_or_saveexec_b32 s30, s30
	v_mov_b32_e32 v27, s17
	s_xor_b32 exec_lo, exec_lo, s30
	s_cbranch_execnz .LBB6_14829
.LBB6_13646:                            ;   in Loop: Header=BB6_12675 Depth=3
	s_or_b32 exec_lo, exec_lo, s30
	s_and_saveexec_b32 s17, s13
	s_cbranch_execz .LBB6_13648
.LBB6_13647:                            ;   in Loop: Header=BB6_12675 Depth=3
	v_bfe_u32 v38, v26, 2, 5
	v_lshlrev_b32_e32 v39, 24, v26
	s_delay_alu instid0(VALU_DEP_2) | instskip(SKIP_1) | instid1(VALU_DEP_1)
	v_cmp_eq_u32_e32 vcc_lo, 0, v38
	v_and_b32_e32 v27, 3, v26
	v_clz_i32_u32_e32 v36, v27
	s_delay_alu instid0(VALU_DEP_1) | instskip(NEXT) | instid1(VALU_DEP_1)
	v_min_u32_e32 v36, 32, v36
	v_subrev_nc_u32_e32 v37, 29, v36
	v_sub_nc_u32_e32 v36, 30, v36
	s_delay_alu instid0(VALU_DEP_1) | instskip(NEXT) | instid1(VALU_DEP_1)
	v_dual_cndmask_b32 v36, v38, v36 :: v_dual_lshlrev_b32 v37, v37, v26
	v_and_b32_e32 v37, 3, v37
	s_delay_alu instid0(VALU_DEP_2) | instskip(NEXT) | instid1(VALU_DEP_2)
	v_lshl_add_u32 v36, v36, 23, 0x37800000
	v_cndmask_b32_e32 v27, v27, v37, vcc_lo
	v_and_b32_e32 v37, 0x80000000, v39
	s_delay_alu instid0(VALU_DEP_2) | instskip(NEXT) | instid1(VALU_DEP_1)
	v_lshlrev_b32_e32 v27, 21, v27
	v_or3_b32 v27, v37, v36, v27
.LBB6_13648:                            ;   in Loop: Header=BB6_12675 Depth=3
	s_or_b32 exec_lo, exec_lo, s17
	v_and_b32_e32 v37, 0xff, v23
	s_mov_b32 s13, 0
	s_mov_b32 s30, exec_lo
                                        ; implicit-def: $sgpr17
	s_delay_alu instid0(VALU_DEP_1)
	v_cmpx_lt_i16_e32 0x7f, v37
	s_xor_b32 s30, exec_lo, s30
	s_cbranch_execnz .LBB6_14830
; %bb.13649:                            ;   in Loop: Header=BB6_12675 Depth=3
	s_or_saveexec_b32 s30, s30
	v_mov_b32_e32 v36, s17
	s_xor_b32 exec_lo, exec_lo, s30
	s_cbranch_execnz .LBB6_14833
.LBB6_13650:                            ;   in Loop: Header=BB6_12675 Depth=3
	s_or_b32 exec_lo, exec_lo, s30
	s_and_saveexec_b32 s17, s13
	s_cbranch_execz .LBB6_13652
.LBB6_13651:                            ;   in Loop: Header=BB6_12675 Depth=3
	v_bfe_u32 v39, v23, 2, 5
	v_lshlrev_b32_e32 v48, 24, v23
	s_delay_alu instid0(VALU_DEP_2) | instskip(SKIP_1) | instid1(VALU_DEP_1)
	v_cmp_eq_u32_e32 vcc_lo, 0, v39
	v_and_b32_e32 v36, 3, v23
	v_clz_i32_u32_e32 v37, v36
	s_delay_alu instid0(VALU_DEP_1) | instskip(NEXT) | instid1(VALU_DEP_1)
	v_min_u32_e32 v37, 32, v37
	v_subrev_nc_u32_e32 v38, 29, v37
	v_sub_nc_u32_e32 v37, 30, v37
	s_delay_alu instid0(VALU_DEP_1) | instskip(NEXT) | instid1(VALU_DEP_1)
	v_dual_cndmask_b32 v37, v39, v37 :: v_dual_lshlrev_b32 v38, v38, v23
	v_and_b32_e32 v38, 3, v38
	s_delay_alu instid0(VALU_DEP_2) | instskip(NEXT) | instid1(VALU_DEP_2)
	v_lshl_add_u32 v37, v37, 23, 0x37800000
	v_cndmask_b32_e32 v36, v36, v38, vcc_lo
	v_and_b32_e32 v38, 0x80000000, v48
	s_delay_alu instid0(VALU_DEP_2) | instskip(NEXT) | instid1(VALU_DEP_1)
	v_lshlrev_b32_e32 v36, 21, v36
	v_or3_b32 v36, v38, v37, v36
.LBB6_13652:                            ;   in Loop: Header=BB6_12675 Depth=3
	s_or_b32 exec_lo, exec_lo, s17
	s_delay_alu instid0(VALU_DEP_1) | instskip(SKIP_1) | instid1(VALU_DEP_1)
	v_dual_add_f32 v27, v27, v36 :: v_dual_mov_b32 v104, 0x80
	s_mov_b32 s17, exec_lo
	v_and_b32_e32 v36, 0x7f800000, v27
	s_delay_alu instid0(VALU_DEP_1)
	v_cmpx_ne_u32_e32 0x7f800000, v36
	s_cbranch_execz .LBB6_13660
; %bb.13653:                            ;   in Loop: Header=BB6_12675 Depth=3
	v_mov_b32_e32 v104, 0
	s_mov_b32 s30, exec_lo
	v_cmpx_ne_u32_e32 0, v27
	s_cbranch_execz .LBB6_13659
; %bb.13654:                            ;   in Loop: Header=BB6_12675 Depth=3
	v_bfe_u32 v36, v27, 23, 8
	s_delay_alu instid0(VALU_DEP_1) | instskip(SKIP_1) | instid1(VALU_DEP_2)
	v_sub_nc_u32_e32 v38, 0x70, v36
	v_cmp_gt_u32_e32 vcc_lo, 0x71, v36
	v_dual_cndmask_b32 v38, 0, v38 :: v_dual_and_b32 v37, 0x7fffff, v27
	s_delay_alu instid0(VALU_DEP_1) | instskip(SKIP_2) | instid1(VALU_DEP_4)
	v_or_b32_e32 v39, 0x800000, v37
	v_cmp_eq_u32_e32 vcc_lo, 0, v36
	v_add_nc_u32_e32 v36, 0xffffff91, v36
	v_cndmask_b32_e64 v38, v38, 0x6f, vcc_lo
	s_delay_alu instid0(VALU_DEP_4) | instskip(NEXT) | instid1(VALU_DEP_3)
	v_cndmask_b32_e32 v37, v39, v37, vcc_lo
	v_cndmask_b32_e64 v36, v36, 0xffffff92, vcc_lo
	s_delay_alu instid0(VALU_DEP_3) | instskip(NEXT) | instid1(VALU_DEP_3)
	v_lshl_add_u32 v39, 0x200000, v38, -1
	v_lshrrev_b32_e32 v48, v38, v37
	v_lshlrev_b32_e64 v50, v38, 0x100000
	s_delay_alu instid0(VALU_DEP_4) | instskip(NEXT) | instid1(VALU_DEP_4)
	v_add_nc_u32_e32 v38, v38, v36
	v_and_b32_e32 v37, v39, v37
	s_delay_alu instid0(VALU_DEP_4) | instskip(NEXT) | instid1(VALU_DEP_2)
	v_bfe_u32 v49, v48, 21, 1
	v_cmp_eq_u32_e64 s13, v37, v50
	s_delay_alu instid0(VALU_DEP_2) | instskip(NEXT) | instid1(VALU_DEP_1)
	v_add_nc_u32_e32 v39, -1, v49
	v_cndmask_b32_e64 v37, 0, v39, s13
	v_lshrrev_b32_e32 v39, 23, v48
	s_mov_b32 s13, exec_lo
	s_delay_alu instid0(VALU_DEP_2) | instskip(NEXT) | instid1(VALU_DEP_2)
	v_add_nc_u32_e32 v37, v37, v48
	v_xor_b32_e32 v39, 1, v39
	s_delay_alu instid0(VALU_DEP_2) | instskip(NEXT) | instid1(VALU_DEP_1)
	v_and_b32_e32 v36, 0x1fffff, v37
	v_add_nc_u32_e32 v37, v36, v48
                                        ; implicit-def: $vgpr36
	s_delay_alu instid0(VALU_DEP_3)
	v_cmpx_ne_u32_e64 v38, v39
	s_xor_b32 s13, exec_lo, s13
; %bb.13655:                            ;   in Loop: Header=BB6_12675 Depth=3
	s_delay_alu instid0(VALU_DEP_2) | instskip(SKIP_2) | instid1(VALU_DEP_2)
	v_cmp_lt_u32_e32 vcc_lo, 0xffffff, v37
	v_sub_nc_u32_e32 v36, v38, v39
	v_cndmask_b32_e64 v38, 0, 1, vcc_lo
	v_add_co_ci_u32_e32 v36, vcc_lo, 0, v36, vcc_lo
	s_delay_alu instid0(VALU_DEP_2)
	v_lshrrev_b32_e32 v37, v38, v37
; %bb.13656:                            ;   in Loop: Header=BB6_12675 Depth=3
	s_and_not1_saveexec_b32 s13, s13
; %bb.13657:                            ;   in Loop: Header=BB6_12675 Depth=3
	s_delay_alu instid0(VALU_DEP_1)
	v_bfe_u32 v36, v37, 23, 1
; %bb.13658:                            ;   in Loop: Header=BB6_12675 Depth=3
	s_or_b32 exec_lo, exec_lo, s13
	v_lshrrev_b32_e32 v37, 21, v37
	s_delay_alu instid0(VALU_DEP_2) | instskip(SKIP_2) | instid1(VALU_DEP_2)
	v_cmp_gt_i32_e32 vcc_lo, 32, v36
	v_min_i32_e32 v38, 31, v36
	v_lshrrev_b32_e32 v27, 24, v27
	v_dual_cndmask_b32 v37, 3, v37 :: v_dual_lshlrev_b32 v38, 2, v38
	s_delay_alu instid0(VALU_DEP_2) | instskip(NEXT) | instid1(VALU_DEP_2)
	v_and_b32_e32 v27, 0x80, v27
	v_or_b32_e32 v36, v36, v37
	s_delay_alu instid0(VALU_DEP_1) | instskip(SKIP_1) | instid1(VALU_DEP_1)
	v_cmp_ne_u32_e32 vcc_lo, 0, v36
	v_and_b32_e32 v39, 3, v37
	v_or3_b32 v27, v38, v27, v39
	s_delay_alu instid0(VALU_DEP_1)
	v_cndmask_b32_e32 v104, 0, v27, vcc_lo
.LBB6_13659:                            ;   in Loop: Header=BB6_12675 Depth=3
	s_or_b32 exec_lo, exec_lo, s30
.LBB6_13660:                            ;   in Loop: Header=BB6_12675 Depth=3
	s_delay_alu instid0(SALU_CYCLE_1) | instskip(SKIP_3) | instid1(VALU_DEP_1)
	s_or_b32 exec_lo, exec_lo, s17
	v_lshrrev_b16 v36, 8, v26
	s_mov_b32 s13, 0
	s_mov_b32 s30, exec_lo
                                        ; implicit-def: $sgpr17
	v_cmpx_lt_i16_e32 0x7f, v36
	s_xor_b32 s30, exec_lo, s30
	s_cbranch_execnz .LBB6_14834
; %bb.13661:                            ;   in Loop: Header=BB6_12675 Depth=3
	s_or_saveexec_b32 s30, s30
	v_mov_b32_e32 v27, s17
	s_xor_b32 exec_lo, exec_lo, s30
	s_cbranch_execnz .LBB6_14837
.LBB6_13662:                            ;   in Loop: Header=BB6_12675 Depth=3
	s_or_b32 exec_lo, exec_lo, s30
	s_and_saveexec_b32 s17, s13
	s_cbranch_execz .LBB6_13664
.LBB6_13663:                            ;   in Loop: Header=BB6_12675 Depth=3
	v_and_b32_e32 v27, 0xffff, v36
	s_delay_alu instid0(VALU_DEP_1) | instskip(NEXT) | instid1(VALU_DEP_1)
	v_and_b32_e32 v37, 3, v27
	v_clz_i32_u32_e32 v38, v37
	s_delay_alu instid0(VALU_DEP_1) | instskip(NEXT) | instid1(VALU_DEP_1)
	v_min_u32_e32 v38, 32, v38
	v_subrev_nc_u32_e32 v39, 29, v38
	v_sub_nc_u32_e32 v38, 30, v38
	s_delay_alu instid0(VALU_DEP_2) | instskip(SKIP_1) | instid1(VALU_DEP_2)
	v_lshlrev_b32_e32 v39, v39, v27
	v_bfe_u32 v27, v27, 2, 5
	v_and_b32_e32 v39, 3, v39
	s_delay_alu instid0(VALU_DEP_2) | instskip(SKIP_1) | instid1(VALU_DEP_1)
	v_cmp_eq_u32_e32 vcc_lo, 0, v27
	v_dual_cndmask_b32 v27, v27, v38 :: v_dual_lshlrev_b32 v36, 24, v36
	v_dual_cndmask_b32 v37, v37, v39 :: v_dual_and_b32 v36, 0x80000000, v36
	s_delay_alu instid0(VALU_DEP_2) | instskip(NEXT) | instid1(VALU_DEP_2)
	v_lshl_add_u32 v27, v27, 23, 0x37800000
	v_lshlrev_b32_e32 v37, 21, v37
	s_delay_alu instid0(VALU_DEP_1)
	v_or3_b32 v27, v36, v27, v37
.LBB6_13664:                            ;   in Loop: Header=BB6_12675 Depth=3
	s_or_b32 exec_lo, exec_lo, s17
	v_lshrrev_b16 v36, 8, v23
	s_mov_b32 s13, 0
	s_mov_b32 s30, exec_lo
                                        ; implicit-def: $sgpr17
	s_delay_alu instid0(VALU_DEP_1)
	v_cmpx_lt_i16_e32 0x7f, v36
	s_xor_b32 s30, exec_lo, s30
	s_cbranch_execnz .LBB6_14838
; %bb.13665:                            ;   in Loop: Header=BB6_12675 Depth=3
	s_or_saveexec_b32 s30, s30
	v_mov_b32_e32 v37, s17
	s_xor_b32 exec_lo, exec_lo, s30
	s_cbranch_execnz .LBB6_14841
.LBB6_13666:                            ;   in Loop: Header=BB6_12675 Depth=3
	s_or_b32 exec_lo, exec_lo, s30
	s_and_saveexec_b32 s17, s13
	s_cbranch_execz .LBB6_13668
.LBB6_13667:                            ;   in Loop: Header=BB6_12675 Depth=3
	v_and_b32_e32 v37, 0xffff, v36
	v_lshlrev_b32_e32 v36, 24, v36
	s_delay_alu instid0(VALU_DEP_2) | instskip(NEXT) | instid1(VALU_DEP_2)
	v_and_b32_e32 v38, 3, v37
	v_and_b32_e32 v36, 0x80000000, v36
	s_delay_alu instid0(VALU_DEP_2) | instskip(NEXT) | instid1(VALU_DEP_1)
	v_clz_i32_u32_e32 v39, v38
	v_min_u32_e32 v39, 32, v39
	s_delay_alu instid0(VALU_DEP_1) | instskip(SKIP_1) | instid1(VALU_DEP_2)
	v_subrev_nc_u32_e32 v48, 29, v39
	v_sub_nc_u32_e32 v39, 30, v39
	v_lshlrev_b32_e32 v48, v48, v37
	v_bfe_u32 v37, v37, 2, 5
	s_delay_alu instid0(VALU_DEP_2) | instskip(NEXT) | instid1(VALU_DEP_2)
	v_and_b32_e32 v48, 3, v48
	v_cmp_eq_u32_e32 vcc_lo, 0, v37
	s_delay_alu instid0(VALU_DEP_2) | instskip(NEXT) | instid1(VALU_DEP_1)
	v_dual_cndmask_b32 v37, v37, v39 :: v_dual_cndmask_b32 v38, v38, v48
	v_lshl_add_u32 v37, v37, 23, 0x37800000
	s_delay_alu instid0(VALU_DEP_2) | instskip(NEXT) | instid1(VALU_DEP_1)
	v_lshlrev_b32_e32 v38, 21, v38
	v_or3_b32 v37, v36, v37, v38
.LBB6_13668:                            ;   in Loop: Header=BB6_12675 Depth=3
	s_or_b32 exec_lo, exec_lo, s17
	s_delay_alu instid0(VALU_DEP_1) | instskip(SKIP_1) | instid1(VALU_DEP_1)
	v_dual_add_f32 v27, v27, v37 :: v_dual_mov_b32 v106, 0x8000
	s_mov_b32 s17, exec_lo
	v_and_b32_e32 v36, 0x7f800000, v27
	s_delay_alu instid0(VALU_DEP_1)
	v_cmpx_ne_u32_e32 0x7f800000, v36
	s_cbranch_execz .LBB6_13676
; %bb.13669:                            ;   in Loop: Header=BB6_12675 Depth=3
	v_mov_b32_e32 v106, 0
	s_mov_b32 s30, exec_lo
	v_cmpx_ne_u32_e32 0, v27
	s_cbranch_execz .LBB6_13675
; %bb.13670:                            ;   in Loop: Header=BB6_12675 Depth=3
	v_bfe_u32 v36, v27, 23, 8
	s_delay_alu instid0(VALU_DEP_1) | instskip(SKIP_1) | instid1(VALU_DEP_2)
	v_sub_nc_u32_e32 v38, 0x70, v36
	v_cmp_gt_u32_e32 vcc_lo, 0x71, v36
	v_dual_cndmask_b32 v38, 0, v38 :: v_dual_and_b32 v37, 0x7fffff, v27
	s_delay_alu instid0(VALU_DEP_1) | instskip(SKIP_2) | instid1(VALU_DEP_4)
	v_or_b32_e32 v39, 0x800000, v37
	v_cmp_eq_u32_e32 vcc_lo, 0, v36
	v_add_nc_u32_e32 v36, 0xffffff91, v36
	v_cndmask_b32_e64 v38, v38, 0x6f, vcc_lo
	s_delay_alu instid0(VALU_DEP_4) | instskip(NEXT) | instid1(VALU_DEP_3)
	v_cndmask_b32_e32 v37, v39, v37, vcc_lo
	v_cndmask_b32_e64 v36, v36, 0xffffff92, vcc_lo
	s_delay_alu instid0(VALU_DEP_3) | instskip(NEXT) | instid1(VALU_DEP_3)
	v_lshl_add_u32 v39, 0x200000, v38, -1
	v_lshrrev_b32_e32 v48, v38, v37
	v_lshlrev_b32_e64 v50, v38, 0x100000
	s_delay_alu instid0(VALU_DEP_4) | instskip(NEXT) | instid1(VALU_DEP_4)
	v_add_nc_u32_e32 v38, v38, v36
	v_and_b32_e32 v37, v39, v37
	s_delay_alu instid0(VALU_DEP_4) | instskip(NEXT) | instid1(VALU_DEP_2)
	v_bfe_u32 v49, v48, 21, 1
	v_cmp_eq_u32_e64 s13, v37, v50
	s_delay_alu instid0(VALU_DEP_2) | instskip(NEXT) | instid1(VALU_DEP_1)
	v_add_nc_u32_e32 v39, -1, v49
	v_cndmask_b32_e64 v37, 0, v39, s13
	v_lshrrev_b32_e32 v39, 23, v48
	s_mov_b32 s13, exec_lo
	s_delay_alu instid0(VALU_DEP_2) | instskip(NEXT) | instid1(VALU_DEP_2)
	v_add_nc_u32_e32 v37, v37, v48
	v_xor_b32_e32 v39, 1, v39
	s_delay_alu instid0(VALU_DEP_2) | instskip(NEXT) | instid1(VALU_DEP_1)
	v_and_b32_e32 v36, 0x1fffff, v37
	v_add_nc_u32_e32 v37, v36, v48
                                        ; implicit-def: $vgpr36
	s_delay_alu instid0(VALU_DEP_3)
	v_cmpx_ne_u32_e64 v38, v39
	s_xor_b32 s13, exec_lo, s13
; %bb.13671:                            ;   in Loop: Header=BB6_12675 Depth=3
	s_delay_alu instid0(VALU_DEP_2) | instskip(SKIP_2) | instid1(VALU_DEP_2)
	v_cmp_lt_u32_e32 vcc_lo, 0xffffff, v37
	v_sub_nc_u32_e32 v36, v38, v39
	v_cndmask_b32_e64 v38, 0, 1, vcc_lo
	v_add_co_ci_u32_e32 v36, vcc_lo, 0, v36, vcc_lo
	s_delay_alu instid0(VALU_DEP_2)
	v_lshrrev_b32_e32 v37, v38, v37
; %bb.13672:                            ;   in Loop: Header=BB6_12675 Depth=3
	s_and_not1_saveexec_b32 s13, s13
; %bb.13673:                            ;   in Loop: Header=BB6_12675 Depth=3
	s_delay_alu instid0(VALU_DEP_1)
	v_bfe_u32 v36, v37, 23, 1
; %bb.13674:                            ;   in Loop: Header=BB6_12675 Depth=3
	s_or_b32 exec_lo, exec_lo, s13
	v_lshrrev_b32_e32 v37, 21, v37
	s_delay_alu instid0(VALU_DEP_2) | instskip(SKIP_2) | instid1(VALU_DEP_2)
	v_cmp_gt_i32_e32 vcc_lo, 32, v36
	v_min_i32_e32 v38, 31, v36
	v_lshrrev_b32_e32 v27, 24, v27
	v_dual_cndmask_b32 v37, 3, v37 :: v_dual_lshlrev_b32 v38, 2, v38
	s_delay_alu instid0(VALU_DEP_2) | instskip(NEXT) | instid1(VALU_DEP_2)
	v_and_b32_e32 v27, 0x80, v27
	v_or_b32_e32 v36, v36, v37
	s_delay_alu instid0(VALU_DEP_3) | instskip(NEXT) | instid1(VALU_DEP_2)
	v_and_b32_e32 v38, 0xfc, v38
	v_cmp_ne_u32_e32 vcc_lo, 0, v36
	v_and_b32_e32 v39, 3, v37
	s_delay_alu instid0(VALU_DEP_1) | instskip(NEXT) | instid1(VALU_DEP_1)
	v_or3_b32 v27, v27, v38, v39
	v_lshlrev_b32_e32 v27, 8, v27
	s_delay_alu instid0(VALU_DEP_1)
	v_cndmask_b32_e32 v106, 0, v27, vcc_lo
.LBB6_13675:                            ;   in Loop: Header=BB6_12675 Depth=3
	s_or_b32 exec_lo, exec_lo, s30
.LBB6_13676:                            ;   in Loop: Header=BB6_12675 Depth=3
	s_delay_alu instid0(SALU_CYCLE_1) | instskip(SKIP_3) | instid1(VALU_DEP_1)
	s_or_b32 exec_lo, exec_lo, s17
	v_or_b32_e32 v36, v123, v121
	s_mov_b32 s13, 0
	s_mov_b32 s30, exec_lo
                                        ; implicit-def: $sgpr17
	v_and_b32_e32 v37, 0xff, v36
	s_delay_alu instid0(VALU_DEP_1)
	v_cmpx_lt_i16_e32 0x7f, v37
	s_xor_b32 s30, exec_lo, s30
	s_cbranch_execnz .LBB6_14842
; %bb.13677:                            ;   in Loop: Header=BB6_12675 Depth=3
	s_or_saveexec_b32 s30, s30
	v_mov_b32_e32 v27, s17
	s_xor_b32 exec_lo, exec_lo, s30
	s_cbranch_execnz .LBB6_14845
.LBB6_13678:                            ;   in Loop: Header=BB6_12675 Depth=3
	s_or_b32 exec_lo, exec_lo, s30
	v_lshl_or_b32 v26, v36, 16, v26
	s_and_saveexec_b32 s17, s13
	s_cbranch_execz .LBB6_13680
.LBB6_13679:                            ;   in Loop: Header=BB6_12675 Depth=3
	s_delay_alu instid0(VALU_DEP_1) | instskip(SKIP_2) | instid1(VALU_DEP_3)
	v_bfe_u32 v27, v26, 16, 2
	v_lshrrev_b32_e32 v37, 16, v26
	v_lshlrev_b32_e32 v39, 8, v26
	v_clz_i32_u32_e32 v36, v27
	s_delay_alu instid0(VALU_DEP_1) | instskip(NEXT) | instid1(VALU_DEP_1)
	v_min_u32_e32 v36, 32, v36
	v_subrev_nc_u32_e32 v38, 29, v36
	v_sub_nc_u32_e32 v36, 30, v36
	s_delay_alu instid0(VALU_DEP_2) | instskip(SKIP_1) | instid1(VALU_DEP_1)
	v_lshlrev_b32_e32 v37, v38, v37
	v_bfe_u32 v38, v26, 18, 5
	v_cmp_eq_u32_e32 vcc_lo, 0, v38
	s_delay_alu instid0(VALU_DEP_3) | instskip(NEXT) | instid1(VALU_DEP_1)
	v_dual_cndmask_b32 v36, v38, v36 :: v_dual_and_b32 v37, 3, v37
	v_cndmask_b32_e32 v27, v27, v37, vcc_lo
	v_and_b32_e32 v37, 0x80000000, v39
	s_delay_alu instid0(VALU_DEP_3) | instskip(NEXT) | instid1(VALU_DEP_3)
	v_lshl_add_u32 v36, v36, 23, 0x37800000
	v_lshlrev_b32_e32 v27, 21, v27
	s_delay_alu instid0(VALU_DEP_1)
	v_or3_b32 v27, v37, v36, v27
.LBB6_13680:                            ;   in Loop: Header=BB6_12675 Depth=3
	s_or_b32 exec_lo, exec_lo, s17
	v_lshrrev_b32_e32 v36, 16, v23
	s_mov_b32 s13, 0
	s_mov_b32 s30, exec_lo
                                        ; implicit-def: $sgpr17
	s_delay_alu instid0(VALU_DEP_1) | instskip(NEXT) | instid1(VALU_DEP_1)
	v_and_b32_e32 v38, 0xff, v36
	v_cmpx_lt_i16_e32 0x7f, v38
	s_xor_b32 s30, exec_lo, s30
	s_cbranch_execnz .LBB6_14846
; %bb.13681:                            ;   in Loop: Header=BB6_12675 Depth=3
	s_or_saveexec_b32 s30, s30
	v_mov_b32_e32 v37, s17
	s_xor_b32 exec_lo, exec_lo, s30
	s_cbranch_execnz .LBB6_14849
.LBB6_13682:                            ;   in Loop: Header=BB6_12675 Depth=3
	s_or_b32 exec_lo, exec_lo, s30
	s_and_saveexec_b32 s17, s13
	s_cbranch_execz .LBB6_13684
.LBB6_13683:                            ;   in Loop: Header=BB6_12675 Depth=3
	v_bfe_u32 v37, v23, 16, 2
	v_lshlrev_b32_e32 v48, 8, v23
	s_delay_alu instid0(VALU_DEP_2) | instskip(NEXT) | instid1(VALU_DEP_1)
	v_clz_i32_u32_e32 v38, v37
	v_min_u32_e32 v38, 32, v38
	s_delay_alu instid0(VALU_DEP_1) | instskip(SKIP_1) | instid1(VALU_DEP_2)
	v_subrev_nc_u32_e32 v39, 29, v38
	v_sub_nc_u32_e32 v38, 30, v38
	v_lshlrev_b32_e32 v36, v39, v36
	v_bfe_u32 v39, v23, 18, 5
	s_delay_alu instid0(VALU_DEP_2) | instskip(NEXT) | instid1(VALU_DEP_2)
	v_and_b32_e32 v36, 3, v36
	v_cmp_eq_u32_e32 vcc_lo, 0, v39
	v_cndmask_b32_e32 v38, v39, v38, vcc_lo
	s_delay_alu instid0(VALU_DEP_3) | instskip(SKIP_1) | instid1(VALU_DEP_3)
	v_cndmask_b32_e32 v36, v37, v36, vcc_lo
	v_and_b32_e32 v37, 0x80000000, v48
	v_lshl_add_u32 v38, v38, 23, 0x37800000
	s_delay_alu instid0(VALU_DEP_3) | instskip(NEXT) | instid1(VALU_DEP_1)
	v_lshlrev_b32_e32 v36, 21, v36
	v_or3_b32 v37, v37, v38, v36
.LBB6_13684:                            ;   in Loop: Header=BB6_12675 Depth=3
	s_or_b32 exec_lo, exec_lo, s17
	s_delay_alu instid0(VALU_DEP_1) | instskip(SKIP_2) | instid1(VALU_DEP_2)
	v_add_f32_e32 v27, v27, v37
	v_mov_b32_e32 v121, 0x80
	s_mov_b32 s17, exec_lo
	v_and_b32_e32 v36, 0x7f800000, v27
	s_delay_alu instid0(VALU_DEP_1)
	v_cmpx_ne_u32_e32 0x7f800000, v36
	s_cbranch_execz .LBB6_13692
; %bb.13685:                            ;   in Loop: Header=BB6_12675 Depth=3
	v_mov_b32_e32 v121, 0
	s_mov_b32 s30, exec_lo
	v_cmpx_ne_u32_e32 0, v27
	s_cbranch_execz .LBB6_13691
; %bb.13686:                            ;   in Loop: Header=BB6_12675 Depth=3
	v_bfe_u32 v36, v27, 23, 8
	s_delay_alu instid0(VALU_DEP_1) | instskip(SKIP_1) | instid1(VALU_DEP_2)
	v_sub_nc_u32_e32 v38, 0x70, v36
	v_cmp_gt_u32_e32 vcc_lo, 0x71, v36
	v_dual_cndmask_b32 v38, 0, v38 :: v_dual_and_b32 v37, 0x7fffff, v27
	s_delay_alu instid0(VALU_DEP_1) | instskip(SKIP_2) | instid1(VALU_DEP_4)
	v_or_b32_e32 v39, 0x800000, v37
	v_cmp_eq_u32_e32 vcc_lo, 0, v36
	v_add_nc_u32_e32 v36, 0xffffff91, v36
	v_cndmask_b32_e64 v38, v38, 0x6f, vcc_lo
	s_delay_alu instid0(VALU_DEP_4) | instskip(NEXT) | instid1(VALU_DEP_3)
	v_cndmask_b32_e32 v37, v39, v37, vcc_lo
	v_cndmask_b32_e64 v36, v36, 0xffffff92, vcc_lo
	s_delay_alu instid0(VALU_DEP_3) | instskip(NEXT) | instid1(VALU_DEP_3)
	v_lshl_add_u32 v39, 0x200000, v38, -1
	v_lshrrev_b32_e32 v48, v38, v37
	v_lshlrev_b32_e64 v50, v38, 0x100000
	s_delay_alu instid0(VALU_DEP_4) | instskip(NEXT) | instid1(VALU_DEP_4)
	v_add_nc_u32_e32 v38, v38, v36
	v_and_b32_e32 v37, v39, v37
	s_delay_alu instid0(VALU_DEP_4) | instskip(NEXT) | instid1(VALU_DEP_2)
	v_bfe_u32 v49, v48, 21, 1
	v_cmp_eq_u32_e64 s13, v37, v50
	s_delay_alu instid0(VALU_DEP_2) | instskip(NEXT) | instid1(VALU_DEP_1)
	v_add_nc_u32_e32 v39, -1, v49
	v_cndmask_b32_e64 v37, 0, v39, s13
	v_lshrrev_b32_e32 v39, 23, v48
	s_mov_b32 s13, exec_lo
	s_delay_alu instid0(VALU_DEP_2) | instskip(NEXT) | instid1(VALU_DEP_2)
	v_add_nc_u32_e32 v37, v37, v48
	v_xor_b32_e32 v39, 1, v39
	s_delay_alu instid0(VALU_DEP_2) | instskip(NEXT) | instid1(VALU_DEP_1)
	v_and_b32_e32 v36, 0x1fffff, v37
	v_add_nc_u32_e32 v37, v36, v48
                                        ; implicit-def: $vgpr36
	s_delay_alu instid0(VALU_DEP_3)
	v_cmpx_ne_u32_e64 v38, v39
	s_xor_b32 s13, exec_lo, s13
; %bb.13687:                            ;   in Loop: Header=BB6_12675 Depth=3
	s_delay_alu instid0(VALU_DEP_2) | instskip(SKIP_2) | instid1(VALU_DEP_2)
	v_cmp_lt_u32_e32 vcc_lo, 0xffffff, v37
	v_sub_nc_u32_e32 v36, v38, v39
	v_cndmask_b32_e64 v38, 0, 1, vcc_lo
	v_add_co_ci_u32_e32 v36, vcc_lo, 0, v36, vcc_lo
	s_delay_alu instid0(VALU_DEP_2)
	v_lshrrev_b32_e32 v37, v38, v37
; %bb.13688:                            ;   in Loop: Header=BB6_12675 Depth=3
	s_and_not1_saveexec_b32 s13, s13
; %bb.13689:                            ;   in Loop: Header=BB6_12675 Depth=3
	s_delay_alu instid0(VALU_DEP_1)
	v_bfe_u32 v36, v37, 23, 1
; %bb.13690:                            ;   in Loop: Header=BB6_12675 Depth=3
	s_or_b32 exec_lo, exec_lo, s13
	v_lshrrev_b32_e32 v37, 21, v37
	s_delay_alu instid0(VALU_DEP_2) | instskip(SKIP_2) | instid1(VALU_DEP_2)
	v_cmp_gt_i32_e32 vcc_lo, 32, v36
	v_min_i32_e32 v38, 31, v36
	v_lshrrev_b32_e32 v27, 24, v27
	v_dual_cndmask_b32 v37, 3, v37 :: v_dual_lshlrev_b32 v38, 2, v38
	s_delay_alu instid0(VALU_DEP_2) | instskip(NEXT) | instid1(VALU_DEP_2)
	v_and_b32_e32 v27, 0x80, v27
	v_or_b32_e32 v36, v36, v37
	v_and_b32_e32 v39, 3, v37
	s_delay_alu instid0(VALU_DEP_2) | instskip(SKIP_1) | instid1(VALU_DEP_1)
	v_cmp_ne_u32_e32 vcc_lo, 0, v36
	v_and_b32_e32 v38, 0xfc, v38
	v_or3_b32 v27, v38, v27, v39
	s_delay_alu instid0(VALU_DEP_1)
	v_cndmask_b32_e32 v121, 0, v27, vcc_lo
.LBB6_13691:                            ;   in Loop: Header=BB6_12675 Depth=3
	s_or_b32 exec_lo, exec_lo, s30
.LBB6_13692:                            ;   in Loop: Header=BB6_12675 Depth=3
	s_delay_alu instid0(SALU_CYCLE_1) | instskip(SKIP_3) | instid1(VALU_DEP_1)
	s_or_b32 exec_lo, exec_lo, s17
	v_lshrrev_b32_e32 v36, 24, v26
	s_mov_b32 s13, 0
	s_mov_b32 s30, exec_lo
                                        ; implicit-def: $sgpr17
	v_cmpx_lt_i16_e32 0x7f, v36
	s_xor_b32 s30, exec_lo, s30
	s_cbranch_execnz .LBB6_14850
; %bb.13693:                            ;   in Loop: Header=BB6_12675 Depth=3
	s_or_saveexec_b32 s30, s30
	v_mov_b32_e32 v27, s17
	s_xor_b32 exec_lo, exec_lo, s30
	s_cbranch_execnz .LBB6_14853
.LBB6_13694:                            ;   in Loop: Header=BB6_12675 Depth=3
	s_or_b32 exec_lo, exec_lo, s30
	s_and_saveexec_b32 s17, s13
	s_cbranch_execz .LBB6_13696
.LBB6_13695:                            ;   in Loop: Header=BB6_12675 Depth=3
	v_bfe_u32 v27, v26, 24, 2
	s_delay_alu instid0(VALU_DEP_1) | instskip(NEXT) | instid1(VALU_DEP_1)
	v_clz_i32_u32_e32 v37, v27
	v_min_u32_e32 v37, 32, v37
	s_delay_alu instid0(VALU_DEP_1) | instskip(SKIP_1) | instid1(VALU_DEP_2)
	v_subrev_nc_u32_e32 v38, 29, v37
	v_sub_nc_u32_e32 v37, 30, v37
	v_lshlrev_b32_e32 v36, v38, v36
	v_bfe_u32 v38, v26, 26, 5
	v_and_b32_e32 v26, 0x80000000, v26
	s_delay_alu instid0(VALU_DEP_2) | instskip(NEXT) | instid1(VALU_DEP_4)
	v_cmp_eq_u32_e32 vcc_lo, 0, v38
	v_dual_cndmask_b32 v37, v38, v37 :: v_dual_and_b32 v36, 3, v36
	s_delay_alu instid0(VALU_DEP_1) | instskip(NEXT) | instid1(VALU_DEP_2)
	v_cndmask_b32_e32 v27, v27, v36, vcc_lo
	v_lshl_add_u32 v36, v37, 23, 0x37800000
	s_delay_alu instid0(VALU_DEP_2) | instskip(NEXT) | instid1(VALU_DEP_1)
	v_lshlrev_b32_e32 v27, 21, v27
	v_or3_b32 v27, v26, v36, v27
.LBB6_13696:                            ;   in Loop: Header=BB6_12675 Depth=3
	s_or_b32 exec_lo, exec_lo, s17
	v_lshrrev_b32_e32 v26, 24, v23
	s_mov_b32 s13, 0
	s_mov_b32 s30, exec_lo
                                        ; implicit-def: $sgpr17
	s_delay_alu instid0(VALU_DEP_1)
	v_cmpx_lt_i16_e32 0x7f, v26
	s_xor_b32 s30, exec_lo, s30
	s_cbranch_execnz .LBB6_14854
; %bb.13697:                            ;   in Loop: Header=BB6_12675 Depth=3
	s_or_saveexec_b32 s30, s30
	v_mov_b32_e32 v36, s17
	s_xor_b32 exec_lo, exec_lo, s30
	s_cbranch_execnz .LBB6_14857
.LBB6_13698:                            ;   in Loop: Header=BB6_12675 Depth=3
	s_or_b32 exec_lo, exec_lo, s30
	s_and_saveexec_b32 s17, s13
	s_cbranch_execz .LBB6_13700
.LBB6_13699:                            ;   in Loop: Header=BB6_12675 Depth=3
	v_bfe_u32 v36, v23, 24, 2
	s_delay_alu instid0(VALU_DEP_1) | instskip(NEXT) | instid1(VALU_DEP_1)
	v_clz_i32_u32_e32 v37, v36
	v_min_u32_e32 v37, 32, v37
	s_delay_alu instid0(VALU_DEP_1) | instskip(SKIP_1) | instid1(VALU_DEP_2)
	v_subrev_nc_u32_e32 v38, 29, v37
	v_sub_nc_u32_e32 v37, 30, v37
	v_lshlrev_b32_e32 v26, v38, v26
	v_bfe_u32 v38, v23, 26, 5
	v_and_b32_e32 v23, 0x80000000, v23
	s_delay_alu instid0(VALU_DEP_2) | instskip(NEXT) | instid1(VALU_DEP_4)
	v_cmp_eq_u32_e32 vcc_lo, 0, v38
	v_dual_cndmask_b32 v37, v38, v37 :: v_dual_and_b32 v26, 3, v26
	s_delay_alu instid0(VALU_DEP_1) | instskip(NEXT) | instid1(VALU_DEP_2)
	v_cndmask_b32_e32 v26, v36, v26, vcc_lo
	v_lshl_add_u32 v36, v37, 23, 0x37800000
	s_delay_alu instid0(VALU_DEP_2) | instskip(NEXT) | instid1(VALU_DEP_1)
	v_lshlrev_b32_e32 v26, 21, v26
	v_or3_b32 v36, v23, v36, v26
.LBB6_13700:                            ;   in Loop: Header=BB6_12675 Depth=3
	s_or_b32 exec_lo, exec_lo, s17
	s_delay_alu instid0(VALU_DEP_1) | instskip(NEXT) | instid1(VALU_DEP_1)
	v_add_f32_e32 v26, v27, v36
	v_and_b32_e32 v23, 0x7f800000, v26
	s_delay_alu instid0(VALU_DEP_1)
	v_cmp_ne_u32_e32 vcc_lo, 0x7f800000, v23
	v_mov_b32_e32 v23, 0x8000
	s_and_saveexec_b32 s17, vcc_lo
	s_cbranch_execz .LBB6_13708
; %bb.13701:                            ;   in Loop: Header=BB6_12675 Depth=3
	v_mov_b32_e32 v23, 0
	s_mov_b32 s30, exec_lo
	v_cmpx_ne_u32_e32 0, v26
	s_cbranch_execz .LBB6_13707
; %bb.13702:                            ;   in Loop: Header=BB6_12675 Depth=3
	v_bfe_u32 v23, v26, 23, 8
	s_delay_alu instid0(VALU_DEP_1) | instskip(SKIP_1) | instid1(VALU_DEP_2)
	v_sub_nc_u32_e32 v36, 0x70, v23
	v_cmp_gt_u32_e32 vcc_lo, 0x71, v23
	v_dual_cndmask_b32 v36, 0, v36 :: v_dual_and_b32 v27, 0x7fffff, v26
	s_delay_alu instid0(VALU_DEP_1) | instskip(SKIP_2) | instid1(VALU_DEP_4)
	v_or_b32_e32 v37, 0x800000, v27
	v_cmp_eq_u32_e32 vcc_lo, 0, v23
	v_add_nc_u32_e32 v23, 0xffffff91, v23
	v_cndmask_b32_e64 v36, v36, 0x6f, vcc_lo
	s_delay_alu instid0(VALU_DEP_4) | instskip(NEXT) | instid1(VALU_DEP_3)
	v_cndmask_b32_e32 v27, v37, v27, vcc_lo
	v_cndmask_b32_e64 v23, v23, 0xffffff92, vcc_lo
	s_delay_alu instid0(VALU_DEP_3) | instskip(NEXT) | instid1(VALU_DEP_3)
	v_lshl_add_u32 v37, 0x200000, v36, -1
	v_lshrrev_b32_e32 v38, v36, v27
	v_lshlrev_b32_e64 v48, v36, 0x100000
	s_delay_alu instid0(VALU_DEP_4) | instskip(NEXT) | instid1(VALU_DEP_4)
	v_add_nc_u32_e32 v36, v36, v23
	v_and_b32_e32 v27, v37, v27
	s_delay_alu instid0(VALU_DEP_4) | instskip(NEXT) | instid1(VALU_DEP_2)
	v_bfe_u32 v39, v38, 21, 1
	v_cmp_eq_u32_e64 s13, v27, v48
	s_delay_alu instid0(VALU_DEP_2) | instskip(NEXT) | instid1(VALU_DEP_1)
	v_add_nc_u32_e32 v37, -1, v39
	v_cndmask_b32_e64 v27, 0, v37, s13
	v_lshrrev_b32_e32 v37, 23, v38
	s_mov_b32 s13, exec_lo
	s_delay_alu instid0(VALU_DEP_2) | instskip(NEXT) | instid1(VALU_DEP_2)
	v_add_nc_u32_e32 v27, v27, v38
	v_xor_b32_e32 v37, 1, v37
	s_delay_alu instid0(VALU_DEP_2) | instskip(NEXT) | instid1(VALU_DEP_1)
	v_and_b32_e32 v23, 0x1fffff, v27
	v_add_nc_u32_e32 v27, v23, v38
                                        ; implicit-def: $vgpr23
	s_delay_alu instid0(VALU_DEP_3)
	v_cmpx_ne_u32_e64 v36, v37
	s_xor_b32 s13, exec_lo, s13
; %bb.13703:                            ;   in Loop: Header=BB6_12675 Depth=3
	s_delay_alu instid0(VALU_DEP_2) | instskip(SKIP_2) | instid1(VALU_DEP_2)
	v_cmp_lt_u32_e32 vcc_lo, 0xffffff, v27
	v_sub_nc_u32_e32 v23, v36, v37
	v_cndmask_b32_e64 v36, 0, 1, vcc_lo
	v_add_co_ci_u32_e32 v23, vcc_lo, 0, v23, vcc_lo
	s_delay_alu instid0(VALU_DEP_2)
	v_lshrrev_b32_e32 v27, v36, v27
; %bb.13704:                            ;   in Loop: Header=BB6_12675 Depth=3
	s_and_not1_saveexec_b32 s13, s13
; %bb.13705:                            ;   in Loop: Header=BB6_12675 Depth=3
	s_delay_alu instid0(VALU_DEP_1)
	v_bfe_u32 v23, v27, 23, 1
; %bb.13706:                            ;   in Loop: Header=BB6_12675 Depth=3
	s_or_b32 exec_lo, exec_lo, s13
	v_lshrrev_b32_e32 v27, 21, v27
	s_delay_alu instid0(VALU_DEP_2) | instskip(SKIP_2) | instid1(VALU_DEP_2)
	v_cmp_gt_i32_e32 vcc_lo, 32, v23
	v_min_i32_e32 v36, 31, v23
	v_lshrrev_b32_e32 v26, 24, v26
	v_dual_cndmask_b32 v27, 3, v27 :: v_dual_lshlrev_b32 v36, 2, v36
	s_delay_alu instid0(VALU_DEP_2) | instskip(NEXT) | instid1(VALU_DEP_2)
	v_and_b32_e32 v26, 0x80, v26
	v_or_b32_e32 v23, v23, v27
	v_and_b32_e32 v37, 3, v27
	s_delay_alu instid0(VALU_DEP_2) | instskip(SKIP_1) | instid1(VALU_DEP_1)
	v_cmp_ne_u32_e32 vcc_lo, 0, v23
	v_and_b32_e32 v36, 0xfc, v36
	v_or3_b32 v26, v26, v36, v37
	s_delay_alu instid0(VALU_DEP_1) | instskip(NEXT) | instid1(VALU_DEP_1)
	v_lshlrev_b32_e32 v26, 8, v26
	v_cndmask_b32_e32 v23, 0, v26, vcc_lo
.LBB6_13707:                            ;   in Loop: Header=BB6_12675 Depth=3
	s_or_b32 exec_lo, exec_lo, s30
.LBB6_13708:                            ;   in Loop: Header=BB6_12675 Depth=3
	s_delay_alu instid0(SALU_CYCLE_1) | instskip(SKIP_3) | instid1(VALU_DEP_1)
	s_or_b32 exec_lo, exec_lo, s17
	v_and_b32_e32 v27, 0xff, v122
	s_mov_b32 s13, 0
	s_mov_b32 s30, exec_lo
                                        ; implicit-def: $sgpr17
	v_cmpx_lt_i16_e32 0x7f, v27
	s_xor_b32 s30, exec_lo, s30
	s_cbranch_execnz .LBB6_14858
; %bb.13709:                            ;   in Loop: Header=BB6_12675 Depth=3
	s_or_saveexec_b32 s30, s30
	v_mov_b32_e32 v26, s17
	s_xor_b32 exec_lo, exec_lo, s30
	s_cbranch_execnz .LBB6_14861
.LBB6_13710:                            ;   in Loop: Header=BB6_12675 Depth=3
	s_or_b32 exec_lo, exec_lo, s30
	s_and_saveexec_b32 s17, s13
	s_cbranch_execz .LBB6_13712
.LBB6_13711:                            ;   in Loop: Header=BB6_12675 Depth=3
	v_bfe_u32 v37, v122, 2, 5
	v_lshlrev_b32_e32 v38, 24, v122
	s_delay_alu instid0(VALU_DEP_2) | instskip(SKIP_1) | instid1(VALU_DEP_1)
	v_cmp_eq_u32_e32 vcc_lo, 0, v37
	v_and_b32_e32 v26, 3, v122
	v_clz_i32_u32_e32 v27, v26
	s_delay_alu instid0(VALU_DEP_1) | instskip(NEXT) | instid1(VALU_DEP_1)
	v_min_u32_e32 v27, 32, v27
	v_subrev_nc_u32_e32 v36, 29, v27
	v_sub_nc_u32_e32 v27, 30, v27
	s_delay_alu instid0(VALU_DEP_1) | instskip(NEXT) | instid1(VALU_DEP_1)
	v_dual_cndmask_b32 v27, v37, v27 :: v_dual_lshlrev_b32 v36, v36, v122
	v_and_b32_e32 v36, 3, v36
	s_delay_alu instid0(VALU_DEP_2) | instskip(NEXT) | instid1(VALU_DEP_2)
	v_lshl_add_u32 v27, v27, 23, 0x37800000
	v_cndmask_b32_e32 v26, v26, v36, vcc_lo
	v_and_b32_e32 v36, 0x80000000, v38
	s_delay_alu instid0(VALU_DEP_2) | instskip(NEXT) | instid1(VALU_DEP_1)
	v_lshlrev_b32_e32 v26, 21, v26
	v_or3_b32 v26, v36, v27, v26
.LBB6_13712:                            ;   in Loop: Header=BB6_12675 Depth=3
	s_or_b32 exec_lo, exec_lo, s17
	s_waitcnt vmcnt(2)
	v_and_b32_e32 v36, 0xff, v16
	s_mov_b32 s13, 0
	s_mov_b32 s30, exec_lo
                                        ; implicit-def: $sgpr17
	s_delay_alu instid0(VALU_DEP_1)
	v_cmpx_lt_i16_e32 0x7f, v36
	s_xor_b32 s30, exec_lo, s30
	s_cbranch_execnz .LBB6_14862
; %bb.13713:                            ;   in Loop: Header=BB6_12675 Depth=3
	s_or_saveexec_b32 s30, s30
	v_mov_b32_e32 v27, s17
	s_xor_b32 exec_lo, exec_lo, s30
	s_cbranch_execnz .LBB6_14865
.LBB6_13714:                            ;   in Loop: Header=BB6_12675 Depth=3
	s_or_b32 exec_lo, exec_lo, s30
	s_and_saveexec_b32 s17, s13
	s_cbranch_execz .LBB6_13716
.LBB6_13715:                            ;   in Loop: Header=BB6_12675 Depth=3
	v_and_b32_e32 v27, 3, v16
	v_bfe_u32 v38, v16, 2, 5
	v_lshlrev_b32_e32 v39, 24, v16
	s_delay_alu instid0(VALU_DEP_3) | instskip(NEXT) | instid1(VALU_DEP_3)
	v_clz_i32_u32_e32 v36, v27
	v_cmp_eq_u32_e32 vcc_lo, 0, v38
	s_delay_alu instid0(VALU_DEP_2) | instskip(NEXT) | instid1(VALU_DEP_1)
	v_min_u32_e32 v36, 32, v36
	v_subrev_nc_u32_e32 v37, 29, v36
	v_sub_nc_u32_e32 v36, 30, v36
	s_delay_alu instid0(VALU_DEP_2) | instskip(NEXT) | instid1(VALU_DEP_1)
	v_lshlrev_b32_e32 v37, v37, v16
	v_dual_cndmask_b32 v36, v38, v36 :: v_dual_and_b32 v37, 3, v37
	s_delay_alu instid0(VALU_DEP_1) | instskip(NEXT) | instid1(VALU_DEP_2)
	v_lshl_add_u32 v36, v36, 23, 0x37800000
	v_cndmask_b32_e32 v27, v27, v37, vcc_lo
	v_and_b32_e32 v37, 0x80000000, v39
	s_delay_alu instid0(VALU_DEP_2) | instskip(NEXT) | instid1(VALU_DEP_1)
	v_lshlrev_b32_e32 v27, 21, v27
	v_or3_b32 v27, v37, v36, v27
.LBB6_13716:                            ;   in Loop: Header=BB6_12675 Depth=3
	s_or_b32 exec_lo, exec_lo, s17
	s_delay_alu instid0(VALU_DEP_1) | instskip(SKIP_2) | instid1(VALU_DEP_2)
	v_add_f32_e32 v26, v26, v27
	v_mov_b32_e32 v122, 0x80
	s_mov_b32 s17, exec_lo
	v_and_b32_e32 v27, 0x7f800000, v26
	s_delay_alu instid0(VALU_DEP_1)
	v_cmpx_ne_u32_e32 0x7f800000, v27
	s_cbranch_execz .LBB6_13724
; %bb.13717:                            ;   in Loop: Header=BB6_12675 Depth=3
	v_mov_b32_e32 v122, 0
	s_mov_b32 s30, exec_lo
	v_cmpx_ne_u32_e32 0, v26
	s_cbranch_execz .LBB6_13723
; %bb.13718:                            ;   in Loop: Header=BB6_12675 Depth=3
	v_bfe_u32 v27, v26, 23, 8
	s_delay_alu instid0(VALU_DEP_1) | instskip(SKIP_1) | instid1(VALU_DEP_2)
	v_sub_nc_u32_e32 v37, 0x70, v27
	v_cmp_gt_u32_e32 vcc_lo, 0x71, v27
	v_dual_cndmask_b32 v37, 0, v37 :: v_dual_and_b32 v36, 0x7fffff, v26
	s_delay_alu instid0(VALU_DEP_1) | instskip(SKIP_2) | instid1(VALU_DEP_4)
	v_or_b32_e32 v38, 0x800000, v36
	v_cmp_eq_u32_e32 vcc_lo, 0, v27
	v_add_nc_u32_e32 v27, 0xffffff91, v27
	v_cndmask_b32_e64 v37, v37, 0x6f, vcc_lo
	s_delay_alu instid0(VALU_DEP_4) | instskip(NEXT) | instid1(VALU_DEP_3)
	v_cndmask_b32_e32 v36, v38, v36, vcc_lo
	v_cndmask_b32_e64 v27, v27, 0xffffff92, vcc_lo
	s_delay_alu instid0(VALU_DEP_3) | instskip(NEXT) | instid1(VALU_DEP_3)
	v_lshl_add_u32 v38, 0x200000, v37, -1
	v_lshrrev_b32_e32 v39, v37, v36
	v_lshlrev_b32_e64 v49, v37, 0x100000
	s_delay_alu instid0(VALU_DEP_4) | instskip(NEXT) | instid1(VALU_DEP_4)
	v_add_nc_u32_e32 v37, v37, v27
	v_and_b32_e32 v36, v38, v36
	s_delay_alu instid0(VALU_DEP_4) | instskip(NEXT) | instid1(VALU_DEP_2)
	v_bfe_u32 v48, v39, 21, 1
	v_cmp_eq_u32_e64 s13, v36, v49
	s_delay_alu instid0(VALU_DEP_2) | instskip(NEXT) | instid1(VALU_DEP_1)
	v_add_nc_u32_e32 v38, -1, v48
	v_cndmask_b32_e64 v36, 0, v38, s13
	v_lshrrev_b32_e32 v38, 23, v39
	s_mov_b32 s13, exec_lo
	s_delay_alu instid0(VALU_DEP_2) | instskip(NEXT) | instid1(VALU_DEP_2)
	v_add_nc_u32_e32 v36, v36, v39
	v_xor_b32_e32 v38, 1, v38
	s_delay_alu instid0(VALU_DEP_2) | instskip(NEXT) | instid1(VALU_DEP_1)
	v_and_b32_e32 v27, 0x1fffff, v36
	v_add_nc_u32_e32 v36, v27, v39
                                        ; implicit-def: $vgpr27
	s_delay_alu instid0(VALU_DEP_3)
	v_cmpx_ne_u32_e64 v37, v38
	s_xor_b32 s13, exec_lo, s13
; %bb.13719:                            ;   in Loop: Header=BB6_12675 Depth=3
	s_delay_alu instid0(VALU_DEP_2) | instskip(SKIP_2) | instid1(VALU_DEP_2)
	v_cmp_lt_u32_e32 vcc_lo, 0xffffff, v36
	v_sub_nc_u32_e32 v27, v37, v38
	v_cndmask_b32_e64 v37, 0, 1, vcc_lo
	v_add_co_ci_u32_e32 v27, vcc_lo, 0, v27, vcc_lo
	s_delay_alu instid0(VALU_DEP_2)
	v_lshrrev_b32_e32 v36, v37, v36
; %bb.13720:                            ;   in Loop: Header=BB6_12675 Depth=3
	s_and_not1_saveexec_b32 s13, s13
; %bb.13721:                            ;   in Loop: Header=BB6_12675 Depth=3
	s_delay_alu instid0(VALU_DEP_1)
	v_bfe_u32 v27, v36, 23, 1
; %bb.13722:                            ;   in Loop: Header=BB6_12675 Depth=3
	s_or_b32 exec_lo, exec_lo, s13
	v_lshrrev_b32_e32 v36, 21, v36
	s_delay_alu instid0(VALU_DEP_2) | instskip(SKIP_2) | instid1(VALU_DEP_4)
	v_cmp_gt_i32_e32 vcc_lo, 32, v27
	v_lshrrev_b32_e32 v26, 24, v26
	v_min_i32_e32 v37, 31, v27
	v_cndmask_b32_e32 v36, 3, v36, vcc_lo
	s_delay_alu instid0(VALU_DEP_3) | instskip(NEXT) | instid1(VALU_DEP_3)
	v_and_b32_e32 v26, 0x80, v26
	v_lshlrev_b32_e32 v37, 2, v37
	s_delay_alu instid0(VALU_DEP_3) | instskip(SKIP_1) | instid1(VALU_DEP_2)
	v_and_b32_e32 v38, 3, v36
	v_or_b32_e32 v27, v27, v36
	v_or3_b32 v26, v37, v26, v38
	s_delay_alu instid0(VALU_DEP_2) | instskip(NEXT) | instid1(VALU_DEP_2)
	v_cmp_ne_u32_e32 vcc_lo, 0, v27
	v_cndmask_b32_e32 v122, 0, v26, vcc_lo
.LBB6_13723:                            ;   in Loop: Header=BB6_12675 Depth=3
	s_or_b32 exec_lo, exec_lo, s30
.LBB6_13724:                            ;   in Loop: Header=BB6_12675 Depth=3
	s_delay_alu instid0(SALU_CYCLE_1) | instskip(SKIP_3) | instid1(VALU_DEP_1)
	s_or_b32 exec_lo, exec_lo, s17
	v_and_b32_e32 v27, 0xff, v111
	s_mov_b32 s13, 0
	s_mov_b32 s30, exec_lo
                                        ; implicit-def: $sgpr17
	v_cmpx_lt_i16_e32 0x7f, v27
	s_xor_b32 s30, exec_lo, s30
	s_cbranch_execnz .LBB6_14866
; %bb.13725:                            ;   in Loop: Header=BB6_12675 Depth=3
	s_or_saveexec_b32 s30, s30
	v_mov_b32_e32 v26, s17
	s_xor_b32 exec_lo, exec_lo, s30
	s_cbranch_execnz .LBB6_14869
.LBB6_13726:                            ;   in Loop: Header=BB6_12675 Depth=3
	s_or_b32 exec_lo, exec_lo, s30
	s_and_saveexec_b32 s17, s13
	s_cbranch_execz .LBB6_13728
.LBB6_13727:                            ;   in Loop: Header=BB6_12675 Depth=3
	v_and_b32_e32 v26, 3, v111
	v_bfe_u32 v37, v111, 2, 5
	v_lshlrev_b32_e32 v38, 24, v111
	s_delay_alu instid0(VALU_DEP_3) | instskip(NEXT) | instid1(VALU_DEP_3)
	v_clz_i32_u32_e32 v27, v26
	v_cmp_eq_u32_e32 vcc_lo, 0, v37
	s_delay_alu instid0(VALU_DEP_2) | instskip(NEXT) | instid1(VALU_DEP_1)
	v_min_u32_e32 v27, 32, v27
	v_subrev_nc_u32_e32 v36, 29, v27
	v_sub_nc_u32_e32 v27, 30, v27
	s_delay_alu instid0(VALU_DEP_2) | instskip(NEXT) | instid1(VALU_DEP_1)
	v_lshlrev_b32_e32 v36, v36, v111
	v_dual_cndmask_b32 v27, v37, v27 :: v_dual_and_b32 v36, 3, v36
	s_delay_alu instid0(VALU_DEP_1) | instskip(NEXT) | instid1(VALU_DEP_2)
	v_lshl_add_u32 v27, v27, 23, 0x37800000
	v_cndmask_b32_e32 v26, v26, v36, vcc_lo
	v_and_b32_e32 v36, 0x80000000, v38
	s_delay_alu instid0(VALU_DEP_2) | instskip(NEXT) | instid1(VALU_DEP_1)
	v_lshlrev_b32_e32 v26, 21, v26
	v_or3_b32 v26, v36, v27, v26
.LBB6_13728:                            ;   in Loop: Header=BB6_12675 Depth=3
	s_or_b32 exec_lo, exec_lo, s17
	v_lshrrev_b16 v27, 8, v16
	s_mov_b32 s13, 0
	s_mov_b32 s30, exec_lo
                                        ; implicit-def: $sgpr17
	s_delay_alu instid0(VALU_DEP_1)
	v_cmpx_lt_i16_e32 0x7f, v27
	s_xor_b32 s30, exec_lo, s30
	s_cbranch_execnz .LBB6_14870
; %bb.13729:                            ;   in Loop: Header=BB6_12675 Depth=3
	s_or_saveexec_b32 s30, s30
	v_mov_b32_e32 v36, s17
	s_xor_b32 exec_lo, exec_lo, s30
	s_cbranch_execnz .LBB6_14873
.LBB6_13730:                            ;   in Loop: Header=BB6_12675 Depth=3
	s_or_b32 exec_lo, exec_lo, s30
	s_and_saveexec_b32 s17, s13
	s_cbranch_execz .LBB6_13732
.LBB6_13731:                            ;   in Loop: Header=BB6_12675 Depth=3
	v_and_b32_e32 v36, 0xffff, v27
	v_lshlrev_b32_e32 v27, 24, v27
	s_delay_alu instid0(VALU_DEP_2) | instskip(NEXT) | instid1(VALU_DEP_2)
	v_and_b32_e32 v37, 3, v36
	v_and_b32_e32 v27, 0x80000000, v27
	s_delay_alu instid0(VALU_DEP_2) | instskip(NEXT) | instid1(VALU_DEP_1)
	v_clz_i32_u32_e32 v38, v37
	v_min_u32_e32 v38, 32, v38
	s_delay_alu instid0(VALU_DEP_1) | instskip(SKIP_1) | instid1(VALU_DEP_2)
	v_subrev_nc_u32_e32 v39, 29, v38
	v_sub_nc_u32_e32 v38, 30, v38
	v_lshlrev_b32_e32 v39, v39, v36
	v_bfe_u32 v36, v36, 2, 5
	s_delay_alu instid0(VALU_DEP_2) | instskip(NEXT) | instid1(VALU_DEP_2)
	v_and_b32_e32 v39, 3, v39
	v_cmp_eq_u32_e32 vcc_lo, 0, v36
	s_delay_alu instid0(VALU_DEP_2) | instskip(NEXT) | instid1(VALU_DEP_1)
	v_dual_cndmask_b32 v36, v36, v38 :: v_dual_cndmask_b32 v37, v37, v39
	v_lshl_add_u32 v36, v36, 23, 0x37800000
	s_delay_alu instid0(VALU_DEP_2) | instskip(NEXT) | instid1(VALU_DEP_1)
	v_lshlrev_b32_e32 v37, 21, v37
	v_or3_b32 v36, v27, v36, v37
.LBB6_13732:                            ;   in Loop: Header=BB6_12675 Depth=3
	s_or_b32 exec_lo, exec_lo, s17
	s_delay_alu instid0(VALU_DEP_1) | instskip(SKIP_1) | instid1(VALU_DEP_1)
	v_dual_add_f32 v26, v26, v36 :: v_dual_mov_b32 v111, 0x80
	s_mov_b32 s17, exec_lo
	v_and_b32_e32 v27, 0x7f800000, v26
	s_delay_alu instid0(VALU_DEP_1)
	v_cmpx_ne_u32_e32 0x7f800000, v27
	s_cbranch_execz .LBB6_13740
; %bb.13733:                            ;   in Loop: Header=BB6_12675 Depth=3
	v_mov_b32_e32 v111, 0
	s_mov_b32 s30, exec_lo
	v_cmpx_ne_u32_e32 0, v26
	s_cbranch_execz .LBB6_13739
; %bb.13734:                            ;   in Loop: Header=BB6_12675 Depth=3
	v_bfe_u32 v27, v26, 23, 8
	s_delay_alu instid0(VALU_DEP_1) | instskip(SKIP_1) | instid1(VALU_DEP_2)
	v_sub_nc_u32_e32 v37, 0x70, v27
	v_cmp_gt_u32_e32 vcc_lo, 0x71, v27
	v_dual_cndmask_b32 v37, 0, v37 :: v_dual_and_b32 v36, 0x7fffff, v26
	s_delay_alu instid0(VALU_DEP_1) | instskip(SKIP_2) | instid1(VALU_DEP_4)
	v_or_b32_e32 v38, 0x800000, v36
	v_cmp_eq_u32_e32 vcc_lo, 0, v27
	v_add_nc_u32_e32 v27, 0xffffff91, v27
	v_cndmask_b32_e64 v37, v37, 0x6f, vcc_lo
	s_delay_alu instid0(VALU_DEP_4) | instskip(NEXT) | instid1(VALU_DEP_3)
	v_cndmask_b32_e32 v36, v38, v36, vcc_lo
	v_cndmask_b32_e64 v27, v27, 0xffffff92, vcc_lo
	s_delay_alu instid0(VALU_DEP_3) | instskip(NEXT) | instid1(VALU_DEP_3)
	v_lshl_add_u32 v38, 0x200000, v37, -1
	v_lshrrev_b32_e32 v39, v37, v36
	v_lshlrev_b32_e64 v49, v37, 0x100000
	s_delay_alu instid0(VALU_DEP_4) | instskip(NEXT) | instid1(VALU_DEP_4)
	v_add_nc_u32_e32 v37, v37, v27
	v_and_b32_e32 v36, v38, v36
	s_delay_alu instid0(VALU_DEP_4) | instskip(NEXT) | instid1(VALU_DEP_2)
	v_bfe_u32 v48, v39, 21, 1
	v_cmp_eq_u32_e64 s13, v36, v49
	s_delay_alu instid0(VALU_DEP_2) | instskip(NEXT) | instid1(VALU_DEP_1)
	v_add_nc_u32_e32 v38, -1, v48
	v_cndmask_b32_e64 v36, 0, v38, s13
	v_lshrrev_b32_e32 v38, 23, v39
	s_mov_b32 s13, exec_lo
	s_delay_alu instid0(VALU_DEP_2) | instskip(NEXT) | instid1(VALU_DEP_2)
	v_add_nc_u32_e32 v36, v36, v39
	v_xor_b32_e32 v38, 1, v38
	s_delay_alu instid0(VALU_DEP_2) | instskip(NEXT) | instid1(VALU_DEP_1)
	v_and_b32_e32 v27, 0x1fffff, v36
	v_add_nc_u32_e32 v36, v27, v39
                                        ; implicit-def: $vgpr27
	s_delay_alu instid0(VALU_DEP_3)
	v_cmpx_ne_u32_e64 v37, v38
	s_xor_b32 s13, exec_lo, s13
; %bb.13735:                            ;   in Loop: Header=BB6_12675 Depth=3
	s_delay_alu instid0(VALU_DEP_2) | instskip(SKIP_2) | instid1(VALU_DEP_2)
	v_cmp_lt_u32_e32 vcc_lo, 0xffffff, v36
	v_sub_nc_u32_e32 v27, v37, v38
	v_cndmask_b32_e64 v37, 0, 1, vcc_lo
	v_add_co_ci_u32_e32 v27, vcc_lo, 0, v27, vcc_lo
	s_delay_alu instid0(VALU_DEP_2)
	v_lshrrev_b32_e32 v36, v37, v36
; %bb.13736:                            ;   in Loop: Header=BB6_12675 Depth=3
	s_and_not1_saveexec_b32 s13, s13
; %bb.13737:                            ;   in Loop: Header=BB6_12675 Depth=3
	s_delay_alu instid0(VALU_DEP_1)
	v_bfe_u32 v27, v36, 23, 1
; %bb.13738:                            ;   in Loop: Header=BB6_12675 Depth=3
	s_or_b32 exec_lo, exec_lo, s13
	v_lshrrev_b32_e32 v36, 21, v36
	s_delay_alu instid0(VALU_DEP_2) | instskip(SKIP_2) | instid1(VALU_DEP_2)
	v_cmp_gt_i32_e32 vcc_lo, 32, v27
	v_min_i32_e32 v37, 31, v27
	v_lshrrev_b32_e32 v26, 24, v26
	v_dual_cndmask_b32 v36, 3, v36 :: v_dual_lshlrev_b32 v37, 2, v37
	s_delay_alu instid0(VALU_DEP_2) | instskip(NEXT) | instid1(VALU_DEP_2)
	v_and_b32_e32 v26, 0x80, v26
	v_or_b32_e32 v27, v27, v36
	s_delay_alu instid0(VALU_DEP_1) | instskip(SKIP_1) | instid1(VALU_DEP_1)
	v_cmp_ne_u32_e32 vcc_lo, 0, v27
	v_and_b32_e32 v38, 3, v36
	v_or3_b32 v26, v37, v26, v38
	s_delay_alu instid0(VALU_DEP_1)
	v_cndmask_b32_e32 v111, 0, v26, vcc_lo
.LBB6_13739:                            ;   in Loop: Header=BB6_12675 Depth=3
	s_or_b32 exec_lo, exec_lo, s30
.LBB6_13740:                            ;   in Loop: Header=BB6_12675 Depth=3
	s_delay_alu instid0(SALU_CYCLE_1) | instskip(SKIP_3) | instid1(VALU_DEP_1)
	s_or_b32 exec_lo, exec_lo, s17
	v_and_b32_e32 v27, 0xff, v110
	s_mov_b32 s13, 0
	s_mov_b32 s30, exec_lo
                                        ; implicit-def: $sgpr17
	v_cmpx_lt_i16_e32 0x7f, v27
	s_xor_b32 s30, exec_lo, s30
	s_cbranch_execnz .LBB6_14874
; %bb.13741:                            ;   in Loop: Header=BB6_12675 Depth=3
	s_or_saveexec_b32 s30, s30
	v_mov_b32_e32 v26, s17
	s_xor_b32 exec_lo, exec_lo, s30
	s_cbranch_execnz .LBB6_14877
.LBB6_13742:                            ;   in Loop: Header=BB6_12675 Depth=3
	s_or_b32 exec_lo, exec_lo, s30
	s_and_saveexec_b32 s17, s13
	s_cbranch_execz .LBB6_13744
.LBB6_13743:                            ;   in Loop: Header=BB6_12675 Depth=3
	v_bfe_u32 v37, v110, 2, 5
	v_lshlrev_b32_e32 v38, 24, v110
	s_delay_alu instid0(VALU_DEP_2) | instskip(SKIP_1) | instid1(VALU_DEP_1)
	v_cmp_eq_u32_e32 vcc_lo, 0, v37
	v_and_b32_e32 v26, 3, v110
	v_clz_i32_u32_e32 v27, v26
	s_delay_alu instid0(VALU_DEP_1) | instskip(NEXT) | instid1(VALU_DEP_1)
	v_min_u32_e32 v27, 32, v27
	v_subrev_nc_u32_e32 v36, 29, v27
	v_sub_nc_u32_e32 v27, 30, v27
	s_delay_alu instid0(VALU_DEP_1) | instskip(NEXT) | instid1(VALU_DEP_1)
	v_dual_cndmask_b32 v27, v37, v27 :: v_dual_lshlrev_b32 v36, v36, v110
	v_and_b32_e32 v36, 3, v36
	s_delay_alu instid0(VALU_DEP_2) | instskip(NEXT) | instid1(VALU_DEP_2)
	v_lshl_add_u32 v27, v27, 23, 0x37800000
	v_cndmask_b32_e32 v26, v26, v36, vcc_lo
	v_and_b32_e32 v36, 0x80000000, v38
	s_delay_alu instid0(VALU_DEP_2) | instskip(NEXT) | instid1(VALU_DEP_1)
	v_lshlrev_b32_e32 v26, 21, v26
	v_or3_b32 v26, v36, v27, v26
.LBB6_13744:                            ;   in Loop: Header=BB6_12675 Depth=3
	s_or_b32 exec_lo, exec_lo, s17
	v_lshrrev_b32_e32 v27, 16, v16
	s_mov_b32 s13, 0
	s_mov_b32 s30, exec_lo
                                        ; implicit-def: $sgpr17
	s_delay_alu instid0(VALU_DEP_1) | instskip(NEXT) | instid1(VALU_DEP_1)
	v_and_b32_e32 v37, 0xff, v27
	v_cmpx_lt_i16_e32 0x7f, v37
	s_xor_b32 s30, exec_lo, s30
	s_cbranch_execnz .LBB6_14878
; %bb.13745:                            ;   in Loop: Header=BB6_12675 Depth=3
	s_or_saveexec_b32 s30, s30
	v_mov_b32_e32 v36, s17
	s_xor_b32 exec_lo, exec_lo, s30
	s_cbranch_execnz .LBB6_14881
.LBB6_13746:                            ;   in Loop: Header=BB6_12675 Depth=3
	s_or_b32 exec_lo, exec_lo, s30
	s_and_saveexec_b32 s17, s13
	s_cbranch_execz .LBB6_13748
.LBB6_13747:                            ;   in Loop: Header=BB6_12675 Depth=3
	v_bfe_u32 v36, v16, 16, 2
	v_lshlrev_b32_e32 v39, 8, v16
	s_delay_alu instid0(VALU_DEP_2) | instskip(NEXT) | instid1(VALU_DEP_1)
	v_clz_i32_u32_e32 v37, v36
	v_min_u32_e32 v37, 32, v37
	s_delay_alu instid0(VALU_DEP_1) | instskip(SKIP_1) | instid1(VALU_DEP_2)
	v_subrev_nc_u32_e32 v38, 29, v37
	v_sub_nc_u32_e32 v37, 30, v37
	v_lshlrev_b32_e32 v27, v38, v27
	v_bfe_u32 v38, v16, 18, 5
	s_delay_alu instid0(VALU_DEP_2) | instskip(NEXT) | instid1(VALU_DEP_2)
	v_and_b32_e32 v27, 3, v27
	v_cmp_eq_u32_e32 vcc_lo, 0, v38
	v_cndmask_b32_e32 v37, v38, v37, vcc_lo
	s_delay_alu instid0(VALU_DEP_3) | instskip(SKIP_1) | instid1(VALU_DEP_3)
	v_cndmask_b32_e32 v27, v36, v27, vcc_lo
	v_and_b32_e32 v36, 0x80000000, v39
	v_lshl_add_u32 v37, v37, 23, 0x37800000
	s_delay_alu instid0(VALU_DEP_3) | instskip(NEXT) | instid1(VALU_DEP_1)
	v_lshlrev_b32_e32 v27, 21, v27
	v_or3_b32 v36, v36, v37, v27
.LBB6_13748:                            ;   in Loop: Header=BB6_12675 Depth=3
	s_or_b32 exec_lo, exec_lo, s17
	s_delay_alu instid0(VALU_DEP_1) | instskip(SKIP_2) | instid1(VALU_DEP_2)
	v_add_f32_e32 v26, v26, v36
	v_mov_b32_e32 v110, 0x80
	s_mov_b32 s17, exec_lo
	v_and_b32_e32 v27, 0x7f800000, v26
	s_delay_alu instid0(VALU_DEP_1)
	v_cmpx_ne_u32_e32 0x7f800000, v27
	s_cbranch_execz .LBB6_13756
; %bb.13749:                            ;   in Loop: Header=BB6_12675 Depth=3
	v_mov_b32_e32 v110, 0
	s_mov_b32 s30, exec_lo
	v_cmpx_ne_u32_e32 0, v26
	s_cbranch_execz .LBB6_13755
; %bb.13750:                            ;   in Loop: Header=BB6_12675 Depth=3
	v_bfe_u32 v27, v26, 23, 8
	s_delay_alu instid0(VALU_DEP_1) | instskip(SKIP_1) | instid1(VALU_DEP_2)
	v_sub_nc_u32_e32 v37, 0x70, v27
	v_cmp_gt_u32_e32 vcc_lo, 0x71, v27
	v_dual_cndmask_b32 v37, 0, v37 :: v_dual_and_b32 v36, 0x7fffff, v26
	s_delay_alu instid0(VALU_DEP_1) | instskip(SKIP_2) | instid1(VALU_DEP_4)
	v_or_b32_e32 v38, 0x800000, v36
	v_cmp_eq_u32_e32 vcc_lo, 0, v27
	v_add_nc_u32_e32 v27, 0xffffff91, v27
	v_cndmask_b32_e64 v37, v37, 0x6f, vcc_lo
	s_delay_alu instid0(VALU_DEP_4) | instskip(NEXT) | instid1(VALU_DEP_3)
	v_cndmask_b32_e32 v36, v38, v36, vcc_lo
	v_cndmask_b32_e64 v27, v27, 0xffffff92, vcc_lo
	s_delay_alu instid0(VALU_DEP_3) | instskip(NEXT) | instid1(VALU_DEP_3)
	v_lshl_add_u32 v38, 0x200000, v37, -1
	v_lshrrev_b32_e32 v39, v37, v36
	v_lshlrev_b32_e64 v49, v37, 0x100000
	s_delay_alu instid0(VALU_DEP_4) | instskip(NEXT) | instid1(VALU_DEP_4)
	v_add_nc_u32_e32 v37, v37, v27
	v_and_b32_e32 v36, v38, v36
	s_delay_alu instid0(VALU_DEP_4) | instskip(NEXT) | instid1(VALU_DEP_2)
	v_bfe_u32 v48, v39, 21, 1
	v_cmp_eq_u32_e64 s13, v36, v49
	s_delay_alu instid0(VALU_DEP_2) | instskip(NEXT) | instid1(VALU_DEP_1)
	v_add_nc_u32_e32 v38, -1, v48
	v_cndmask_b32_e64 v36, 0, v38, s13
	v_lshrrev_b32_e32 v38, 23, v39
	s_mov_b32 s13, exec_lo
	s_delay_alu instid0(VALU_DEP_2) | instskip(NEXT) | instid1(VALU_DEP_2)
	v_add_nc_u32_e32 v36, v36, v39
	v_xor_b32_e32 v38, 1, v38
	s_delay_alu instid0(VALU_DEP_2) | instskip(NEXT) | instid1(VALU_DEP_1)
	v_and_b32_e32 v27, 0x1fffff, v36
	v_add_nc_u32_e32 v36, v27, v39
                                        ; implicit-def: $vgpr27
	s_delay_alu instid0(VALU_DEP_3)
	v_cmpx_ne_u32_e64 v37, v38
	s_xor_b32 s13, exec_lo, s13
; %bb.13751:                            ;   in Loop: Header=BB6_12675 Depth=3
	s_delay_alu instid0(VALU_DEP_2) | instskip(SKIP_2) | instid1(VALU_DEP_2)
	v_cmp_lt_u32_e32 vcc_lo, 0xffffff, v36
	v_sub_nc_u32_e32 v27, v37, v38
	v_cndmask_b32_e64 v37, 0, 1, vcc_lo
	v_add_co_ci_u32_e32 v27, vcc_lo, 0, v27, vcc_lo
	s_delay_alu instid0(VALU_DEP_2)
	v_lshrrev_b32_e32 v36, v37, v36
; %bb.13752:                            ;   in Loop: Header=BB6_12675 Depth=3
	s_and_not1_saveexec_b32 s13, s13
; %bb.13753:                            ;   in Loop: Header=BB6_12675 Depth=3
	s_delay_alu instid0(VALU_DEP_1)
	v_bfe_u32 v27, v36, 23, 1
; %bb.13754:                            ;   in Loop: Header=BB6_12675 Depth=3
	s_or_b32 exec_lo, exec_lo, s13
	v_lshrrev_b32_e32 v36, 21, v36
	s_delay_alu instid0(VALU_DEP_2) | instskip(SKIP_2) | instid1(VALU_DEP_4)
	v_cmp_gt_i32_e32 vcc_lo, 32, v27
	v_lshrrev_b32_e32 v26, 24, v26
	v_min_i32_e32 v37, 31, v27
	v_cndmask_b32_e32 v36, 3, v36, vcc_lo
	s_delay_alu instid0(VALU_DEP_3) | instskip(NEXT) | instid1(VALU_DEP_3)
	v_and_b32_e32 v26, 0x80, v26
	v_lshlrev_b32_e32 v37, 2, v37
	s_delay_alu instid0(VALU_DEP_3) | instskip(SKIP_1) | instid1(VALU_DEP_2)
	v_and_b32_e32 v38, 3, v36
	v_or_b32_e32 v27, v27, v36
	v_or3_b32 v26, v37, v26, v38
	s_delay_alu instid0(VALU_DEP_2) | instskip(NEXT) | instid1(VALU_DEP_2)
	v_cmp_ne_u32_e32 vcc_lo, 0, v27
	v_cndmask_b32_e32 v110, 0, v26, vcc_lo
.LBB6_13755:                            ;   in Loop: Header=BB6_12675 Depth=3
	s_or_b32 exec_lo, exec_lo, s30
.LBB6_13756:                            ;   in Loop: Header=BB6_12675 Depth=3
	s_delay_alu instid0(SALU_CYCLE_1) | instskip(SKIP_3) | instid1(VALU_DEP_1)
	s_or_b32 exec_lo, exec_lo, s17
	v_and_b32_e32 v27, 0xff, v108
	s_mov_b32 s13, 0
	s_mov_b32 s30, exec_lo
                                        ; implicit-def: $sgpr17
	v_cmpx_lt_i16_e32 0x7f, v27
	s_xor_b32 s30, exec_lo, s30
	s_cbranch_execnz .LBB6_14882
; %bb.13757:                            ;   in Loop: Header=BB6_12675 Depth=3
	s_or_saveexec_b32 s30, s30
	v_mov_b32_e32 v26, s17
	s_xor_b32 exec_lo, exec_lo, s30
	s_cbranch_execnz .LBB6_14885
.LBB6_13758:                            ;   in Loop: Header=BB6_12675 Depth=3
	s_or_b32 exec_lo, exec_lo, s30
	s_and_saveexec_b32 s17, s13
	s_cbranch_execz .LBB6_13760
.LBB6_13759:                            ;   in Loop: Header=BB6_12675 Depth=3
	v_lshlrev_b32_e32 v26, 8, v108
	s_delay_alu instid0(VALU_DEP_1) | instskip(SKIP_1) | instid1(VALU_DEP_2)
	v_and_b32_e32 v36, 0xff00, v26
	v_bfe_u32 v26, v26, 10, 5
	v_bfe_u32 v37, v36, 8, 2
	s_delay_alu instid0(VALU_DEP_2) | instskip(SKIP_1) | instid1(VALU_DEP_3)
	v_cmp_eq_u32_e32 vcc_lo, 0, v26
	v_lshlrev_b32_e32 v36, 16, v36
	v_clz_i32_u32_e32 v38, v37
	s_delay_alu instid0(VALU_DEP_2) | instskip(NEXT) | instid1(VALU_DEP_2)
	v_and_b32_e32 v36, 0x80000000, v36
	v_min_u32_e32 v38, 32, v38
	s_delay_alu instid0(VALU_DEP_1) | instskip(SKIP_1) | instid1(VALU_DEP_1)
	v_subrev_nc_u32_e32 v39, 29, v38
	v_sub_nc_u32_e32 v38, 30, v38
	v_dual_cndmask_b32 v26, v26, v38 :: v_dual_lshlrev_b32 v27, v39, v27
	s_delay_alu instid0(VALU_DEP_1) | instskip(NEXT) | instid1(VALU_DEP_2)
	v_and_b32_e32 v27, 3, v27
	v_lshl_add_u32 v26, v26, 23, 0x37800000
	s_delay_alu instid0(VALU_DEP_2) | instskip(NEXT) | instid1(VALU_DEP_1)
	v_cndmask_b32_e32 v27, v37, v27, vcc_lo
	v_lshlrev_b32_e32 v27, 21, v27
	s_delay_alu instid0(VALU_DEP_1)
	v_or3_b32 v26, v36, v26, v27
.LBB6_13760:                            ;   in Loop: Header=BB6_12675 Depth=3
	s_or_b32 exec_lo, exec_lo, s17
	v_lshrrev_b32_e32 v27, 24, v16
	s_mov_b32 s13, 0
	s_mov_b32 s30, exec_lo
                                        ; implicit-def: $sgpr17
	s_delay_alu instid0(VALU_DEP_1)
	v_cmpx_lt_i16_e32 0x7f, v27
	s_xor_b32 s30, exec_lo, s30
	s_cbranch_execnz .LBB6_14886
; %bb.13761:                            ;   in Loop: Header=BB6_12675 Depth=3
	s_or_saveexec_b32 s30, s30
	v_mov_b32_e32 v36, s17
	s_xor_b32 exec_lo, exec_lo, s30
	s_cbranch_execnz .LBB6_14889
.LBB6_13762:                            ;   in Loop: Header=BB6_12675 Depth=3
	s_or_b32 exec_lo, exec_lo, s30
	s_and_saveexec_b32 s17, s13
	s_cbranch_execz .LBB6_13764
.LBB6_13763:                            ;   in Loop: Header=BB6_12675 Depth=3
	v_bfe_u32 v36, v16, 24, 2
	s_delay_alu instid0(VALU_DEP_1) | instskip(NEXT) | instid1(VALU_DEP_1)
	v_clz_i32_u32_e32 v37, v36
	v_min_u32_e32 v37, 32, v37
	s_delay_alu instid0(VALU_DEP_1) | instskip(SKIP_1) | instid1(VALU_DEP_2)
	v_subrev_nc_u32_e32 v38, 29, v37
	v_sub_nc_u32_e32 v37, 30, v37
	v_lshlrev_b32_e32 v27, v38, v27
	v_bfe_u32 v38, v16, 26, 5
	v_and_b32_e32 v16, 0x80000000, v16
	s_delay_alu instid0(VALU_DEP_3) | instskip(NEXT) | instid1(VALU_DEP_3)
	v_and_b32_e32 v27, 3, v27
	v_cmp_eq_u32_e32 vcc_lo, 0, v38
	v_cndmask_b32_e32 v37, v38, v37, vcc_lo
	s_delay_alu instid0(VALU_DEP_3) | instskip(NEXT) | instid1(VALU_DEP_2)
	v_cndmask_b32_e32 v27, v36, v27, vcc_lo
	v_lshl_add_u32 v36, v37, 23, 0x37800000
	s_delay_alu instid0(VALU_DEP_2) | instskip(NEXT) | instid1(VALU_DEP_1)
	v_lshlrev_b32_e32 v27, 21, v27
	v_or3_b32 v36, v16, v36, v27
.LBB6_13764:                            ;   in Loop: Header=BB6_12675 Depth=3
	s_or_b32 exec_lo, exec_lo, s17
	s_delay_alu instid0(VALU_DEP_1) | instskip(NEXT) | instid1(VALU_DEP_1)
	v_add_f32_e32 v26, v26, v36
	v_and_b32_e32 v16, 0x7f800000, v26
	s_delay_alu instid0(VALU_DEP_1)
	v_cmp_ne_u32_e32 vcc_lo, 0x7f800000, v16
	v_mov_b32_e32 v16, 0x80
	s_and_saveexec_b32 s17, vcc_lo
	s_cbranch_execz .LBB6_13772
; %bb.13765:                            ;   in Loop: Header=BB6_12675 Depth=3
	v_mov_b32_e32 v16, 0
	s_mov_b32 s30, exec_lo
	v_cmpx_ne_u32_e32 0, v26
	s_cbranch_execz .LBB6_13771
; %bb.13766:                            ;   in Loop: Header=BB6_12675 Depth=3
	v_bfe_u32 v16, v26, 23, 8
	s_delay_alu instid0(VALU_DEP_1) | instskip(SKIP_1) | instid1(VALU_DEP_2)
	v_sub_nc_u32_e32 v36, 0x70, v16
	v_cmp_gt_u32_e32 vcc_lo, 0x71, v16
	v_dual_cndmask_b32 v36, 0, v36 :: v_dual_and_b32 v27, 0x7fffff, v26
	s_delay_alu instid0(VALU_DEP_1) | instskip(SKIP_2) | instid1(VALU_DEP_4)
	v_or_b32_e32 v37, 0x800000, v27
	v_cmp_eq_u32_e32 vcc_lo, 0, v16
	v_add_nc_u32_e32 v16, 0xffffff91, v16
	v_cndmask_b32_e64 v36, v36, 0x6f, vcc_lo
	s_delay_alu instid0(VALU_DEP_4) | instskip(NEXT) | instid1(VALU_DEP_3)
	v_cndmask_b32_e32 v27, v37, v27, vcc_lo
	v_cndmask_b32_e64 v16, v16, 0xffffff92, vcc_lo
	s_delay_alu instid0(VALU_DEP_3) | instskip(NEXT) | instid1(VALU_DEP_3)
	v_lshl_add_u32 v37, 0x200000, v36, -1
	v_lshrrev_b32_e32 v38, v36, v27
	v_lshlrev_b32_e64 v48, v36, 0x100000
	s_delay_alu instid0(VALU_DEP_4) | instskip(NEXT) | instid1(VALU_DEP_4)
	v_add_nc_u32_e32 v36, v36, v16
	v_and_b32_e32 v27, v37, v27
	s_delay_alu instid0(VALU_DEP_4) | instskip(NEXT) | instid1(VALU_DEP_2)
	v_bfe_u32 v39, v38, 21, 1
	v_cmp_eq_u32_e64 s13, v27, v48
	s_delay_alu instid0(VALU_DEP_2) | instskip(NEXT) | instid1(VALU_DEP_1)
	v_add_nc_u32_e32 v37, -1, v39
	v_cndmask_b32_e64 v27, 0, v37, s13
	v_lshrrev_b32_e32 v37, 23, v38
	s_mov_b32 s13, exec_lo
	s_delay_alu instid0(VALU_DEP_2) | instskip(NEXT) | instid1(VALU_DEP_2)
	v_add_nc_u32_e32 v27, v27, v38
	v_xor_b32_e32 v37, 1, v37
	s_delay_alu instid0(VALU_DEP_2) | instskip(NEXT) | instid1(VALU_DEP_1)
	v_and_b32_e32 v16, 0x1fffff, v27
	v_add_nc_u32_e32 v27, v16, v38
                                        ; implicit-def: $vgpr16
	s_delay_alu instid0(VALU_DEP_3)
	v_cmpx_ne_u32_e64 v36, v37
	s_xor_b32 s13, exec_lo, s13
; %bb.13767:                            ;   in Loop: Header=BB6_12675 Depth=3
	s_delay_alu instid0(VALU_DEP_2) | instskip(SKIP_2) | instid1(VALU_DEP_2)
	v_cmp_lt_u32_e32 vcc_lo, 0xffffff, v27
	v_sub_nc_u32_e32 v16, v36, v37
	v_cndmask_b32_e64 v36, 0, 1, vcc_lo
	v_add_co_ci_u32_e32 v16, vcc_lo, 0, v16, vcc_lo
	s_delay_alu instid0(VALU_DEP_2)
	v_lshrrev_b32_e32 v27, v36, v27
; %bb.13768:                            ;   in Loop: Header=BB6_12675 Depth=3
	s_and_not1_saveexec_b32 s13, s13
; %bb.13769:                            ;   in Loop: Header=BB6_12675 Depth=3
	s_delay_alu instid0(VALU_DEP_1)
	v_bfe_u32 v16, v27, 23, 1
; %bb.13770:                            ;   in Loop: Header=BB6_12675 Depth=3
	s_or_b32 exec_lo, exec_lo, s13
	v_lshrrev_b32_e32 v27, 21, v27
	s_delay_alu instid0(VALU_DEP_2) | instskip(SKIP_2) | instid1(VALU_DEP_2)
	v_cmp_gt_i32_e32 vcc_lo, 32, v16
	v_lshrrev_b32_e32 v26, 24, v26
	v_min_i32_e32 v36, 31, v16
	v_dual_cndmask_b32 v27, 3, v27 :: v_dual_and_b32 v26, 0x80, v26
	s_delay_alu instid0(VALU_DEP_2) | instskip(NEXT) | instid1(VALU_DEP_2)
	v_lshlrev_b32_e32 v36, 2, v36
	v_or_b32_e32 v16, v16, v27
	s_delay_alu instid0(VALU_DEP_1) | instskip(SKIP_1) | instid1(VALU_DEP_1)
	v_cmp_ne_u32_e32 vcc_lo, 0, v16
	v_and_b32_e32 v37, 3, v27
	v_or3_b32 v26, v36, v26, v37
	s_delay_alu instid0(VALU_DEP_1)
	v_cndmask_b32_e32 v16, 0, v26, vcc_lo
.LBB6_13771:                            ;   in Loop: Header=BB6_12675 Depth=3
	s_or_b32 exec_lo, exec_lo, s30
.LBB6_13772:                            ;   in Loop: Header=BB6_12675 Depth=3
	s_delay_alu instid0(SALU_CYCLE_1) | instskip(SKIP_3) | instid1(VALU_DEP_1)
	s_or_b32 exec_lo, exec_lo, s17
	v_or_b32_e32 v26, v120, v107
	s_mov_b32 s13, 0
	s_mov_b32 s30, exec_lo
                                        ; implicit-def: $sgpr17
	v_and_b32_e32 v36, 0xff, v26
	s_delay_alu instid0(VALU_DEP_1)
	v_cmpx_lt_i16_e32 0x7f, v36
	s_xor_b32 s30, exec_lo, s30
	s_cbranch_execnz .LBB6_14890
; %bb.13773:                            ;   in Loop: Header=BB6_12675 Depth=3
	s_or_saveexec_b32 s30, s30
	v_mov_b32_e32 v27, s17
	s_xor_b32 exec_lo, exec_lo, s30
	s_cbranch_execnz .LBB6_14893
.LBB6_13774:                            ;   in Loop: Header=BB6_12675 Depth=3
	s_or_b32 exec_lo, exec_lo, s30
	s_and_saveexec_b32 s17, s13
	s_cbranch_execz .LBB6_13776
.LBB6_13775:                            ;   in Loop: Header=BB6_12675 Depth=3
	v_bfe_u32 v38, v26, 2, 5
	v_lshlrev_b32_e32 v39, 24, v26
	s_delay_alu instid0(VALU_DEP_2) | instskip(SKIP_1) | instid1(VALU_DEP_1)
	v_cmp_eq_u32_e32 vcc_lo, 0, v38
	v_and_b32_e32 v27, 3, v26
	v_clz_i32_u32_e32 v36, v27
	s_delay_alu instid0(VALU_DEP_1) | instskip(NEXT) | instid1(VALU_DEP_1)
	v_min_u32_e32 v36, 32, v36
	v_subrev_nc_u32_e32 v37, 29, v36
	v_sub_nc_u32_e32 v36, 30, v36
	s_delay_alu instid0(VALU_DEP_1) | instskip(NEXT) | instid1(VALU_DEP_1)
	v_dual_cndmask_b32 v36, v38, v36 :: v_dual_lshlrev_b32 v37, v37, v26
	v_and_b32_e32 v37, 3, v37
	s_delay_alu instid0(VALU_DEP_2) | instskip(NEXT) | instid1(VALU_DEP_2)
	v_lshl_add_u32 v36, v36, 23, 0x37800000
	v_cndmask_b32_e32 v27, v27, v37, vcc_lo
	v_and_b32_e32 v37, 0x80000000, v39
	s_delay_alu instid0(VALU_DEP_2) | instskip(NEXT) | instid1(VALU_DEP_1)
	v_lshlrev_b32_e32 v27, 21, v27
	v_or3_b32 v27, v37, v36, v27
.LBB6_13776:                            ;   in Loop: Header=BB6_12675 Depth=3
	s_or_b32 exec_lo, exec_lo, s17
	v_and_b32_e32 v37, 0xff, v17
	s_mov_b32 s13, 0
	s_mov_b32 s30, exec_lo
                                        ; implicit-def: $sgpr17
	s_delay_alu instid0(VALU_DEP_1)
	v_cmpx_lt_i16_e32 0x7f, v37
	s_xor_b32 s30, exec_lo, s30
	s_cbranch_execnz .LBB6_14894
; %bb.13777:                            ;   in Loop: Header=BB6_12675 Depth=3
	s_or_saveexec_b32 s30, s30
	v_mov_b32_e32 v36, s17
	s_xor_b32 exec_lo, exec_lo, s30
	s_cbranch_execnz .LBB6_14897
.LBB6_13778:                            ;   in Loop: Header=BB6_12675 Depth=3
	s_or_b32 exec_lo, exec_lo, s30
	s_and_saveexec_b32 s17, s13
	s_cbranch_execz .LBB6_13780
.LBB6_13779:                            ;   in Loop: Header=BB6_12675 Depth=3
	v_and_b32_e32 v36, 3, v17
	v_bfe_u32 v39, v17, 2, 5
	v_lshlrev_b32_e32 v48, 24, v17
	s_delay_alu instid0(VALU_DEP_3) | instskip(NEXT) | instid1(VALU_DEP_3)
	v_clz_i32_u32_e32 v37, v36
	v_cmp_eq_u32_e32 vcc_lo, 0, v39
	s_delay_alu instid0(VALU_DEP_2) | instskip(NEXT) | instid1(VALU_DEP_1)
	v_min_u32_e32 v37, 32, v37
	v_subrev_nc_u32_e32 v38, 29, v37
	v_sub_nc_u32_e32 v37, 30, v37
	s_delay_alu instid0(VALU_DEP_2) | instskip(NEXT) | instid1(VALU_DEP_1)
	v_lshlrev_b32_e32 v38, v38, v17
	v_dual_cndmask_b32 v37, v39, v37 :: v_dual_and_b32 v38, 3, v38
	s_delay_alu instid0(VALU_DEP_1) | instskip(NEXT) | instid1(VALU_DEP_2)
	v_lshl_add_u32 v37, v37, 23, 0x37800000
	v_cndmask_b32_e32 v36, v36, v38, vcc_lo
	v_and_b32_e32 v38, 0x80000000, v48
	s_delay_alu instid0(VALU_DEP_2) | instskip(NEXT) | instid1(VALU_DEP_1)
	v_lshlrev_b32_e32 v36, 21, v36
	v_or3_b32 v36, v38, v37, v36
.LBB6_13780:                            ;   in Loop: Header=BB6_12675 Depth=3
	s_or_b32 exec_lo, exec_lo, s17
	s_delay_alu instid0(VALU_DEP_1) | instskip(SKIP_2) | instid1(VALU_DEP_2)
	v_add_f32_e32 v27, v27, v36
	v_mov_b32_e32 v107, 0x80
	s_mov_b32 s17, exec_lo
	v_and_b32_e32 v36, 0x7f800000, v27
	s_delay_alu instid0(VALU_DEP_1)
	v_cmpx_ne_u32_e32 0x7f800000, v36
	s_cbranch_execz .LBB6_13788
; %bb.13781:                            ;   in Loop: Header=BB6_12675 Depth=3
	v_mov_b32_e32 v107, 0
	s_mov_b32 s30, exec_lo
	v_cmpx_ne_u32_e32 0, v27
	s_cbranch_execz .LBB6_13787
; %bb.13782:                            ;   in Loop: Header=BB6_12675 Depth=3
	v_bfe_u32 v36, v27, 23, 8
	s_delay_alu instid0(VALU_DEP_1) | instskip(SKIP_1) | instid1(VALU_DEP_2)
	v_sub_nc_u32_e32 v38, 0x70, v36
	v_cmp_gt_u32_e32 vcc_lo, 0x71, v36
	v_dual_cndmask_b32 v38, 0, v38 :: v_dual_and_b32 v37, 0x7fffff, v27
	s_delay_alu instid0(VALU_DEP_1) | instskip(SKIP_2) | instid1(VALU_DEP_4)
	v_or_b32_e32 v39, 0x800000, v37
	v_cmp_eq_u32_e32 vcc_lo, 0, v36
	v_add_nc_u32_e32 v36, 0xffffff91, v36
	v_cndmask_b32_e64 v38, v38, 0x6f, vcc_lo
	s_delay_alu instid0(VALU_DEP_4) | instskip(NEXT) | instid1(VALU_DEP_3)
	v_cndmask_b32_e32 v37, v39, v37, vcc_lo
	v_cndmask_b32_e64 v36, v36, 0xffffff92, vcc_lo
	s_delay_alu instid0(VALU_DEP_3) | instskip(NEXT) | instid1(VALU_DEP_3)
	v_lshl_add_u32 v39, 0x200000, v38, -1
	v_lshrrev_b32_e32 v48, v38, v37
	v_lshlrev_b32_e64 v50, v38, 0x100000
	s_delay_alu instid0(VALU_DEP_4) | instskip(NEXT) | instid1(VALU_DEP_4)
	v_add_nc_u32_e32 v38, v38, v36
	v_and_b32_e32 v37, v39, v37
	s_delay_alu instid0(VALU_DEP_4) | instskip(NEXT) | instid1(VALU_DEP_2)
	v_bfe_u32 v49, v48, 21, 1
	v_cmp_eq_u32_e64 s13, v37, v50
	s_delay_alu instid0(VALU_DEP_2) | instskip(NEXT) | instid1(VALU_DEP_1)
	v_add_nc_u32_e32 v39, -1, v49
	v_cndmask_b32_e64 v37, 0, v39, s13
	v_lshrrev_b32_e32 v39, 23, v48
	s_mov_b32 s13, exec_lo
	s_delay_alu instid0(VALU_DEP_2) | instskip(NEXT) | instid1(VALU_DEP_2)
	v_add_nc_u32_e32 v37, v37, v48
	v_xor_b32_e32 v39, 1, v39
	s_delay_alu instid0(VALU_DEP_2) | instskip(NEXT) | instid1(VALU_DEP_1)
	v_and_b32_e32 v36, 0x1fffff, v37
	v_add_nc_u32_e32 v37, v36, v48
                                        ; implicit-def: $vgpr36
	s_delay_alu instid0(VALU_DEP_3)
	v_cmpx_ne_u32_e64 v38, v39
	s_xor_b32 s13, exec_lo, s13
; %bb.13783:                            ;   in Loop: Header=BB6_12675 Depth=3
	s_delay_alu instid0(VALU_DEP_2) | instskip(SKIP_2) | instid1(VALU_DEP_2)
	v_cmp_lt_u32_e32 vcc_lo, 0xffffff, v37
	v_sub_nc_u32_e32 v36, v38, v39
	v_cndmask_b32_e64 v38, 0, 1, vcc_lo
	v_add_co_ci_u32_e32 v36, vcc_lo, 0, v36, vcc_lo
	s_delay_alu instid0(VALU_DEP_2)
	v_lshrrev_b32_e32 v37, v38, v37
; %bb.13784:                            ;   in Loop: Header=BB6_12675 Depth=3
	s_and_not1_saveexec_b32 s13, s13
; %bb.13785:                            ;   in Loop: Header=BB6_12675 Depth=3
	s_delay_alu instid0(VALU_DEP_1)
	v_bfe_u32 v36, v37, 23, 1
; %bb.13786:                            ;   in Loop: Header=BB6_12675 Depth=3
	s_or_b32 exec_lo, exec_lo, s13
	v_lshrrev_b32_e32 v37, 21, v37
	s_delay_alu instid0(VALU_DEP_2) | instskip(SKIP_2) | instid1(VALU_DEP_4)
	v_cmp_gt_i32_e32 vcc_lo, 32, v36
	v_lshrrev_b32_e32 v27, 24, v27
	v_min_i32_e32 v38, 31, v36
	v_cndmask_b32_e32 v37, 3, v37, vcc_lo
	s_delay_alu instid0(VALU_DEP_3) | instskip(NEXT) | instid1(VALU_DEP_3)
	v_and_b32_e32 v27, 0x80, v27
	v_lshlrev_b32_e32 v38, 2, v38
	s_delay_alu instid0(VALU_DEP_3) | instskip(SKIP_1) | instid1(VALU_DEP_2)
	v_and_b32_e32 v39, 3, v37
	v_or_b32_e32 v36, v36, v37
	v_or3_b32 v27, v38, v27, v39
	s_delay_alu instid0(VALU_DEP_2) | instskip(NEXT) | instid1(VALU_DEP_2)
	v_cmp_ne_u32_e32 vcc_lo, 0, v36
	v_cndmask_b32_e32 v107, 0, v27, vcc_lo
.LBB6_13787:                            ;   in Loop: Header=BB6_12675 Depth=3
	s_or_b32 exec_lo, exec_lo, s30
.LBB6_13788:                            ;   in Loop: Header=BB6_12675 Depth=3
	s_delay_alu instid0(SALU_CYCLE_1) | instskip(SKIP_3) | instid1(VALU_DEP_1)
	s_or_b32 exec_lo, exec_lo, s17
	v_lshrrev_b16 v36, 8, v26
	s_mov_b32 s13, 0
	s_mov_b32 s30, exec_lo
                                        ; implicit-def: $sgpr17
	v_cmpx_lt_i16_e32 0x7f, v36
	s_xor_b32 s30, exec_lo, s30
	s_cbranch_execnz .LBB6_14898
; %bb.13789:                            ;   in Loop: Header=BB6_12675 Depth=3
	s_or_saveexec_b32 s30, s30
	v_mov_b32_e32 v27, s17
	s_xor_b32 exec_lo, exec_lo, s30
	s_cbranch_execnz .LBB6_14901
.LBB6_13790:                            ;   in Loop: Header=BB6_12675 Depth=3
	s_or_b32 exec_lo, exec_lo, s30
	s_and_saveexec_b32 s17, s13
	s_cbranch_execz .LBB6_13792
.LBB6_13791:                            ;   in Loop: Header=BB6_12675 Depth=3
	v_and_b32_e32 v27, 0xffff, v36
	s_delay_alu instid0(VALU_DEP_1) | instskip(NEXT) | instid1(VALU_DEP_1)
	v_and_b32_e32 v37, 3, v27
	v_clz_i32_u32_e32 v38, v37
	s_delay_alu instid0(VALU_DEP_1) | instskip(NEXT) | instid1(VALU_DEP_1)
	v_min_u32_e32 v38, 32, v38
	v_subrev_nc_u32_e32 v39, 29, v38
	v_sub_nc_u32_e32 v38, 30, v38
	s_delay_alu instid0(VALU_DEP_2) | instskip(SKIP_1) | instid1(VALU_DEP_2)
	v_lshlrev_b32_e32 v39, v39, v27
	v_bfe_u32 v27, v27, 2, 5
	v_and_b32_e32 v39, 3, v39
	s_delay_alu instid0(VALU_DEP_2) | instskip(SKIP_1) | instid1(VALU_DEP_1)
	v_cmp_eq_u32_e32 vcc_lo, 0, v27
	v_dual_cndmask_b32 v27, v27, v38 :: v_dual_lshlrev_b32 v36, 24, v36
	v_dual_cndmask_b32 v37, v37, v39 :: v_dual_and_b32 v36, 0x80000000, v36
	s_delay_alu instid0(VALU_DEP_2) | instskip(NEXT) | instid1(VALU_DEP_2)
	v_lshl_add_u32 v27, v27, 23, 0x37800000
	v_lshlrev_b32_e32 v37, 21, v37
	s_delay_alu instid0(VALU_DEP_1)
	v_or3_b32 v27, v36, v27, v37
.LBB6_13792:                            ;   in Loop: Header=BB6_12675 Depth=3
	s_or_b32 exec_lo, exec_lo, s17
	v_lshrrev_b16 v36, 8, v17
	s_mov_b32 s13, 0
	s_mov_b32 s30, exec_lo
                                        ; implicit-def: $sgpr17
	s_delay_alu instid0(VALU_DEP_1)
	v_cmpx_lt_i16_e32 0x7f, v36
	s_xor_b32 s30, exec_lo, s30
	s_cbranch_execnz .LBB6_14902
; %bb.13793:                            ;   in Loop: Header=BB6_12675 Depth=3
	s_or_saveexec_b32 s30, s30
	v_mov_b32_e32 v37, s17
	s_xor_b32 exec_lo, exec_lo, s30
	s_cbranch_execnz .LBB6_14905
.LBB6_13794:                            ;   in Loop: Header=BB6_12675 Depth=3
	s_or_b32 exec_lo, exec_lo, s30
	s_and_saveexec_b32 s17, s13
	s_cbranch_execz .LBB6_13796
.LBB6_13795:                            ;   in Loop: Header=BB6_12675 Depth=3
	v_and_b32_e32 v37, 0xffff, v36
	v_lshlrev_b32_e32 v36, 24, v36
	s_delay_alu instid0(VALU_DEP_2) | instskip(NEXT) | instid1(VALU_DEP_2)
	v_and_b32_e32 v38, 3, v37
	v_and_b32_e32 v36, 0x80000000, v36
	s_delay_alu instid0(VALU_DEP_2) | instskip(NEXT) | instid1(VALU_DEP_1)
	v_clz_i32_u32_e32 v39, v38
	v_min_u32_e32 v39, 32, v39
	s_delay_alu instid0(VALU_DEP_1) | instskip(SKIP_1) | instid1(VALU_DEP_2)
	v_subrev_nc_u32_e32 v48, 29, v39
	v_sub_nc_u32_e32 v39, 30, v39
	v_lshlrev_b32_e32 v48, v48, v37
	v_bfe_u32 v37, v37, 2, 5
	s_delay_alu instid0(VALU_DEP_2) | instskip(NEXT) | instid1(VALU_DEP_2)
	v_and_b32_e32 v48, 3, v48
	v_cmp_eq_u32_e32 vcc_lo, 0, v37
	s_delay_alu instid0(VALU_DEP_2) | instskip(NEXT) | instid1(VALU_DEP_1)
	v_dual_cndmask_b32 v37, v37, v39 :: v_dual_cndmask_b32 v38, v38, v48
	v_lshl_add_u32 v37, v37, 23, 0x37800000
	s_delay_alu instid0(VALU_DEP_2) | instskip(NEXT) | instid1(VALU_DEP_1)
	v_lshlrev_b32_e32 v38, 21, v38
	v_or3_b32 v37, v36, v37, v38
.LBB6_13796:                            ;   in Loop: Header=BB6_12675 Depth=3
	s_or_b32 exec_lo, exec_lo, s17
	s_delay_alu instid0(VALU_DEP_1) | instskip(SKIP_1) | instid1(VALU_DEP_1)
	v_dual_add_f32 v27, v27, v37 :: v_dual_mov_b32 v108, 0x8000
	s_mov_b32 s17, exec_lo
	v_and_b32_e32 v36, 0x7f800000, v27
	s_delay_alu instid0(VALU_DEP_1)
	v_cmpx_ne_u32_e32 0x7f800000, v36
	s_cbranch_execz .LBB6_13804
; %bb.13797:                            ;   in Loop: Header=BB6_12675 Depth=3
	v_mov_b32_e32 v108, 0
	s_mov_b32 s30, exec_lo
	v_cmpx_ne_u32_e32 0, v27
	s_cbranch_execz .LBB6_13803
; %bb.13798:                            ;   in Loop: Header=BB6_12675 Depth=3
	v_bfe_u32 v36, v27, 23, 8
	s_delay_alu instid0(VALU_DEP_1) | instskip(SKIP_1) | instid1(VALU_DEP_2)
	v_sub_nc_u32_e32 v38, 0x70, v36
	v_cmp_gt_u32_e32 vcc_lo, 0x71, v36
	v_dual_cndmask_b32 v38, 0, v38 :: v_dual_and_b32 v37, 0x7fffff, v27
	s_delay_alu instid0(VALU_DEP_1) | instskip(SKIP_2) | instid1(VALU_DEP_4)
	v_or_b32_e32 v39, 0x800000, v37
	v_cmp_eq_u32_e32 vcc_lo, 0, v36
	v_add_nc_u32_e32 v36, 0xffffff91, v36
	v_cndmask_b32_e64 v38, v38, 0x6f, vcc_lo
	s_delay_alu instid0(VALU_DEP_4) | instskip(NEXT) | instid1(VALU_DEP_3)
	v_cndmask_b32_e32 v37, v39, v37, vcc_lo
	v_cndmask_b32_e64 v36, v36, 0xffffff92, vcc_lo
	s_delay_alu instid0(VALU_DEP_3) | instskip(NEXT) | instid1(VALU_DEP_3)
	v_lshl_add_u32 v39, 0x200000, v38, -1
	v_lshrrev_b32_e32 v48, v38, v37
	v_lshlrev_b32_e64 v50, v38, 0x100000
	s_delay_alu instid0(VALU_DEP_4) | instskip(NEXT) | instid1(VALU_DEP_4)
	v_add_nc_u32_e32 v38, v38, v36
	v_and_b32_e32 v37, v39, v37
	s_delay_alu instid0(VALU_DEP_4) | instskip(NEXT) | instid1(VALU_DEP_2)
	v_bfe_u32 v49, v48, 21, 1
	v_cmp_eq_u32_e64 s13, v37, v50
	s_delay_alu instid0(VALU_DEP_2) | instskip(NEXT) | instid1(VALU_DEP_1)
	v_add_nc_u32_e32 v39, -1, v49
	v_cndmask_b32_e64 v37, 0, v39, s13
	v_lshrrev_b32_e32 v39, 23, v48
	s_mov_b32 s13, exec_lo
	s_delay_alu instid0(VALU_DEP_2) | instskip(NEXT) | instid1(VALU_DEP_2)
	v_add_nc_u32_e32 v37, v37, v48
	v_xor_b32_e32 v39, 1, v39
	s_delay_alu instid0(VALU_DEP_2) | instskip(NEXT) | instid1(VALU_DEP_1)
	v_and_b32_e32 v36, 0x1fffff, v37
	v_add_nc_u32_e32 v37, v36, v48
                                        ; implicit-def: $vgpr36
	s_delay_alu instid0(VALU_DEP_3)
	v_cmpx_ne_u32_e64 v38, v39
	s_xor_b32 s13, exec_lo, s13
; %bb.13799:                            ;   in Loop: Header=BB6_12675 Depth=3
	s_delay_alu instid0(VALU_DEP_2) | instskip(SKIP_2) | instid1(VALU_DEP_2)
	v_cmp_lt_u32_e32 vcc_lo, 0xffffff, v37
	v_sub_nc_u32_e32 v36, v38, v39
	v_cndmask_b32_e64 v38, 0, 1, vcc_lo
	v_add_co_ci_u32_e32 v36, vcc_lo, 0, v36, vcc_lo
	s_delay_alu instid0(VALU_DEP_2)
	v_lshrrev_b32_e32 v37, v38, v37
; %bb.13800:                            ;   in Loop: Header=BB6_12675 Depth=3
	s_and_not1_saveexec_b32 s13, s13
; %bb.13801:                            ;   in Loop: Header=BB6_12675 Depth=3
	s_delay_alu instid0(VALU_DEP_1)
	v_bfe_u32 v36, v37, 23, 1
; %bb.13802:                            ;   in Loop: Header=BB6_12675 Depth=3
	s_or_b32 exec_lo, exec_lo, s13
	v_lshrrev_b32_e32 v37, 21, v37
	s_delay_alu instid0(VALU_DEP_2) | instskip(SKIP_2) | instid1(VALU_DEP_2)
	v_cmp_gt_i32_e32 vcc_lo, 32, v36
	v_min_i32_e32 v38, 31, v36
	v_lshrrev_b32_e32 v27, 24, v27
	v_dual_cndmask_b32 v37, 3, v37 :: v_dual_lshlrev_b32 v38, 2, v38
	s_delay_alu instid0(VALU_DEP_2) | instskip(NEXT) | instid1(VALU_DEP_2)
	v_and_b32_e32 v27, 0x80, v27
	v_or_b32_e32 v36, v36, v37
	s_delay_alu instid0(VALU_DEP_3) | instskip(NEXT) | instid1(VALU_DEP_2)
	v_and_b32_e32 v38, 0xfc, v38
	v_cmp_ne_u32_e32 vcc_lo, 0, v36
	v_and_b32_e32 v39, 3, v37
	s_delay_alu instid0(VALU_DEP_1) | instskip(NEXT) | instid1(VALU_DEP_1)
	v_or3_b32 v27, v27, v38, v39
	v_lshlrev_b32_e32 v27, 8, v27
	s_delay_alu instid0(VALU_DEP_1)
	v_cndmask_b32_e32 v108, 0, v27, vcc_lo
.LBB6_13803:                            ;   in Loop: Header=BB6_12675 Depth=3
	s_or_b32 exec_lo, exec_lo, s30
.LBB6_13804:                            ;   in Loop: Header=BB6_12675 Depth=3
	s_delay_alu instid0(SALU_CYCLE_1) | instskip(SKIP_3) | instid1(VALU_DEP_1)
	s_or_b32 exec_lo, exec_lo, s17
	v_or_b32_e32 v36, v109, v105
	s_mov_b32 s13, 0
	s_mov_b32 s30, exec_lo
                                        ; implicit-def: $sgpr17
	v_and_b32_e32 v37, 0xff, v36
	s_delay_alu instid0(VALU_DEP_1)
	v_cmpx_lt_i16_e32 0x7f, v37
	s_xor_b32 s30, exec_lo, s30
	s_cbranch_execnz .LBB6_14906
; %bb.13805:                            ;   in Loop: Header=BB6_12675 Depth=3
	s_or_saveexec_b32 s30, s30
	v_mov_b32_e32 v27, s17
	s_xor_b32 exec_lo, exec_lo, s30
	s_cbranch_execnz .LBB6_14909
.LBB6_13806:                            ;   in Loop: Header=BB6_12675 Depth=3
	s_or_b32 exec_lo, exec_lo, s30
	v_lshl_or_b32 v26, v36, 16, v26
	s_and_saveexec_b32 s17, s13
	s_cbranch_execz .LBB6_13808
.LBB6_13807:                            ;   in Loop: Header=BB6_12675 Depth=3
	s_delay_alu instid0(VALU_DEP_1) | instskip(SKIP_2) | instid1(VALU_DEP_3)
	v_bfe_u32 v27, v26, 16, 2
	v_lshrrev_b32_e32 v37, 16, v26
	v_lshlrev_b32_e32 v39, 8, v26
	v_clz_i32_u32_e32 v36, v27
	s_delay_alu instid0(VALU_DEP_1) | instskip(NEXT) | instid1(VALU_DEP_1)
	v_min_u32_e32 v36, 32, v36
	v_subrev_nc_u32_e32 v38, 29, v36
	v_sub_nc_u32_e32 v36, 30, v36
	s_delay_alu instid0(VALU_DEP_2) | instskip(SKIP_1) | instid1(VALU_DEP_1)
	v_lshlrev_b32_e32 v37, v38, v37
	v_bfe_u32 v38, v26, 18, 5
	v_cmp_eq_u32_e32 vcc_lo, 0, v38
	s_delay_alu instid0(VALU_DEP_3) | instskip(NEXT) | instid1(VALU_DEP_1)
	v_dual_cndmask_b32 v36, v38, v36 :: v_dual_and_b32 v37, 3, v37
	v_cndmask_b32_e32 v27, v27, v37, vcc_lo
	v_and_b32_e32 v37, 0x80000000, v39
	s_delay_alu instid0(VALU_DEP_3) | instskip(NEXT) | instid1(VALU_DEP_3)
	v_lshl_add_u32 v36, v36, 23, 0x37800000
	v_lshlrev_b32_e32 v27, 21, v27
	s_delay_alu instid0(VALU_DEP_1)
	v_or3_b32 v27, v37, v36, v27
.LBB6_13808:                            ;   in Loop: Header=BB6_12675 Depth=3
	s_or_b32 exec_lo, exec_lo, s17
	v_lshrrev_b32_e32 v36, 16, v17
	s_mov_b32 s13, 0
	s_mov_b32 s30, exec_lo
                                        ; implicit-def: $sgpr17
	s_delay_alu instid0(VALU_DEP_1) | instskip(NEXT) | instid1(VALU_DEP_1)
	v_and_b32_e32 v38, 0xff, v36
	v_cmpx_lt_i16_e32 0x7f, v38
	s_xor_b32 s30, exec_lo, s30
	s_cbranch_execnz .LBB6_14910
; %bb.13809:                            ;   in Loop: Header=BB6_12675 Depth=3
	s_or_saveexec_b32 s30, s30
	v_mov_b32_e32 v37, s17
	s_xor_b32 exec_lo, exec_lo, s30
	s_cbranch_execnz .LBB6_14913
.LBB6_13810:                            ;   in Loop: Header=BB6_12675 Depth=3
	s_or_b32 exec_lo, exec_lo, s30
	s_and_saveexec_b32 s17, s13
	s_cbranch_execz .LBB6_13812
.LBB6_13811:                            ;   in Loop: Header=BB6_12675 Depth=3
	v_bfe_u32 v37, v17, 16, 2
	v_lshlrev_b32_e32 v48, 8, v17
	s_delay_alu instid0(VALU_DEP_2) | instskip(NEXT) | instid1(VALU_DEP_1)
	v_clz_i32_u32_e32 v38, v37
	v_min_u32_e32 v38, 32, v38
	s_delay_alu instid0(VALU_DEP_1) | instskip(SKIP_1) | instid1(VALU_DEP_2)
	v_subrev_nc_u32_e32 v39, 29, v38
	v_sub_nc_u32_e32 v38, 30, v38
	v_lshlrev_b32_e32 v36, v39, v36
	v_bfe_u32 v39, v17, 18, 5
	s_delay_alu instid0(VALU_DEP_2) | instskip(NEXT) | instid1(VALU_DEP_2)
	v_and_b32_e32 v36, 3, v36
	v_cmp_eq_u32_e32 vcc_lo, 0, v39
	v_cndmask_b32_e32 v38, v39, v38, vcc_lo
	s_delay_alu instid0(VALU_DEP_3) | instskip(SKIP_1) | instid1(VALU_DEP_3)
	v_cndmask_b32_e32 v36, v37, v36, vcc_lo
	v_and_b32_e32 v37, 0x80000000, v48
	v_lshl_add_u32 v38, v38, 23, 0x37800000
	s_delay_alu instid0(VALU_DEP_3) | instskip(NEXT) | instid1(VALU_DEP_1)
	v_lshlrev_b32_e32 v36, 21, v36
	v_or3_b32 v37, v37, v38, v36
.LBB6_13812:                            ;   in Loop: Header=BB6_12675 Depth=3
	s_or_b32 exec_lo, exec_lo, s17
	s_delay_alu instid0(VALU_DEP_1) | instskip(SKIP_2) | instid1(VALU_DEP_2)
	v_add_f32_e32 v27, v27, v37
	v_mov_b32_e32 v105, 0x80
	s_mov_b32 s17, exec_lo
	v_and_b32_e32 v36, 0x7f800000, v27
	s_delay_alu instid0(VALU_DEP_1)
	v_cmpx_ne_u32_e32 0x7f800000, v36
	s_cbranch_execz .LBB6_13820
; %bb.13813:                            ;   in Loop: Header=BB6_12675 Depth=3
	v_mov_b32_e32 v105, 0
	s_mov_b32 s30, exec_lo
	v_cmpx_ne_u32_e32 0, v27
	s_cbranch_execz .LBB6_13819
; %bb.13814:                            ;   in Loop: Header=BB6_12675 Depth=3
	v_bfe_u32 v36, v27, 23, 8
	s_delay_alu instid0(VALU_DEP_1) | instskip(SKIP_1) | instid1(VALU_DEP_2)
	v_sub_nc_u32_e32 v38, 0x70, v36
	v_cmp_gt_u32_e32 vcc_lo, 0x71, v36
	v_dual_cndmask_b32 v38, 0, v38 :: v_dual_and_b32 v37, 0x7fffff, v27
	s_delay_alu instid0(VALU_DEP_1) | instskip(SKIP_2) | instid1(VALU_DEP_4)
	v_or_b32_e32 v39, 0x800000, v37
	v_cmp_eq_u32_e32 vcc_lo, 0, v36
	v_add_nc_u32_e32 v36, 0xffffff91, v36
	v_cndmask_b32_e64 v38, v38, 0x6f, vcc_lo
	s_delay_alu instid0(VALU_DEP_4) | instskip(NEXT) | instid1(VALU_DEP_3)
	v_cndmask_b32_e32 v37, v39, v37, vcc_lo
	v_cndmask_b32_e64 v36, v36, 0xffffff92, vcc_lo
	s_delay_alu instid0(VALU_DEP_3) | instskip(NEXT) | instid1(VALU_DEP_3)
	v_lshl_add_u32 v39, 0x200000, v38, -1
	v_lshrrev_b32_e32 v48, v38, v37
	v_lshlrev_b32_e64 v50, v38, 0x100000
	s_delay_alu instid0(VALU_DEP_4) | instskip(NEXT) | instid1(VALU_DEP_4)
	v_add_nc_u32_e32 v38, v38, v36
	v_and_b32_e32 v37, v39, v37
	s_delay_alu instid0(VALU_DEP_4) | instskip(NEXT) | instid1(VALU_DEP_2)
	v_bfe_u32 v49, v48, 21, 1
	v_cmp_eq_u32_e64 s13, v37, v50
	s_delay_alu instid0(VALU_DEP_2) | instskip(NEXT) | instid1(VALU_DEP_1)
	v_add_nc_u32_e32 v39, -1, v49
	v_cndmask_b32_e64 v37, 0, v39, s13
	v_lshrrev_b32_e32 v39, 23, v48
	s_mov_b32 s13, exec_lo
	s_delay_alu instid0(VALU_DEP_2) | instskip(NEXT) | instid1(VALU_DEP_2)
	v_add_nc_u32_e32 v37, v37, v48
	v_xor_b32_e32 v39, 1, v39
	s_delay_alu instid0(VALU_DEP_2) | instskip(NEXT) | instid1(VALU_DEP_1)
	v_and_b32_e32 v36, 0x1fffff, v37
	v_add_nc_u32_e32 v37, v36, v48
                                        ; implicit-def: $vgpr36
	s_delay_alu instid0(VALU_DEP_3)
	v_cmpx_ne_u32_e64 v38, v39
	s_xor_b32 s13, exec_lo, s13
; %bb.13815:                            ;   in Loop: Header=BB6_12675 Depth=3
	s_delay_alu instid0(VALU_DEP_2) | instskip(SKIP_2) | instid1(VALU_DEP_2)
	v_cmp_lt_u32_e32 vcc_lo, 0xffffff, v37
	v_sub_nc_u32_e32 v36, v38, v39
	v_cndmask_b32_e64 v38, 0, 1, vcc_lo
	v_add_co_ci_u32_e32 v36, vcc_lo, 0, v36, vcc_lo
	s_delay_alu instid0(VALU_DEP_2)
	v_lshrrev_b32_e32 v37, v38, v37
; %bb.13816:                            ;   in Loop: Header=BB6_12675 Depth=3
	s_and_not1_saveexec_b32 s13, s13
; %bb.13817:                            ;   in Loop: Header=BB6_12675 Depth=3
	s_delay_alu instid0(VALU_DEP_1)
	v_bfe_u32 v36, v37, 23, 1
; %bb.13818:                            ;   in Loop: Header=BB6_12675 Depth=3
	s_or_b32 exec_lo, exec_lo, s13
	v_lshrrev_b32_e32 v37, 21, v37
	s_delay_alu instid0(VALU_DEP_2) | instskip(SKIP_2) | instid1(VALU_DEP_2)
	v_cmp_gt_i32_e32 vcc_lo, 32, v36
	v_min_i32_e32 v38, 31, v36
	v_lshrrev_b32_e32 v27, 24, v27
	v_dual_cndmask_b32 v37, 3, v37 :: v_dual_lshlrev_b32 v38, 2, v38
	s_delay_alu instid0(VALU_DEP_2) | instskip(NEXT) | instid1(VALU_DEP_2)
	v_and_b32_e32 v27, 0x80, v27
	v_or_b32_e32 v36, v36, v37
	v_and_b32_e32 v39, 3, v37
	s_delay_alu instid0(VALU_DEP_2) | instskip(SKIP_1) | instid1(VALU_DEP_1)
	v_cmp_ne_u32_e32 vcc_lo, 0, v36
	v_and_b32_e32 v38, 0xfc, v38
	v_or3_b32 v27, v38, v27, v39
	s_delay_alu instid0(VALU_DEP_1)
	v_cndmask_b32_e32 v105, 0, v27, vcc_lo
.LBB6_13819:                            ;   in Loop: Header=BB6_12675 Depth=3
	s_or_b32 exec_lo, exec_lo, s30
.LBB6_13820:                            ;   in Loop: Header=BB6_12675 Depth=3
	s_delay_alu instid0(SALU_CYCLE_1) | instskip(SKIP_3) | instid1(VALU_DEP_1)
	s_or_b32 exec_lo, exec_lo, s17
	v_lshrrev_b32_e32 v36, 24, v26
	s_mov_b32 s13, 0
	s_mov_b32 s30, exec_lo
                                        ; implicit-def: $sgpr17
	v_cmpx_lt_i16_e32 0x7f, v36
	s_xor_b32 s30, exec_lo, s30
	s_cbranch_execnz .LBB6_14914
; %bb.13821:                            ;   in Loop: Header=BB6_12675 Depth=3
	s_or_saveexec_b32 s30, s30
	v_mov_b32_e32 v27, s17
	s_xor_b32 exec_lo, exec_lo, s30
	s_cbranch_execnz .LBB6_14917
.LBB6_13822:                            ;   in Loop: Header=BB6_12675 Depth=3
	s_or_b32 exec_lo, exec_lo, s30
	s_and_saveexec_b32 s17, s13
	s_cbranch_execz .LBB6_13824
.LBB6_13823:                            ;   in Loop: Header=BB6_12675 Depth=3
	v_bfe_u32 v27, v26, 24, 2
	s_delay_alu instid0(VALU_DEP_1) | instskip(NEXT) | instid1(VALU_DEP_1)
	v_clz_i32_u32_e32 v37, v27
	v_min_u32_e32 v37, 32, v37
	s_delay_alu instid0(VALU_DEP_1) | instskip(SKIP_1) | instid1(VALU_DEP_2)
	v_subrev_nc_u32_e32 v38, 29, v37
	v_sub_nc_u32_e32 v37, 30, v37
	v_lshlrev_b32_e32 v36, v38, v36
	v_bfe_u32 v38, v26, 26, 5
	v_and_b32_e32 v26, 0x80000000, v26
	s_delay_alu instid0(VALU_DEP_2) | instskip(NEXT) | instid1(VALU_DEP_4)
	v_cmp_eq_u32_e32 vcc_lo, 0, v38
	v_dual_cndmask_b32 v37, v38, v37 :: v_dual_and_b32 v36, 3, v36
	s_delay_alu instid0(VALU_DEP_1) | instskip(NEXT) | instid1(VALU_DEP_2)
	v_cndmask_b32_e32 v27, v27, v36, vcc_lo
	v_lshl_add_u32 v36, v37, 23, 0x37800000
	s_delay_alu instid0(VALU_DEP_2) | instskip(NEXT) | instid1(VALU_DEP_1)
	v_lshlrev_b32_e32 v27, 21, v27
	v_or3_b32 v27, v26, v36, v27
.LBB6_13824:                            ;   in Loop: Header=BB6_12675 Depth=3
	s_or_b32 exec_lo, exec_lo, s17
	v_lshrrev_b32_e32 v26, 24, v17
	s_mov_b32 s13, 0
	s_mov_b32 s30, exec_lo
                                        ; implicit-def: $sgpr17
	s_delay_alu instid0(VALU_DEP_1)
	v_cmpx_lt_i16_e32 0x7f, v26
	s_xor_b32 s30, exec_lo, s30
	s_cbranch_execnz .LBB6_14918
; %bb.13825:                            ;   in Loop: Header=BB6_12675 Depth=3
	s_or_saveexec_b32 s30, s30
	v_mov_b32_e32 v36, s17
	s_xor_b32 exec_lo, exec_lo, s30
	s_cbranch_execnz .LBB6_14921
.LBB6_13826:                            ;   in Loop: Header=BB6_12675 Depth=3
	s_or_b32 exec_lo, exec_lo, s30
	s_and_saveexec_b32 s17, s13
	s_cbranch_execz .LBB6_13828
.LBB6_13827:                            ;   in Loop: Header=BB6_12675 Depth=3
	v_bfe_u32 v36, v17, 24, 2
	s_delay_alu instid0(VALU_DEP_1) | instskip(NEXT) | instid1(VALU_DEP_1)
	v_clz_i32_u32_e32 v37, v36
	v_min_u32_e32 v37, 32, v37
	s_delay_alu instid0(VALU_DEP_1) | instskip(SKIP_1) | instid1(VALU_DEP_2)
	v_subrev_nc_u32_e32 v38, 29, v37
	v_sub_nc_u32_e32 v37, 30, v37
	v_lshlrev_b32_e32 v26, v38, v26
	v_bfe_u32 v38, v17, 26, 5
	v_and_b32_e32 v17, 0x80000000, v17
	s_delay_alu instid0(VALU_DEP_2) | instskip(NEXT) | instid1(VALU_DEP_4)
	v_cmp_eq_u32_e32 vcc_lo, 0, v38
	v_dual_cndmask_b32 v37, v38, v37 :: v_dual_and_b32 v26, 3, v26
	s_delay_alu instid0(VALU_DEP_1) | instskip(NEXT) | instid1(VALU_DEP_2)
	v_cndmask_b32_e32 v26, v36, v26, vcc_lo
	v_lshl_add_u32 v36, v37, 23, 0x37800000
	s_delay_alu instid0(VALU_DEP_2) | instskip(NEXT) | instid1(VALU_DEP_1)
	v_lshlrev_b32_e32 v26, 21, v26
	v_or3_b32 v36, v17, v36, v26
.LBB6_13828:                            ;   in Loop: Header=BB6_12675 Depth=3
	s_or_b32 exec_lo, exec_lo, s17
	s_delay_alu instid0(VALU_DEP_1) | instskip(NEXT) | instid1(VALU_DEP_1)
	v_add_f32_e32 v26, v27, v36
	v_and_b32_e32 v17, 0x7f800000, v26
	s_delay_alu instid0(VALU_DEP_1)
	v_cmp_ne_u32_e32 vcc_lo, 0x7f800000, v17
	v_mov_b32_e32 v17, 0x8000
	s_and_saveexec_b32 s17, vcc_lo
	s_cbranch_execz .LBB6_13836
; %bb.13829:                            ;   in Loop: Header=BB6_12675 Depth=3
	v_mov_b32_e32 v17, 0
	s_mov_b32 s30, exec_lo
	v_cmpx_ne_u32_e32 0, v26
	s_cbranch_execz .LBB6_13835
; %bb.13830:                            ;   in Loop: Header=BB6_12675 Depth=3
	v_bfe_u32 v17, v26, 23, 8
	s_delay_alu instid0(VALU_DEP_1) | instskip(SKIP_1) | instid1(VALU_DEP_2)
	v_sub_nc_u32_e32 v36, 0x70, v17
	v_cmp_gt_u32_e32 vcc_lo, 0x71, v17
	v_dual_cndmask_b32 v36, 0, v36 :: v_dual_and_b32 v27, 0x7fffff, v26
	s_delay_alu instid0(VALU_DEP_1) | instskip(SKIP_2) | instid1(VALU_DEP_4)
	v_or_b32_e32 v37, 0x800000, v27
	v_cmp_eq_u32_e32 vcc_lo, 0, v17
	v_add_nc_u32_e32 v17, 0xffffff91, v17
	v_cndmask_b32_e64 v36, v36, 0x6f, vcc_lo
	s_delay_alu instid0(VALU_DEP_2) | instskip(SKIP_1) | instid1(VALU_DEP_3)
	v_cndmask_b32_e64 v17, v17, 0xffffff92, vcc_lo
	v_cndmask_b32_e32 v27, v37, v27, vcc_lo
	v_lshl_add_u32 v37, 0x200000, v36, -1
	v_lshlrev_b32_e64 v48, v36, 0x100000
	s_delay_alu instid0(VALU_DEP_3) | instskip(SKIP_1) | instid1(VALU_DEP_4)
	v_lshrrev_b32_e32 v38, v36, v27
	v_add_nc_u32_e32 v36, v36, v17
	v_and_b32_e32 v27, v37, v27
	s_delay_alu instid0(VALU_DEP_3) | instskip(NEXT) | instid1(VALU_DEP_2)
	v_bfe_u32 v39, v38, 21, 1
	v_cmp_eq_u32_e64 s13, v27, v48
	s_delay_alu instid0(VALU_DEP_2) | instskip(NEXT) | instid1(VALU_DEP_1)
	v_add_nc_u32_e32 v37, -1, v39
	v_cndmask_b32_e64 v27, 0, v37, s13
	v_lshrrev_b32_e32 v37, 23, v38
	s_mov_b32 s13, exec_lo
	s_delay_alu instid0(VALU_DEP_2) | instskip(NEXT) | instid1(VALU_DEP_2)
	v_add_nc_u32_e32 v27, v27, v38
	v_xor_b32_e32 v37, 1, v37
	s_delay_alu instid0(VALU_DEP_2) | instskip(NEXT) | instid1(VALU_DEP_1)
	v_and_b32_e32 v17, 0x1fffff, v27
	v_add_nc_u32_e32 v27, v17, v38
                                        ; implicit-def: $vgpr17
	s_delay_alu instid0(VALU_DEP_3)
	v_cmpx_ne_u32_e64 v36, v37
	s_xor_b32 s13, exec_lo, s13
; %bb.13831:                            ;   in Loop: Header=BB6_12675 Depth=3
	s_delay_alu instid0(VALU_DEP_2) | instskip(SKIP_2) | instid1(VALU_DEP_2)
	v_cmp_lt_u32_e32 vcc_lo, 0xffffff, v27
	v_sub_nc_u32_e32 v17, v36, v37
	v_cndmask_b32_e64 v36, 0, 1, vcc_lo
	v_add_co_ci_u32_e32 v17, vcc_lo, 0, v17, vcc_lo
	s_delay_alu instid0(VALU_DEP_2)
	v_lshrrev_b32_e32 v27, v36, v27
; %bb.13832:                            ;   in Loop: Header=BB6_12675 Depth=3
	s_and_not1_saveexec_b32 s13, s13
; %bb.13833:                            ;   in Loop: Header=BB6_12675 Depth=3
	s_delay_alu instid0(VALU_DEP_1)
	v_bfe_u32 v17, v27, 23, 1
; %bb.13834:                            ;   in Loop: Header=BB6_12675 Depth=3
	s_or_b32 exec_lo, exec_lo, s13
	v_lshrrev_b32_e32 v27, 21, v27
	s_delay_alu instid0(VALU_DEP_2) | instskip(SKIP_2) | instid1(VALU_DEP_2)
	v_cmp_gt_i32_e32 vcc_lo, 32, v17
	v_min_i32_e32 v36, 31, v17
	v_lshrrev_b32_e32 v26, 24, v26
	v_dual_cndmask_b32 v27, 3, v27 :: v_dual_lshlrev_b32 v36, 2, v36
	s_delay_alu instid0(VALU_DEP_2) | instskip(NEXT) | instid1(VALU_DEP_2)
	v_and_b32_e32 v26, 0x80, v26
	v_or_b32_e32 v17, v17, v27
	v_and_b32_e32 v37, 3, v27
	s_delay_alu instid0(VALU_DEP_2) | instskip(SKIP_1) | instid1(VALU_DEP_1)
	v_cmp_ne_u32_e32 vcc_lo, 0, v17
	v_and_b32_e32 v36, 0xfc, v36
	v_or3_b32 v26, v26, v36, v37
	s_delay_alu instid0(VALU_DEP_1) | instskip(NEXT) | instid1(VALU_DEP_1)
	v_lshlrev_b32_e32 v26, 8, v26
	v_cndmask_b32_e32 v17, 0, v26, vcc_lo
.LBB6_13835:                            ;   in Loop: Header=BB6_12675 Depth=3
	s_or_b32 exec_lo, exec_lo, s30
.LBB6_13836:                            ;   in Loop: Header=BB6_12675 Depth=3
	s_delay_alu instid0(SALU_CYCLE_1) | instskip(SKIP_3) | instid1(VALU_DEP_1)
	s_or_b32 exec_lo, exec_lo, s17
	v_and_b32_e32 v27, 0xff, v95
	s_mov_b32 s13, 0
	s_mov_b32 s30, exec_lo
                                        ; implicit-def: $sgpr17
	v_cmpx_lt_i16_e32 0x7f, v27
	s_xor_b32 s30, exec_lo, s30
	s_cbranch_execnz .LBB6_14922
; %bb.13837:                            ;   in Loop: Header=BB6_12675 Depth=3
	s_or_saveexec_b32 s30, s30
	v_mov_b32_e32 v26, s17
	s_xor_b32 exec_lo, exec_lo, s30
	s_cbranch_execnz .LBB6_14925
.LBB6_13838:                            ;   in Loop: Header=BB6_12675 Depth=3
	s_or_b32 exec_lo, exec_lo, s30
	s_and_saveexec_b32 s17, s13
	s_cbranch_execz .LBB6_13840
.LBB6_13839:                            ;   in Loop: Header=BB6_12675 Depth=3
	v_and_b32_e32 v26, 3, v95
	v_bfe_u32 v37, v95, 2, 5
	v_lshlrev_b32_e32 v38, 24, v95
	s_delay_alu instid0(VALU_DEP_3) | instskip(NEXT) | instid1(VALU_DEP_3)
	v_clz_i32_u32_e32 v27, v26
	v_cmp_eq_u32_e32 vcc_lo, 0, v37
	s_delay_alu instid0(VALU_DEP_2) | instskip(NEXT) | instid1(VALU_DEP_1)
	v_min_u32_e32 v27, 32, v27
	v_subrev_nc_u32_e32 v36, 29, v27
	v_sub_nc_u32_e32 v27, 30, v27
	s_delay_alu instid0(VALU_DEP_2) | instskip(NEXT) | instid1(VALU_DEP_1)
	v_lshlrev_b32_e32 v36, v36, v95
	v_dual_cndmask_b32 v27, v37, v27 :: v_dual_and_b32 v36, 3, v36
	s_delay_alu instid0(VALU_DEP_1) | instskip(NEXT) | instid1(VALU_DEP_2)
	v_lshl_add_u32 v27, v27, 23, 0x37800000
	v_cndmask_b32_e32 v26, v26, v36, vcc_lo
	v_and_b32_e32 v36, 0x80000000, v38
	s_delay_alu instid0(VALU_DEP_2) | instskip(NEXT) | instid1(VALU_DEP_1)
	v_lshlrev_b32_e32 v26, 21, v26
	v_or3_b32 v26, v36, v27, v26
.LBB6_13840:                            ;   in Loop: Header=BB6_12675 Depth=3
	s_or_b32 exec_lo, exec_lo, s17
	v_and_b32_e32 v36, 0xff, v18
	s_mov_b32 s13, 0
	s_mov_b32 s30, exec_lo
                                        ; implicit-def: $sgpr17
	s_delay_alu instid0(VALU_DEP_1)
	v_cmpx_lt_i16_e32 0x7f, v36
	s_xor_b32 s30, exec_lo, s30
	s_cbranch_execnz .LBB6_14926
; %bb.13841:                            ;   in Loop: Header=BB6_12675 Depth=3
	s_or_saveexec_b32 s30, s30
	v_mov_b32_e32 v27, s17
	s_xor_b32 exec_lo, exec_lo, s30
	s_cbranch_execnz .LBB6_14929
.LBB6_13842:                            ;   in Loop: Header=BB6_12675 Depth=3
	s_or_b32 exec_lo, exec_lo, s30
	s_and_saveexec_b32 s17, s13
	s_cbranch_execz .LBB6_13844
.LBB6_13843:                            ;   in Loop: Header=BB6_12675 Depth=3
	v_bfe_u32 v38, v18, 2, 5
	v_lshlrev_b32_e32 v39, 24, v18
	s_delay_alu instid0(VALU_DEP_2) | instskip(SKIP_1) | instid1(VALU_DEP_1)
	v_cmp_eq_u32_e32 vcc_lo, 0, v38
	v_and_b32_e32 v27, 3, v18
	v_clz_i32_u32_e32 v36, v27
	s_delay_alu instid0(VALU_DEP_1) | instskip(NEXT) | instid1(VALU_DEP_1)
	v_min_u32_e32 v36, 32, v36
	v_subrev_nc_u32_e32 v37, 29, v36
	v_sub_nc_u32_e32 v36, 30, v36
	s_delay_alu instid0(VALU_DEP_1) | instskip(NEXT) | instid1(VALU_DEP_1)
	v_dual_cndmask_b32 v36, v38, v36 :: v_dual_lshlrev_b32 v37, v37, v18
	v_and_b32_e32 v37, 3, v37
	s_delay_alu instid0(VALU_DEP_2) | instskip(NEXT) | instid1(VALU_DEP_2)
	v_lshl_add_u32 v36, v36, 23, 0x37800000
	v_cndmask_b32_e32 v27, v27, v37, vcc_lo
	v_and_b32_e32 v37, 0x80000000, v39
	s_delay_alu instid0(VALU_DEP_2) | instskip(NEXT) | instid1(VALU_DEP_1)
	v_lshlrev_b32_e32 v27, 21, v27
	v_or3_b32 v27, v37, v36, v27
.LBB6_13844:                            ;   in Loop: Header=BB6_12675 Depth=3
	s_or_b32 exec_lo, exec_lo, s17
	s_delay_alu instid0(VALU_DEP_1) | instskip(SKIP_1) | instid1(VALU_DEP_1)
	v_dual_add_f32 v26, v26, v27 :: v_dual_mov_b32 v95, 0x80
	s_mov_b32 s17, exec_lo
	v_and_b32_e32 v27, 0x7f800000, v26
	s_delay_alu instid0(VALU_DEP_1)
	v_cmpx_ne_u32_e32 0x7f800000, v27
	s_cbranch_execz .LBB6_13852
; %bb.13845:                            ;   in Loop: Header=BB6_12675 Depth=3
	v_mov_b32_e32 v95, 0
	s_mov_b32 s30, exec_lo
	v_cmpx_ne_u32_e32 0, v26
	s_cbranch_execz .LBB6_13851
; %bb.13846:                            ;   in Loop: Header=BB6_12675 Depth=3
	v_bfe_u32 v27, v26, 23, 8
	s_delay_alu instid0(VALU_DEP_1) | instskip(SKIP_1) | instid1(VALU_DEP_2)
	v_sub_nc_u32_e32 v37, 0x70, v27
	v_cmp_gt_u32_e32 vcc_lo, 0x71, v27
	v_dual_cndmask_b32 v37, 0, v37 :: v_dual_and_b32 v36, 0x7fffff, v26
	s_delay_alu instid0(VALU_DEP_1) | instskip(SKIP_2) | instid1(VALU_DEP_4)
	v_or_b32_e32 v38, 0x800000, v36
	v_cmp_eq_u32_e32 vcc_lo, 0, v27
	v_add_nc_u32_e32 v27, 0xffffff91, v27
	v_cndmask_b32_e64 v37, v37, 0x6f, vcc_lo
	s_delay_alu instid0(VALU_DEP_4) | instskip(NEXT) | instid1(VALU_DEP_3)
	v_cndmask_b32_e32 v36, v38, v36, vcc_lo
	v_cndmask_b32_e64 v27, v27, 0xffffff92, vcc_lo
	s_delay_alu instid0(VALU_DEP_3) | instskip(NEXT) | instid1(VALU_DEP_3)
	v_lshl_add_u32 v38, 0x200000, v37, -1
	v_lshrrev_b32_e32 v39, v37, v36
	v_lshlrev_b32_e64 v49, v37, 0x100000
	s_delay_alu instid0(VALU_DEP_4) | instskip(NEXT) | instid1(VALU_DEP_4)
	v_add_nc_u32_e32 v37, v37, v27
	v_and_b32_e32 v36, v38, v36
	s_delay_alu instid0(VALU_DEP_4) | instskip(NEXT) | instid1(VALU_DEP_2)
	v_bfe_u32 v48, v39, 21, 1
	v_cmp_eq_u32_e64 s13, v36, v49
	s_delay_alu instid0(VALU_DEP_2) | instskip(NEXT) | instid1(VALU_DEP_1)
	v_add_nc_u32_e32 v38, -1, v48
	v_cndmask_b32_e64 v36, 0, v38, s13
	v_lshrrev_b32_e32 v38, 23, v39
	s_mov_b32 s13, exec_lo
	s_delay_alu instid0(VALU_DEP_2) | instskip(NEXT) | instid1(VALU_DEP_2)
	v_add_nc_u32_e32 v36, v36, v39
	v_xor_b32_e32 v38, 1, v38
	s_delay_alu instid0(VALU_DEP_2) | instskip(NEXT) | instid1(VALU_DEP_1)
	v_and_b32_e32 v27, 0x1fffff, v36
	v_add_nc_u32_e32 v36, v27, v39
                                        ; implicit-def: $vgpr27
	s_delay_alu instid0(VALU_DEP_3)
	v_cmpx_ne_u32_e64 v37, v38
	s_xor_b32 s13, exec_lo, s13
; %bb.13847:                            ;   in Loop: Header=BB6_12675 Depth=3
	s_delay_alu instid0(VALU_DEP_2) | instskip(SKIP_2) | instid1(VALU_DEP_2)
	v_cmp_lt_u32_e32 vcc_lo, 0xffffff, v36
	v_sub_nc_u32_e32 v27, v37, v38
	v_cndmask_b32_e64 v37, 0, 1, vcc_lo
	v_add_co_ci_u32_e32 v27, vcc_lo, 0, v27, vcc_lo
	s_delay_alu instid0(VALU_DEP_2)
	v_lshrrev_b32_e32 v36, v37, v36
; %bb.13848:                            ;   in Loop: Header=BB6_12675 Depth=3
	s_and_not1_saveexec_b32 s13, s13
; %bb.13849:                            ;   in Loop: Header=BB6_12675 Depth=3
	s_delay_alu instid0(VALU_DEP_1)
	v_bfe_u32 v27, v36, 23, 1
; %bb.13850:                            ;   in Loop: Header=BB6_12675 Depth=3
	s_or_b32 exec_lo, exec_lo, s13
	v_lshrrev_b32_e32 v36, 21, v36
	s_delay_alu instid0(VALU_DEP_2) | instskip(SKIP_2) | instid1(VALU_DEP_2)
	v_cmp_gt_i32_e32 vcc_lo, 32, v27
	v_min_i32_e32 v37, 31, v27
	v_lshrrev_b32_e32 v26, 24, v26
	v_dual_cndmask_b32 v36, 3, v36 :: v_dual_lshlrev_b32 v37, 2, v37
	s_delay_alu instid0(VALU_DEP_2) | instskip(NEXT) | instid1(VALU_DEP_2)
	v_and_b32_e32 v26, 0x80, v26
	v_or_b32_e32 v27, v27, v36
	s_delay_alu instid0(VALU_DEP_1) | instskip(SKIP_1) | instid1(VALU_DEP_1)
	v_cmp_ne_u32_e32 vcc_lo, 0, v27
	v_and_b32_e32 v38, 3, v36
	v_or3_b32 v26, v37, v26, v38
	s_delay_alu instid0(VALU_DEP_1)
	v_cndmask_b32_e32 v95, 0, v26, vcc_lo
.LBB6_13851:                            ;   in Loop: Header=BB6_12675 Depth=3
	s_or_b32 exec_lo, exec_lo, s30
.LBB6_13852:                            ;   in Loop: Header=BB6_12675 Depth=3
	s_delay_alu instid0(SALU_CYCLE_1) | instskip(SKIP_3) | instid1(VALU_DEP_1)
	s_or_b32 exec_lo, exec_lo, s17
	v_and_b32_e32 v27, 0xff, v93
	s_mov_b32 s13, 0
	s_mov_b32 s30, exec_lo
                                        ; implicit-def: $sgpr17
	v_cmpx_lt_i16_e32 0x7f, v27
	s_xor_b32 s30, exec_lo, s30
	s_cbranch_execnz .LBB6_14930
; %bb.13853:                            ;   in Loop: Header=BB6_12675 Depth=3
	s_or_saveexec_b32 s30, s30
	v_mov_b32_e32 v26, s17
	s_xor_b32 exec_lo, exec_lo, s30
	s_cbranch_execnz .LBB6_14933
.LBB6_13854:                            ;   in Loop: Header=BB6_12675 Depth=3
	s_or_b32 exec_lo, exec_lo, s30
	s_and_saveexec_b32 s17, s13
	s_cbranch_execz .LBB6_13856
.LBB6_13855:                            ;   in Loop: Header=BB6_12675 Depth=3
	v_bfe_u32 v37, v93, 2, 5
	v_lshlrev_b32_e32 v38, 24, v93
	s_delay_alu instid0(VALU_DEP_2) | instskip(SKIP_1) | instid1(VALU_DEP_1)
	v_cmp_eq_u32_e32 vcc_lo, 0, v37
	v_and_b32_e32 v26, 3, v93
	v_clz_i32_u32_e32 v27, v26
	s_delay_alu instid0(VALU_DEP_1) | instskip(NEXT) | instid1(VALU_DEP_1)
	v_min_u32_e32 v27, 32, v27
	v_subrev_nc_u32_e32 v36, 29, v27
	v_sub_nc_u32_e32 v27, 30, v27
	s_delay_alu instid0(VALU_DEP_1) | instskip(NEXT) | instid1(VALU_DEP_1)
	v_dual_cndmask_b32 v27, v37, v27 :: v_dual_lshlrev_b32 v36, v36, v93
	v_and_b32_e32 v36, 3, v36
	s_delay_alu instid0(VALU_DEP_2) | instskip(NEXT) | instid1(VALU_DEP_2)
	v_lshl_add_u32 v27, v27, 23, 0x37800000
	v_cndmask_b32_e32 v26, v26, v36, vcc_lo
	v_and_b32_e32 v36, 0x80000000, v38
	s_delay_alu instid0(VALU_DEP_2) | instskip(NEXT) | instid1(VALU_DEP_1)
	v_lshlrev_b32_e32 v26, 21, v26
	v_or3_b32 v26, v36, v27, v26
.LBB6_13856:                            ;   in Loop: Header=BB6_12675 Depth=3
	s_or_b32 exec_lo, exec_lo, s17
	v_lshrrev_b16 v27, 8, v18
	s_mov_b32 s13, 0
	s_mov_b32 s30, exec_lo
                                        ; implicit-def: $sgpr17
	s_delay_alu instid0(VALU_DEP_1)
	v_cmpx_lt_i16_e32 0x7f, v27
	s_xor_b32 s30, exec_lo, s30
	s_cbranch_execnz .LBB6_14934
; %bb.13857:                            ;   in Loop: Header=BB6_12675 Depth=3
	s_or_saveexec_b32 s30, s30
	v_mov_b32_e32 v36, s17
	s_xor_b32 exec_lo, exec_lo, s30
	s_cbranch_execnz .LBB6_14937
.LBB6_13858:                            ;   in Loop: Header=BB6_12675 Depth=3
	s_or_b32 exec_lo, exec_lo, s30
	s_and_saveexec_b32 s17, s13
	s_cbranch_execz .LBB6_13860
.LBB6_13859:                            ;   in Loop: Header=BB6_12675 Depth=3
	v_and_b32_e32 v36, 0xffff, v27
	v_lshlrev_b32_e32 v27, 24, v27
	s_delay_alu instid0(VALU_DEP_2) | instskip(NEXT) | instid1(VALU_DEP_2)
	v_and_b32_e32 v37, 3, v36
	v_and_b32_e32 v27, 0x80000000, v27
	s_delay_alu instid0(VALU_DEP_2) | instskip(NEXT) | instid1(VALU_DEP_1)
	v_clz_i32_u32_e32 v38, v37
	v_min_u32_e32 v38, 32, v38
	s_delay_alu instid0(VALU_DEP_1) | instskip(SKIP_1) | instid1(VALU_DEP_2)
	v_subrev_nc_u32_e32 v39, 29, v38
	v_sub_nc_u32_e32 v38, 30, v38
	v_lshlrev_b32_e32 v39, v39, v36
	v_bfe_u32 v36, v36, 2, 5
	s_delay_alu instid0(VALU_DEP_2) | instskip(NEXT) | instid1(VALU_DEP_2)
	v_and_b32_e32 v39, 3, v39
	v_cmp_eq_u32_e32 vcc_lo, 0, v36
	s_delay_alu instid0(VALU_DEP_2) | instskip(NEXT) | instid1(VALU_DEP_1)
	v_dual_cndmask_b32 v36, v36, v38 :: v_dual_cndmask_b32 v37, v37, v39
	v_lshl_add_u32 v36, v36, 23, 0x37800000
	s_delay_alu instid0(VALU_DEP_2) | instskip(NEXT) | instid1(VALU_DEP_1)
	v_lshlrev_b32_e32 v37, 21, v37
	v_or3_b32 v36, v27, v36, v37
.LBB6_13860:                            ;   in Loop: Header=BB6_12675 Depth=3
	s_or_b32 exec_lo, exec_lo, s17
	s_delay_alu instid0(VALU_DEP_1) | instskip(SKIP_1) | instid1(VALU_DEP_1)
	v_dual_add_f32 v26, v26, v36 :: v_dual_mov_b32 v93, 0x80
	s_mov_b32 s17, exec_lo
	v_and_b32_e32 v27, 0x7f800000, v26
	s_delay_alu instid0(VALU_DEP_1)
	v_cmpx_ne_u32_e32 0x7f800000, v27
	s_cbranch_execz .LBB6_13868
; %bb.13861:                            ;   in Loop: Header=BB6_12675 Depth=3
	v_mov_b32_e32 v93, 0
	s_mov_b32 s30, exec_lo
	v_cmpx_ne_u32_e32 0, v26
	s_cbranch_execz .LBB6_13867
; %bb.13862:                            ;   in Loop: Header=BB6_12675 Depth=3
	v_bfe_u32 v27, v26, 23, 8
	s_delay_alu instid0(VALU_DEP_1) | instskip(SKIP_1) | instid1(VALU_DEP_2)
	v_sub_nc_u32_e32 v37, 0x70, v27
	v_cmp_gt_u32_e32 vcc_lo, 0x71, v27
	v_dual_cndmask_b32 v37, 0, v37 :: v_dual_and_b32 v36, 0x7fffff, v26
	s_delay_alu instid0(VALU_DEP_1) | instskip(SKIP_2) | instid1(VALU_DEP_4)
	v_or_b32_e32 v38, 0x800000, v36
	v_cmp_eq_u32_e32 vcc_lo, 0, v27
	v_add_nc_u32_e32 v27, 0xffffff91, v27
	v_cndmask_b32_e64 v37, v37, 0x6f, vcc_lo
	s_delay_alu instid0(VALU_DEP_4) | instskip(NEXT) | instid1(VALU_DEP_3)
	v_cndmask_b32_e32 v36, v38, v36, vcc_lo
	v_cndmask_b32_e64 v27, v27, 0xffffff92, vcc_lo
	s_delay_alu instid0(VALU_DEP_3) | instskip(NEXT) | instid1(VALU_DEP_3)
	v_lshl_add_u32 v38, 0x200000, v37, -1
	v_lshrrev_b32_e32 v39, v37, v36
	v_lshlrev_b32_e64 v49, v37, 0x100000
	s_delay_alu instid0(VALU_DEP_4) | instskip(NEXT) | instid1(VALU_DEP_4)
	v_add_nc_u32_e32 v37, v37, v27
	v_and_b32_e32 v36, v38, v36
	s_delay_alu instid0(VALU_DEP_4) | instskip(NEXT) | instid1(VALU_DEP_2)
	v_bfe_u32 v48, v39, 21, 1
	v_cmp_eq_u32_e64 s13, v36, v49
	s_delay_alu instid0(VALU_DEP_2) | instskip(NEXT) | instid1(VALU_DEP_1)
	v_add_nc_u32_e32 v38, -1, v48
	v_cndmask_b32_e64 v36, 0, v38, s13
	v_lshrrev_b32_e32 v38, 23, v39
	s_mov_b32 s13, exec_lo
	s_delay_alu instid0(VALU_DEP_2) | instskip(NEXT) | instid1(VALU_DEP_2)
	v_add_nc_u32_e32 v36, v36, v39
	v_xor_b32_e32 v38, 1, v38
	s_delay_alu instid0(VALU_DEP_2) | instskip(NEXT) | instid1(VALU_DEP_1)
	v_and_b32_e32 v27, 0x1fffff, v36
	v_add_nc_u32_e32 v36, v27, v39
                                        ; implicit-def: $vgpr27
	s_delay_alu instid0(VALU_DEP_3)
	v_cmpx_ne_u32_e64 v37, v38
	s_xor_b32 s13, exec_lo, s13
; %bb.13863:                            ;   in Loop: Header=BB6_12675 Depth=3
	s_delay_alu instid0(VALU_DEP_2) | instskip(SKIP_2) | instid1(VALU_DEP_2)
	v_cmp_lt_u32_e32 vcc_lo, 0xffffff, v36
	v_sub_nc_u32_e32 v27, v37, v38
	v_cndmask_b32_e64 v37, 0, 1, vcc_lo
	v_add_co_ci_u32_e32 v27, vcc_lo, 0, v27, vcc_lo
	s_delay_alu instid0(VALU_DEP_2)
	v_lshrrev_b32_e32 v36, v37, v36
; %bb.13864:                            ;   in Loop: Header=BB6_12675 Depth=3
	s_and_not1_saveexec_b32 s13, s13
; %bb.13865:                            ;   in Loop: Header=BB6_12675 Depth=3
	s_delay_alu instid0(VALU_DEP_1)
	v_bfe_u32 v27, v36, 23, 1
; %bb.13866:                            ;   in Loop: Header=BB6_12675 Depth=3
	s_or_b32 exec_lo, exec_lo, s13
	v_lshrrev_b32_e32 v36, 21, v36
	s_delay_alu instid0(VALU_DEP_2) | instskip(SKIP_2) | instid1(VALU_DEP_2)
	v_cmp_gt_i32_e32 vcc_lo, 32, v27
	v_min_i32_e32 v37, 31, v27
	v_lshrrev_b32_e32 v26, 24, v26
	v_dual_cndmask_b32 v36, 3, v36 :: v_dual_lshlrev_b32 v37, 2, v37
	s_delay_alu instid0(VALU_DEP_2) | instskip(NEXT) | instid1(VALU_DEP_2)
	v_and_b32_e32 v26, 0x80, v26
	v_or_b32_e32 v27, v27, v36
	s_delay_alu instid0(VALU_DEP_1) | instskip(SKIP_1) | instid1(VALU_DEP_1)
	v_cmp_ne_u32_e32 vcc_lo, 0, v27
	v_and_b32_e32 v38, 3, v36
	v_or3_b32 v26, v37, v26, v38
	s_delay_alu instid0(VALU_DEP_1)
	v_cndmask_b32_e32 v93, 0, v26, vcc_lo
.LBB6_13867:                            ;   in Loop: Header=BB6_12675 Depth=3
	s_or_b32 exec_lo, exec_lo, s30
.LBB6_13868:                            ;   in Loop: Header=BB6_12675 Depth=3
	s_delay_alu instid0(SALU_CYCLE_1) | instskip(SKIP_3) | instid1(VALU_DEP_1)
	s_or_b32 exec_lo, exec_lo, s17
	v_and_b32_e32 v27, 0xff, v92
	s_mov_b32 s13, 0
	s_mov_b32 s30, exec_lo
                                        ; implicit-def: $sgpr17
	v_cmpx_lt_i16_e32 0x7f, v27
	s_xor_b32 s30, exec_lo, s30
	s_cbranch_execnz .LBB6_14938
; %bb.13869:                            ;   in Loop: Header=BB6_12675 Depth=3
	s_or_saveexec_b32 s30, s30
	v_mov_b32_e32 v26, s17
	s_xor_b32 exec_lo, exec_lo, s30
	s_cbranch_execnz .LBB6_14941
.LBB6_13870:                            ;   in Loop: Header=BB6_12675 Depth=3
	s_or_b32 exec_lo, exec_lo, s30
	s_and_saveexec_b32 s17, s13
	s_cbranch_execz .LBB6_13872
.LBB6_13871:                            ;   in Loop: Header=BB6_12675 Depth=3
	v_bfe_u32 v37, v92, 2, 5
	v_lshlrev_b32_e32 v38, 24, v92
	s_delay_alu instid0(VALU_DEP_2) | instskip(SKIP_1) | instid1(VALU_DEP_1)
	v_cmp_eq_u32_e32 vcc_lo, 0, v37
	v_and_b32_e32 v26, 3, v92
	v_clz_i32_u32_e32 v27, v26
	s_delay_alu instid0(VALU_DEP_1) | instskip(NEXT) | instid1(VALU_DEP_1)
	v_min_u32_e32 v27, 32, v27
	v_subrev_nc_u32_e32 v36, 29, v27
	v_sub_nc_u32_e32 v27, 30, v27
	s_delay_alu instid0(VALU_DEP_1) | instskip(NEXT) | instid1(VALU_DEP_1)
	v_dual_cndmask_b32 v27, v37, v27 :: v_dual_lshlrev_b32 v36, v36, v92
	v_and_b32_e32 v36, 3, v36
	s_delay_alu instid0(VALU_DEP_2) | instskip(NEXT) | instid1(VALU_DEP_2)
	v_lshl_add_u32 v27, v27, 23, 0x37800000
	v_cndmask_b32_e32 v26, v26, v36, vcc_lo
	v_and_b32_e32 v36, 0x80000000, v38
	s_delay_alu instid0(VALU_DEP_2) | instskip(NEXT) | instid1(VALU_DEP_1)
	v_lshlrev_b32_e32 v26, 21, v26
	v_or3_b32 v26, v36, v27, v26
.LBB6_13872:                            ;   in Loop: Header=BB6_12675 Depth=3
	s_or_b32 exec_lo, exec_lo, s17
	v_lshrrev_b32_e32 v27, 16, v18
	s_mov_b32 s13, 0
	s_mov_b32 s30, exec_lo
                                        ; implicit-def: $sgpr17
	s_delay_alu instid0(VALU_DEP_1) | instskip(NEXT) | instid1(VALU_DEP_1)
	v_and_b32_e32 v37, 0xff, v27
	v_cmpx_lt_i16_e32 0x7f, v37
	s_xor_b32 s30, exec_lo, s30
	s_cbranch_execnz .LBB6_14942
; %bb.13873:                            ;   in Loop: Header=BB6_12675 Depth=3
	s_or_saveexec_b32 s30, s30
	v_mov_b32_e32 v36, s17
	s_xor_b32 exec_lo, exec_lo, s30
	s_cbranch_execnz .LBB6_14945
.LBB6_13874:                            ;   in Loop: Header=BB6_12675 Depth=3
	s_or_b32 exec_lo, exec_lo, s30
	s_and_saveexec_b32 s17, s13
	s_cbranch_execz .LBB6_13876
.LBB6_13875:                            ;   in Loop: Header=BB6_12675 Depth=3
	v_bfe_u32 v36, v18, 16, 2
	v_lshlrev_b32_e32 v39, 8, v18
	s_delay_alu instid0(VALU_DEP_2) | instskip(NEXT) | instid1(VALU_DEP_1)
	v_clz_i32_u32_e32 v37, v36
	v_min_u32_e32 v37, 32, v37
	s_delay_alu instid0(VALU_DEP_1) | instskip(SKIP_1) | instid1(VALU_DEP_2)
	v_subrev_nc_u32_e32 v38, 29, v37
	v_sub_nc_u32_e32 v37, 30, v37
	v_lshlrev_b32_e32 v27, v38, v27
	v_bfe_u32 v38, v18, 18, 5
	s_delay_alu instid0(VALU_DEP_2) | instskip(NEXT) | instid1(VALU_DEP_2)
	v_and_b32_e32 v27, 3, v27
	v_cmp_eq_u32_e32 vcc_lo, 0, v38
	v_cndmask_b32_e32 v37, v38, v37, vcc_lo
	s_delay_alu instid0(VALU_DEP_3) | instskip(SKIP_1) | instid1(VALU_DEP_3)
	v_cndmask_b32_e32 v27, v36, v27, vcc_lo
	v_and_b32_e32 v36, 0x80000000, v39
	v_lshl_add_u32 v37, v37, 23, 0x37800000
	s_delay_alu instid0(VALU_DEP_3) | instskip(NEXT) | instid1(VALU_DEP_1)
	v_lshlrev_b32_e32 v27, 21, v27
	v_or3_b32 v36, v36, v37, v27
.LBB6_13876:                            ;   in Loop: Header=BB6_12675 Depth=3
	s_or_b32 exec_lo, exec_lo, s17
	s_delay_alu instid0(VALU_DEP_1) | instskip(SKIP_2) | instid1(VALU_DEP_2)
	v_add_f32_e32 v26, v26, v36
	v_mov_b32_e32 v92, 0x80
	s_mov_b32 s17, exec_lo
	v_and_b32_e32 v27, 0x7f800000, v26
	s_delay_alu instid0(VALU_DEP_1)
	v_cmpx_ne_u32_e32 0x7f800000, v27
	s_cbranch_execz .LBB6_13884
; %bb.13877:                            ;   in Loop: Header=BB6_12675 Depth=3
	v_mov_b32_e32 v92, 0
	s_mov_b32 s30, exec_lo
	v_cmpx_ne_u32_e32 0, v26
	s_cbranch_execz .LBB6_13883
; %bb.13878:                            ;   in Loop: Header=BB6_12675 Depth=3
	v_bfe_u32 v27, v26, 23, 8
	s_delay_alu instid0(VALU_DEP_1) | instskip(SKIP_1) | instid1(VALU_DEP_2)
	v_sub_nc_u32_e32 v37, 0x70, v27
	v_cmp_gt_u32_e32 vcc_lo, 0x71, v27
	v_dual_cndmask_b32 v37, 0, v37 :: v_dual_and_b32 v36, 0x7fffff, v26
	s_delay_alu instid0(VALU_DEP_1) | instskip(SKIP_2) | instid1(VALU_DEP_4)
	v_or_b32_e32 v38, 0x800000, v36
	v_cmp_eq_u32_e32 vcc_lo, 0, v27
	v_add_nc_u32_e32 v27, 0xffffff91, v27
	v_cndmask_b32_e64 v37, v37, 0x6f, vcc_lo
	s_delay_alu instid0(VALU_DEP_4) | instskip(NEXT) | instid1(VALU_DEP_3)
	v_cndmask_b32_e32 v36, v38, v36, vcc_lo
	v_cndmask_b32_e64 v27, v27, 0xffffff92, vcc_lo
	s_delay_alu instid0(VALU_DEP_3) | instskip(NEXT) | instid1(VALU_DEP_3)
	v_lshl_add_u32 v38, 0x200000, v37, -1
	v_lshrrev_b32_e32 v39, v37, v36
	v_lshlrev_b32_e64 v49, v37, 0x100000
	s_delay_alu instid0(VALU_DEP_4) | instskip(NEXT) | instid1(VALU_DEP_4)
	v_add_nc_u32_e32 v37, v37, v27
	v_and_b32_e32 v36, v38, v36
	s_delay_alu instid0(VALU_DEP_4) | instskip(NEXT) | instid1(VALU_DEP_2)
	v_bfe_u32 v48, v39, 21, 1
	v_cmp_eq_u32_e64 s13, v36, v49
	s_delay_alu instid0(VALU_DEP_2) | instskip(NEXT) | instid1(VALU_DEP_1)
	v_add_nc_u32_e32 v38, -1, v48
	v_cndmask_b32_e64 v36, 0, v38, s13
	v_lshrrev_b32_e32 v38, 23, v39
	s_mov_b32 s13, exec_lo
	s_delay_alu instid0(VALU_DEP_2) | instskip(NEXT) | instid1(VALU_DEP_2)
	v_add_nc_u32_e32 v36, v36, v39
	v_xor_b32_e32 v38, 1, v38
	s_delay_alu instid0(VALU_DEP_2) | instskip(NEXT) | instid1(VALU_DEP_1)
	v_and_b32_e32 v27, 0x1fffff, v36
	v_add_nc_u32_e32 v36, v27, v39
                                        ; implicit-def: $vgpr27
	s_delay_alu instid0(VALU_DEP_3)
	v_cmpx_ne_u32_e64 v37, v38
	s_xor_b32 s13, exec_lo, s13
; %bb.13879:                            ;   in Loop: Header=BB6_12675 Depth=3
	s_delay_alu instid0(VALU_DEP_2) | instskip(SKIP_2) | instid1(VALU_DEP_2)
	v_cmp_lt_u32_e32 vcc_lo, 0xffffff, v36
	v_sub_nc_u32_e32 v27, v37, v38
	v_cndmask_b32_e64 v37, 0, 1, vcc_lo
	v_add_co_ci_u32_e32 v27, vcc_lo, 0, v27, vcc_lo
	s_delay_alu instid0(VALU_DEP_2)
	v_lshrrev_b32_e32 v36, v37, v36
; %bb.13880:                            ;   in Loop: Header=BB6_12675 Depth=3
	s_and_not1_saveexec_b32 s13, s13
; %bb.13881:                            ;   in Loop: Header=BB6_12675 Depth=3
	s_delay_alu instid0(VALU_DEP_1)
	v_bfe_u32 v27, v36, 23, 1
; %bb.13882:                            ;   in Loop: Header=BB6_12675 Depth=3
	s_or_b32 exec_lo, exec_lo, s13
	v_lshrrev_b32_e32 v36, 21, v36
	s_delay_alu instid0(VALU_DEP_2) | instskip(SKIP_2) | instid1(VALU_DEP_4)
	v_cmp_gt_i32_e32 vcc_lo, 32, v27
	v_lshrrev_b32_e32 v26, 24, v26
	v_min_i32_e32 v37, 31, v27
	v_cndmask_b32_e32 v36, 3, v36, vcc_lo
	s_delay_alu instid0(VALU_DEP_3) | instskip(NEXT) | instid1(VALU_DEP_3)
	v_and_b32_e32 v26, 0x80, v26
	v_lshlrev_b32_e32 v37, 2, v37
	s_delay_alu instid0(VALU_DEP_3) | instskip(SKIP_1) | instid1(VALU_DEP_2)
	v_and_b32_e32 v38, 3, v36
	v_or_b32_e32 v27, v27, v36
	v_or3_b32 v26, v37, v26, v38
	s_delay_alu instid0(VALU_DEP_2) | instskip(NEXT) | instid1(VALU_DEP_2)
	v_cmp_ne_u32_e32 vcc_lo, 0, v27
	v_cndmask_b32_e32 v92, 0, v26, vcc_lo
.LBB6_13883:                            ;   in Loop: Header=BB6_12675 Depth=3
	s_or_b32 exec_lo, exec_lo, s30
.LBB6_13884:                            ;   in Loop: Header=BB6_12675 Depth=3
	s_delay_alu instid0(SALU_CYCLE_1) | instskip(SKIP_3) | instid1(VALU_DEP_1)
	s_or_b32 exec_lo, exec_lo, s17
	v_and_b32_e32 v27, 0xff, v90
	s_mov_b32 s13, 0
	s_mov_b32 s30, exec_lo
                                        ; implicit-def: $sgpr17
	v_cmpx_lt_i16_e32 0x7f, v27
	s_xor_b32 s30, exec_lo, s30
	s_cbranch_execnz .LBB6_14946
; %bb.13885:                            ;   in Loop: Header=BB6_12675 Depth=3
	s_or_saveexec_b32 s30, s30
	v_mov_b32_e32 v26, s17
	s_xor_b32 exec_lo, exec_lo, s30
	s_cbranch_execnz .LBB6_14949
.LBB6_13886:                            ;   in Loop: Header=BB6_12675 Depth=3
	s_or_b32 exec_lo, exec_lo, s30
	s_and_saveexec_b32 s17, s13
	s_cbranch_execz .LBB6_13888
.LBB6_13887:                            ;   in Loop: Header=BB6_12675 Depth=3
	v_lshlrev_b32_e32 v26, 8, v90
	s_delay_alu instid0(VALU_DEP_1) | instskip(SKIP_1) | instid1(VALU_DEP_2)
	v_and_b32_e32 v36, 0xff00, v26
	v_bfe_u32 v26, v26, 10, 5
	v_bfe_u32 v37, v36, 8, 2
	s_delay_alu instid0(VALU_DEP_2) | instskip(SKIP_1) | instid1(VALU_DEP_3)
	v_cmp_eq_u32_e32 vcc_lo, 0, v26
	v_lshlrev_b32_e32 v36, 16, v36
	v_clz_i32_u32_e32 v38, v37
	s_delay_alu instid0(VALU_DEP_2) | instskip(NEXT) | instid1(VALU_DEP_2)
	v_and_b32_e32 v36, 0x80000000, v36
	v_min_u32_e32 v38, 32, v38
	s_delay_alu instid0(VALU_DEP_1) | instskip(SKIP_1) | instid1(VALU_DEP_1)
	v_subrev_nc_u32_e32 v39, 29, v38
	v_sub_nc_u32_e32 v38, 30, v38
	v_dual_cndmask_b32 v26, v26, v38 :: v_dual_lshlrev_b32 v27, v39, v27
	s_delay_alu instid0(VALU_DEP_1) | instskip(NEXT) | instid1(VALU_DEP_2)
	v_and_b32_e32 v27, 3, v27
	v_lshl_add_u32 v26, v26, 23, 0x37800000
	s_delay_alu instid0(VALU_DEP_2) | instskip(NEXT) | instid1(VALU_DEP_1)
	v_cndmask_b32_e32 v27, v37, v27, vcc_lo
	v_lshlrev_b32_e32 v27, 21, v27
	s_delay_alu instid0(VALU_DEP_1)
	v_or3_b32 v26, v36, v26, v27
.LBB6_13888:                            ;   in Loop: Header=BB6_12675 Depth=3
	s_or_b32 exec_lo, exec_lo, s17
	v_lshrrev_b32_e32 v27, 24, v18
	s_mov_b32 s13, 0
	s_mov_b32 s30, exec_lo
                                        ; implicit-def: $sgpr17
	s_delay_alu instid0(VALU_DEP_1)
	v_cmpx_lt_i16_e32 0x7f, v27
	s_xor_b32 s30, exec_lo, s30
	s_cbranch_execnz .LBB6_14950
; %bb.13889:                            ;   in Loop: Header=BB6_12675 Depth=3
	s_or_saveexec_b32 s30, s30
	v_mov_b32_e32 v36, s17
	s_xor_b32 exec_lo, exec_lo, s30
	s_cbranch_execnz .LBB6_14953
.LBB6_13890:                            ;   in Loop: Header=BB6_12675 Depth=3
	s_or_b32 exec_lo, exec_lo, s30
	s_and_saveexec_b32 s17, s13
	s_cbranch_execz .LBB6_13892
.LBB6_13891:                            ;   in Loop: Header=BB6_12675 Depth=3
	v_bfe_u32 v36, v18, 24, 2
	s_delay_alu instid0(VALU_DEP_1) | instskip(NEXT) | instid1(VALU_DEP_1)
	v_clz_i32_u32_e32 v37, v36
	v_min_u32_e32 v37, 32, v37
	s_delay_alu instid0(VALU_DEP_1) | instskip(SKIP_1) | instid1(VALU_DEP_2)
	v_subrev_nc_u32_e32 v38, 29, v37
	v_sub_nc_u32_e32 v37, 30, v37
	v_lshlrev_b32_e32 v27, v38, v27
	v_bfe_u32 v38, v18, 26, 5
	v_and_b32_e32 v18, 0x80000000, v18
	s_delay_alu instid0(VALU_DEP_3) | instskip(NEXT) | instid1(VALU_DEP_3)
	v_and_b32_e32 v27, 3, v27
	v_cmp_eq_u32_e32 vcc_lo, 0, v38
	v_cndmask_b32_e32 v37, v38, v37, vcc_lo
	s_delay_alu instid0(VALU_DEP_3) | instskip(NEXT) | instid1(VALU_DEP_2)
	v_cndmask_b32_e32 v27, v36, v27, vcc_lo
	v_lshl_add_u32 v36, v37, 23, 0x37800000
	s_delay_alu instid0(VALU_DEP_2) | instskip(NEXT) | instid1(VALU_DEP_1)
	v_lshlrev_b32_e32 v27, 21, v27
	v_or3_b32 v36, v18, v36, v27
.LBB6_13892:                            ;   in Loop: Header=BB6_12675 Depth=3
	s_or_b32 exec_lo, exec_lo, s17
	s_delay_alu instid0(VALU_DEP_1) | instskip(NEXT) | instid1(VALU_DEP_1)
	v_add_f32_e32 v26, v26, v36
	v_and_b32_e32 v18, 0x7f800000, v26
	s_delay_alu instid0(VALU_DEP_1)
	v_cmp_ne_u32_e32 vcc_lo, 0x7f800000, v18
	v_mov_b32_e32 v18, 0x80
	s_and_saveexec_b32 s17, vcc_lo
	s_cbranch_execz .LBB6_13900
; %bb.13893:                            ;   in Loop: Header=BB6_12675 Depth=3
	v_mov_b32_e32 v18, 0
	s_mov_b32 s30, exec_lo
	v_cmpx_ne_u32_e32 0, v26
	s_cbranch_execz .LBB6_13899
; %bb.13894:                            ;   in Loop: Header=BB6_12675 Depth=3
	v_bfe_u32 v18, v26, 23, 8
	s_delay_alu instid0(VALU_DEP_1) | instskip(SKIP_1) | instid1(VALU_DEP_2)
	v_sub_nc_u32_e32 v36, 0x70, v18
	v_cmp_gt_u32_e32 vcc_lo, 0x71, v18
	v_dual_cndmask_b32 v36, 0, v36 :: v_dual_and_b32 v27, 0x7fffff, v26
	s_delay_alu instid0(VALU_DEP_1) | instskip(SKIP_2) | instid1(VALU_DEP_4)
	v_or_b32_e32 v37, 0x800000, v27
	v_cmp_eq_u32_e32 vcc_lo, 0, v18
	v_add_nc_u32_e32 v18, 0xffffff91, v18
	v_cndmask_b32_e64 v36, v36, 0x6f, vcc_lo
	s_delay_alu instid0(VALU_DEP_4) | instskip(NEXT) | instid1(VALU_DEP_3)
	v_cndmask_b32_e32 v27, v37, v27, vcc_lo
	v_cndmask_b32_e64 v18, v18, 0xffffff92, vcc_lo
	s_delay_alu instid0(VALU_DEP_3) | instskip(NEXT) | instid1(VALU_DEP_3)
	v_lshl_add_u32 v37, 0x200000, v36, -1
	v_lshrrev_b32_e32 v38, v36, v27
	v_lshlrev_b32_e64 v48, v36, 0x100000
	s_delay_alu instid0(VALU_DEP_4) | instskip(NEXT) | instid1(VALU_DEP_4)
	v_add_nc_u32_e32 v36, v36, v18
	v_and_b32_e32 v27, v37, v27
	s_delay_alu instid0(VALU_DEP_4) | instskip(NEXT) | instid1(VALU_DEP_2)
	v_bfe_u32 v39, v38, 21, 1
	v_cmp_eq_u32_e64 s13, v27, v48
	s_delay_alu instid0(VALU_DEP_2) | instskip(NEXT) | instid1(VALU_DEP_1)
	v_add_nc_u32_e32 v37, -1, v39
	v_cndmask_b32_e64 v27, 0, v37, s13
	v_lshrrev_b32_e32 v37, 23, v38
	s_mov_b32 s13, exec_lo
	s_delay_alu instid0(VALU_DEP_2) | instskip(NEXT) | instid1(VALU_DEP_2)
	v_add_nc_u32_e32 v27, v27, v38
	v_xor_b32_e32 v37, 1, v37
	s_delay_alu instid0(VALU_DEP_2) | instskip(NEXT) | instid1(VALU_DEP_1)
	v_and_b32_e32 v18, 0x1fffff, v27
	v_add_nc_u32_e32 v27, v18, v38
                                        ; implicit-def: $vgpr18
	s_delay_alu instid0(VALU_DEP_3)
	v_cmpx_ne_u32_e64 v36, v37
	s_xor_b32 s13, exec_lo, s13
; %bb.13895:                            ;   in Loop: Header=BB6_12675 Depth=3
	s_delay_alu instid0(VALU_DEP_2) | instskip(SKIP_2) | instid1(VALU_DEP_2)
	v_cmp_lt_u32_e32 vcc_lo, 0xffffff, v27
	v_sub_nc_u32_e32 v18, v36, v37
	v_cndmask_b32_e64 v36, 0, 1, vcc_lo
	v_add_co_ci_u32_e32 v18, vcc_lo, 0, v18, vcc_lo
	s_delay_alu instid0(VALU_DEP_2)
	v_lshrrev_b32_e32 v27, v36, v27
; %bb.13896:                            ;   in Loop: Header=BB6_12675 Depth=3
	s_and_not1_saveexec_b32 s13, s13
; %bb.13897:                            ;   in Loop: Header=BB6_12675 Depth=3
	s_delay_alu instid0(VALU_DEP_1)
	v_bfe_u32 v18, v27, 23, 1
; %bb.13898:                            ;   in Loop: Header=BB6_12675 Depth=3
	s_or_b32 exec_lo, exec_lo, s13
	v_lshrrev_b32_e32 v27, 21, v27
	s_delay_alu instid0(VALU_DEP_2) | instskip(SKIP_2) | instid1(VALU_DEP_2)
	v_cmp_gt_i32_e32 vcc_lo, 32, v18
	v_lshrrev_b32_e32 v26, 24, v26
	v_min_i32_e32 v36, 31, v18
	v_dual_cndmask_b32 v27, 3, v27 :: v_dual_and_b32 v26, 0x80, v26
	s_delay_alu instid0(VALU_DEP_2) | instskip(NEXT) | instid1(VALU_DEP_2)
	v_lshlrev_b32_e32 v36, 2, v36
	v_or_b32_e32 v18, v18, v27
	s_delay_alu instid0(VALU_DEP_1) | instskip(SKIP_1) | instid1(VALU_DEP_1)
	v_cmp_ne_u32_e32 vcc_lo, 0, v18
	v_and_b32_e32 v37, 3, v27
	v_or3_b32 v26, v36, v26, v37
	s_delay_alu instid0(VALU_DEP_1)
	v_cndmask_b32_e32 v18, 0, v26, vcc_lo
.LBB6_13899:                            ;   in Loop: Header=BB6_12675 Depth=3
	s_or_b32 exec_lo, exec_lo, s30
.LBB6_13900:                            ;   in Loop: Header=BB6_12675 Depth=3
	s_delay_alu instid0(SALU_CYCLE_1) | instskip(SKIP_3) | instid1(VALU_DEP_1)
	s_or_b32 exec_lo, exec_lo, s17
	v_or_b32_e32 v26, v94, v89
	s_mov_b32 s13, 0
	s_mov_b32 s30, exec_lo
                                        ; implicit-def: $sgpr17
	v_and_b32_e32 v36, 0xff, v26
	s_delay_alu instid0(VALU_DEP_1)
	v_cmpx_lt_i16_e32 0x7f, v36
	s_xor_b32 s30, exec_lo, s30
	s_cbranch_execnz .LBB6_14954
; %bb.13901:                            ;   in Loop: Header=BB6_12675 Depth=3
	s_or_saveexec_b32 s30, s30
	v_mov_b32_e32 v27, s17
	s_xor_b32 exec_lo, exec_lo, s30
	s_cbranch_execnz .LBB6_14957
.LBB6_13902:                            ;   in Loop: Header=BB6_12675 Depth=3
	s_or_b32 exec_lo, exec_lo, s30
	s_and_saveexec_b32 s17, s13
	s_cbranch_execz .LBB6_13904
.LBB6_13903:                            ;   in Loop: Header=BB6_12675 Depth=3
	v_bfe_u32 v38, v26, 2, 5
	v_lshlrev_b32_e32 v39, 24, v26
	s_delay_alu instid0(VALU_DEP_2) | instskip(SKIP_1) | instid1(VALU_DEP_1)
	v_cmp_eq_u32_e32 vcc_lo, 0, v38
	v_and_b32_e32 v27, 3, v26
	v_clz_i32_u32_e32 v36, v27
	s_delay_alu instid0(VALU_DEP_1) | instskip(NEXT) | instid1(VALU_DEP_1)
	v_min_u32_e32 v36, 32, v36
	v_subrev_nc_u32_e32 v37, 29, v36
	v_sub_nc_u32_e32 v36, 30, v36
	s_delay_alu instid0(VALU_DEP_1) | instskip(NEXT) | instid1(VALU_DEP_1)
	v_dual_cndmask_b32 v36, v38, v36 :: v_dual_lshlrev_b32 v37, v37, v26
	v_and_b32_e32 v37, 3, v37
	s_delay_alu instid0(VALU_DEP_2) | instskip(NEXT) | instid1(VALU_DEP_2)
	v_lshl_add_u32 v36, v36, 23, 0x37800000
	v_cndmask_b32_e32 v27, v27, v37, vcc_lo
	v_and_b32_e32 v37, 0x80000000, v39
	s_delay_alu instid0(VALU_DEP_2) | instskip(NEXT) | instid1(VALU_DEP_1)
	v_lshlrev_b32_e32 v27, 21, v27
	v_or3_b32 v27, v37, v36, v27
.LBB6_13904:                            ;   in Loop: Header=BB6_12675 Depth=3
	s_or_b32 exec_lo, exec_lo, s17
	v_and_b32_e32 v37, 0xff, v19
	s_mov_b32 s13, 0
	s_mov_b32 s30, exec_lo
                                        ; implicit-def: $sgpr17
	s_delay_alu instid0(VALU_DEP_1)
	v_cmpx_lt_i16_e32 0x7f, v37
	s_xor_b32 s30, exec_lo, s30
	s_cbranch_execnz .LBB6_14958
; %bb.13905:                            ;   in Loop: Header=BB6_12675 Depth=3
	s_or_saveexec_b32 s30, s30
	v_mov_b32_e32 v36, s17
	s_xor_b32 exec_lo, exec_lo, s30
	s_cbranch_execnz .LBB6_14961
.LBB6_13906:                            ;   in Loop: Header=BB6_12675 Depth=3
	s_or_b32 exec_lo, exec_lo, s30
	s_and_saveexec_b32 s17, s13
	s_cbranch_execz .LBB6_13908
.LBB6_13907:                            ;   in Loop: Header=BB6_12675 Depth=3
	v_bfe_u32 v39, v19, 2, 5
	v_lshlrev_b32_e32 v48, 24, v19
	s_delay_alu instid0(VALU_DEP_2) | instskip(SKIP_1) | instid1(VALU_DEP_1)
	v_cmp_eq_u32_e32 vcc_lo, 0, v39
	v_and_b32_e32 v36, 3, v19
	v_clz_i32_u32_e32 v37, v36
	s_delay_alu instid0(VALU_DEP_1) | instskip(NEXT) | instid1(VALU_DEP_1)
	v_min_u32_e32 v37, 32, v37
	v_subrev_nc_u32_e32 v38, 29, v37
	v_sub_nc_u32_e32 v37, 30, v37
	s_delay_alu instid0(VALU_DEP_1) | instskip(NEXT) | instid1(VALU_DEP_1)
	v_dual_cndmask_b32 v37, v39, v37 :: v_dual_lshlrev_b32 v38, v38, v19
	v_and_b32_e32 v38, 3, v38
	s_delay_alu instid0(VALU_DEP_2) | instskip(NEXT) | instid1(VALU_DEP_2)
	v_lshl_add_u32 v37, v37, 23, 0x37800000
	v_cndmask_b32_e32 v36, v36, v38, vcc_lo
	v_and_b32_e32 v38, 0x80000000, v48
	s_delay_alu instid0(VALU_DEP_2) | instskip(NEXT) | instid1(VALU_DEP_1)
	v_lshlrev_b32_e32 v36, 21, v36
	v_or3_b32 v36, v38, v37, v36
.LBB6_13908:                            ;   in Loop: Header=BB6_12675 Depth=3
	s_or_b32 exec_lo, exec_lo, s17
	s_delay_alu instid0(VALU_DEP_1) | instskip(SKIP_2) | instid1(VALU_DEP_2)
	v_add_f32_e32 v27, v27, v36
	v_mov_b32_e32 v89, 0x80
	s_mov_b32 s17, exec_lo
	v_and_b32_e32 v36, 0x7f800000, v27
	s_delay_alu instid0(VALU_DEP_1)
	v_cmpx_ne_u32_e32 0x7f800000, v36
	s_cbranch_execz .LBB6_13916
; %bb.13909:                            ;   in Loop: Header=BB6_12675 Depth=3
	v_mov_b32_e32 v89, 0
	s_mov_b32 s30, exec_lo
	v_cmpx_ne_u32_e32 0, v27
	s_cbranch_execz .LBB6_13915
; %bb.13910:                            ;   in Loop: Header=BB6_12675 Depth=3
	v_bfe_u32 v36, v27, 23, 8
	s_delay_alu instid0(VALU_DEP_1) | instskip(SKIP_1) | instid1(VALU_DEP_2)
	v_sub_nc_u32_e32 v38, 0x70, v36
	v_cmp_gt_u32_e32 vcc_lo, 0x71, v36
	v_dual_cndmask_b32 v38, 0, v38 :: v_dual_and_b32 v37, 0x7fffff, v27
	s_delay_alu instid0(VALU_DEP_1) | instskip(SKIP_2) | instid1(VALU_DEP_4)
	v_or_b32_e32 v39, 0x800000, v37
	v_cmp_eq_u32_e32 vcc_lo, 0, v36
	v_add_nc_u32_e32 v36, 0xffffff91, v36
	v_cndmask_b32_e64 v38, v38, 0x6f, vcc_lo
	s_delay_alu instid0(VALU_DEP_4) | instskip(NEXT) | instid1(VALU_DEP_3)
	v_cndmask_b32_e32 v37, v39, v37, vcc_lo
	v_cndmask_b32_e64 v36, v36, 0xffffff92, vcc_lo
	s_delay_alu instid0(VALU_DEP_3) | instskip(NEXT) | instid1(VALU_DEP_3)
	v_lshl_add_u32 v39, 0x200000, v38, -1
	v_lshrrev_b32_e32 v48, v38, v37
	v_lshlrev_b32_e64 v50, v38, 0x100000
	s_delay_alu instid0(VALU_DEP_4) | instskip(NEXT) | instid1(VALU_DEP_4)
	v_add_nc_u32_e32 v38, v38, v36
	v_and_b32_e32 v37, v39, v37
	s_delay_alu instid0(VALU_DEP_4) | instskip(NEXT) | instid1(VALU_DEP_2)
	v_bfe_u32 v49, v48, 21, 1
	v_cmp_eq_u32_e64 s13, v37, v50
	s_delay_alu instid0(VALU_DEP_2) | instskip(NEXT) | instid1(VALU_DEP_1)
	v_add_nc_u32_e32 v39, -1, v49
	v_cndmask_b32_e64 v37, 0, v39, s13
	v_lshrrev_b32_e32 v39, 23, v48
	s_mov_b32 s13, exec_lo
	s_delay_alu instid0(VALU_DEP_2) | instskip(NEXT) | instid1(VALU_DEP_2)
	v_add_nc_u32_e32 v37, v37, v48
	v_xor_b32_e32 v39, 1, v39
	s_delay_alu instid0(VALU_DEP_2) | instskip(NEXT) | instid1(VALU_DEP_1)
	v_and_b32_e32 v36, 0x1fffff, v37
	v_add_nc_u32_e32 v37, v36, v48
                                        ; implicit-def: $vgpr36
	s_delay_alu instid0(VALU_DEP_3)
	v_cmpx_ne_u32_e64 v38, v39
	s_xor_b32 s13, exec_lo, s13
; %bb.13911:                            ;   in Loop: Header=BB6_12675 Depth=3
	s_delay_alu instid0(VALU_DEP_2) | instskip(SKIP_2) | instid1(VALU_DEP_2)
	v_cmp_lt_u32_e32 vcc_lo, 0xffffff, v37
	v_sub_nc_u32_e32 v36, v38, v39
	v_cndmask_b32_e64 v38, 0, 1, vcc_lo
	v_add_co_ci_u32_e32 v36, vcc_lo, 0, v36, vcc_lo
	s_delay_alu instid0(VALU_DEP_2)
	v_lshrrev_b32_e32 v37, v38, v37
; %bb.13912:                            ;   in Loop: Header=BB6_12675 Depth=3
	s_and_not1_saveexec_b32 s13, s13
; %bb.13913:                            ;   in Loop: Header=BB6_12675 Depth=3
	s_delay_alu instid0(VALU_DEP_1)
	v_bfe_u32 v36, v37, 23, 1
; %bb.13914:                            ;   in Loop: Header=BB6_12675 Depth=3
	s_or_b32 exec_lo, exec_lo, s13
	v_lshrrev_b32_e32 v37, 21, v37
	s_delay_alu instid0(VALU_DEP_2) | instskip(SKIP_2) | instid1(VALU_DEP_4)
	v_cmp_gt_i32_e32 vcc_lo, 32, v36
	v_lshrrev_b32_e32 v27, 24, v27
	v_min_i32_e32 v38, 31, v36
	v_cndmask_b32_e32 v37, 3, v37, vcc_lo
	s_delay_alu instid0(VALU_DEP_3) | instskip(NEXT) | instid1(VALU_DEP_3)
	v_and_b32_e32 v27, 0x80, v27
	v_lshlrev_b32_e32 v38, 2, v38
	s_delay_alu instid0(VALU_DEP_3) | instskip(SKIP_1) | instid1(VALU_DEP_2)
	v_and_b32_e32 v39, 3, v37
	v_or_b32_e32 v36, v36, v37
	v_or3_b32 v27, v38, v27, v39
	s_delay_alu instid0(VALU_DEP_2) | instskip(NEXT) | instid1(VALU_DEP_2)
	v_cmp_ne_u32_e32 vcc_lo, 0, v36
	v_cndmask_b32_e32 v89, 0, v27, vcc_lo
.LBB6_13915:                            ;   in Loop: Header=BB6_12675 Depth=3
	s_or_b32 exec_lo, exec_lo, s30
.LBB6_13916:                            ;   in Loop: Header=BB6_12675 Depth=3
	s_delay_alu instid0(SALU_CYCLE_1) | instskip(SKIP_3) | instid1(VALU_DEP_1)
	s_or_b32 exec_lo, exec_lo, s17
	v_lshrrev_b16 v36, 8, v26
	s_mov_b32 s13, 0
	s_mov_b32 s30, exec_lo
                                        ; implicit-def: $sgpr17
	v_cmpx_lt_i16_e32 0x7f, v36
	s_xor_b32 s30, exec_lo, s30
	s_cbranch_execnz .LBB6_14962
; %bb.13917:                            ;   in Loop: Header=BB6_12675 Depth=3
	s_or_saveexec_b32 s30, s30
	v_mov_b32_e32 v27, s17
	s_xor_b32 exec_lo, exec_lo, s30
	s_cbranch_execnz .LBB6_14965
.LBB6_13918:                            ;   in Loop: Header=BB6_12675 Depth=3
	s_or_b32 exec_lo, exec_lo, s30
	s_and_saveexec_b32 s17, s13
	s_cbranch_execz .LBB6_13920
.LBB6_13919:                            ;   in Loop: Header=BB6_12675 Depth=3
	v_and_b32_e32 v27, 0xffff, v36
	s_delay_alu instid0(VALU_DEP_1) | instskip(NEXT) | instid1(VALU_DEP_1)
	v_and_b32_e32 v37, 3, v27
	v_clz_i32_u32_e32 v38, v37
	s_delay_alu instid0(VALU_DEP_1) | instskip(NEXT) | instid1(VALU_DEP_1)
	v_min_u32_e32 v38, 32, v38
	v_subrev_nc_u32_e32 v39, 29, v38
	v_sub_nc_u32_e32 v38, 30, v38
	s_delay_alu instid0(VALU_DEP_2) | instskip(SKIP_1) | instid1(VALU_DEP_2)
	v_lshlrev_b32_e32 v39, v39, v27
	v_bfe_u32 v27, v27, 2, 5
	v_and_b32_e32 v39, 3, v39
	s_delay_alu instid0(VALU_DEP_2) | instskip(SKIP_1) | instid1(VALU_DEP_1)
	v_cmp_eq_u32_e32 vcc_lo, 0, v27
	v_dual_cndmask_b32 v27, v27, v38 :: v_dual_lshlrev_b32 v36, 24, v36
	v_dual_cndmask_b32 v37, v37, v39 :: v_dual_and_b32 v36, 0x80000000, v36
	s_delay_alu instid0(VALU_DEP_2) | instskip(NEXT) | instid1(VALU_DEP_2)
	v_lshl_add_u32 v27, v27, 23, 0x37800000
	v_lshlrev_b32_e32 v37, 21, v37
	s_delay_alu instid0(VALU_DEP_1)
	v_or3_b32 v27, v36, v27, v37
.LBB6_13920:                            ;   in Loop: Header=BB6_12675 Depth=3
	s_or_b32 exec_lo, exec_lo, s17
	v_lshrrev_b16 v36, 8, v19
	s_mov_b32 s13, 0
	s_mov_b32 s30, exec_lo
                                        ; implicit-def: $sgpr17
	s_delay_alu instid0(VALU_DEP_1)
	v_cmpx_lt_i16_e32 0x7f, v36
	s_xor_b32 s30, exec_lo, s30
	s_cbranch_execnz .LBB6_14966
; %bb.13921:                            ;   in Loop: Header=BB6_12675 Depth=3
	s_or_saveexec_b32 s30, s30
	v_mov_b32_e32 v37, s17
	s_xor_b32 exec_lo, exec_lo, s30
	s_cbranch_execnz .LBB6_14969
.LBB6_13922:                            ;   in Loop: Header=BB6_12675 Depth=3
	s_or_b32 exec_lo, exec_lo, s30
	s_and_saveexec_b32 s17, s13
	s_cbranch_execz .LBB6_13924
.LBB6_13923:                            ;   in Loop: Header=BB6_12675 Depth=3
	v_and_b32_e32 v37, 0xffff, v36
	v_lshlrev_b32_e32 v36, 24, v36
	s_delay_alu instid0(VALU_DEP_2) | instskip(NEXT) | instid1(VALU_DEP_2)
	v_and_b32_e32 v38, 3, v37
	v_and_b32_e32 v36, 0x80000000, v36
	s_delay_alu instid0(VALU_DEP_2) | instskip(NEXT) | instid1(VALU_DEP_1)
	v_clz_i32_u32_e32 v39, v38
	v_min_u32_e32 v39, 32, v39
	s_delay_alu instid0(VALU_DEP_1) | instskip(SKIP_1) | instid1(VALU_DEP_2)
	v_subrev_nc_u32_e32 v48, 29, v39
	v_sub_nc_u32_e32 v39, 30, v39
	v_lshlrev_b32_e32 v48, v48, v37
	v_bfe_u32 v37, v37, 2, 5
	s_delay_alu instid0(VALU_DEP_2) | instskip(NEXT) | instid1(VALU_DEP_2)
	v_and_b32_e32 v48, 3, v48
	v_cmp_eq_u32_e32 vcc_lo, 0, v37
	s_delay_alu instid0(VALU_DEP_2) | instskip(NEXT) | instid1(VALU_DEP_1)
	v_dual_cndmask_b32 v37, v37, v39 :: v_dual_cndmask_b32 v38, v38, v48
	v_lshl_add_u32 v37, v37, 23, 0x37800000
	s_delay_alu instid0(VALU_DEP_2) | instskip(NEXT) | instid1(VALU_DEP_1)
	v_lshlrev_b32_e32 v38, 21, v38
	v_or3_b32 v37, v36, v37, v38
.LBB6_13924:                            ;   in Loop: Header=BB6_12675 Depth=3
	s_or_b32 exec_lo, exec_lo, s17
	s_delay_alu instid0(VALU_DEP_1) | instskip(SKIP_1) | instid1(VALU_DEP_1)
	v_dual_add_f32 v27, v27, v37 :: v_dual_mov_b32 v90, 0x8000
	s_mov_b32 s17, exec_lo
	v_and_b32_e32 v36, 0x7f800000, v27
	s_delay_alu instid0(VALU_DEP_1)
	v_cmpx_ne_u32_e32 0x7f800000, v36
	s_cbranch_execz .LBB6_13932
; %bb.13925:                            ;   in Loop: Header=BB6_12675 Depth=3
	v_mov_b32_e32 v90, 0
	s_mov_b32 s30, exec_lo
	v_cmpx_ne_u32_e32 0, v27
	s_cbranch_execz .LBB6_13931
; %bb.13926:                            ;   in Loop: Header=BB6_12675 Depth=3
	v_bfe_u32 v36, v27, 23, 8
	s_delay_alu instid0(VALU_DEP_1) | instskip(SKIP_1) | instid1(VALU_DEP_2)
	v_sub_nc_u32_e32 v38, 0x70, v36
	v_cmp_gt_u32_e32 vcc_lo, 0x71, v36
	v_dual_cndmask_b32 v38, 0, v38 :: v_dual_and_b32 v37, 0x7fffff, v27
	s_delay_alu instid0(VALU_DEP_1) | instskip(SKIP_2) | instid1(VALU_DEP_4)
	v_or_b32_e32 v39, 0x800000, v37
	v_cmp_eq_u32_e32 vcc_lo, 0, v36
	v_add_nc_u32_e32 v36, 0xffffff91, v36
	v_cndmask_b32_e64 v38, v38, 0x6f, vcc_lo
	s_delay_alu instid0(VALU_DEP_4) | instskip(NEXT) | instid1(VALU_DEP_3)
	v_cndmask_b32_e32 v37, v39, v37, vcc_lo
	v_cndmask_b32_e64 v36, v36, 0xffffff92, vcc_lo
	s_delay_alu instid0(VALU_DEP_3) | instskip(NEXT) | instid1(VALU_DEP_3)
	v_lshl_add_u32 v39, 0x200000, v38, -1
	v_lshrrev_b32_e32 v48, v38, v37
	v_lshlrev_b32_e64 v50, v38, 0x100000
	s_delay_alu instid0(VALU_DEP_4) | instskip(NEXT) | instid1(VALU_DEP_4)
	v_add_nc_u32_e32 v38, v38, v36
	v_and_b32_e32 v37, v39, v37
	s_delay_alu instid0(VALU_DEP_4) | instskip(NEXT) | instid1(VALU_DEP_2)
	v_bfe_u32 v49, v48, 21, 1
	v_cmp_eq_u32_e64 s13, v37, v50
	s_delay_alu instid0(VALU_DEP_2) | instskip(NEXT) | instid1(VALU_DEP_1)
	v_add_nc_u32_e32 v39, -1, v49
	v_cndmask_b32_e64 v37, 0, v39, s13
	v_lshrrev_b32_e32 v39, 23, v48
	s_mov_b32 s13, exec_lo
	s_delay_alu instid0(VALU_DEP_2) | instskip(NEXT) | instid1(VALU_DEP_2)
	v_add_nc_u32_e32 v37, v37, v48
	v_xor_b32_e32 v39, 1, v39
	s_delay_alu instid0(VALU_DEP_2) | instskip(NEXT) | instid1(VALU_DEP_1)
	v_and_b32_e32 v36, 0x1fffff, v37
	v_add_nc_u32_e32 v37, v36, v48
                                        ; implicit-def: $vgpr36
	s_delay_alu instid0(VALU_DEP_3)
	v_cmpx_ne_u32_e64 v38, v39
	s_xor_b32 s13, exec_lo, s13
; %bb.13927:                            ;   in Loop: Header=BB6_12675 Depth=3
	s_delay_alu instid0(VALU_DEP_2) | instskip(SKIP_2) | instid1(VALU_DEP_2)
	v_cmp_lt_u32_e32 vcc_lo, 0xffffff, v37
	v_sub_nc_u32_e32 v36, v38, v39
	v_cndmask_b32_e64 v38, 0, 1, vcc_lo
	v_add_co_ci_u32_e32 v36, vcc_lo, 0, v36, vcc_lo
	s_delay_alu instid0(VALU_DEP_2)
	v_lshrrev_b32_e32 v37, v38, v37
; %bb.13928:                            ;   in Loop: Header=BB6_12675 Depth=3
	s_and_not1_saveexec_b32 s13, s13
; %bb.13929:                            ;   in Loop: Header=BB6_12675 Depth=3
	s_delay_alu instid0(VALU_DEP_1)
	v_bfe_u32 v36, v37, 23, 1
; %bb.13930:                            ;   in Loop: Header=BB6_12675 Depth=3
	s_or_b32 exec_lo, exec_lo, s13
	v_lshrrev_b32_e32 v37, 21, v37
	s_delay_alu instid0(VALU_DEP_2) | instskip(SKIP_2) | instid1(VALU_DEP_2)
	v_cmp_gt_i32_e32 vcc_lo, 32, v36
	v_min_i32_e32 v38, 31, v36
	v_lshrrev_b32_e32 v27, 24, v27
	v_dual_cndmask_b32 v37, 3, v37 :: v_dual_lshlrev_b32 v38, 2, v38
	s_delay_alu instid0(VALU_DEP_2) | instskip(NEXT) | instid1(VALU_DEP_2)
	v_and_b32_e32 v27, 0x80, v27
	v_or_b32_e32 v36, v36, v37
	s_delay_alu instid0(VALU_DEP_3) | instskip(NEXT) | instid1(VALU_DEP_2)
	v_and_b32_e32 v38, 0xfc, v38
	v_cmp_ne_u32_e32 vcc_lo, 0, v36
	v_and_b32_e32 v39, 3, v37
	s_delay_alu instid0(VALU_DEP_1) | instskip(NEXT) | instid1(VALU_DEP_1)
	v_or3_b32 v27, v27, v38, v39
	v_lshlrev_b32_e32 v27, 8, v27
	s_delay_alu instid0(VALU_DEP_1)
	v_cndmask_b32_e32 v90, 0, v27, vcc_lo
.LBB6_13931:                            ;   in Loop: Header=BB6_12675 Depth=3
	s_or_b32 exec_lo, exec_lo, s30
.LBB6_13932:                            ;   in Loop: Header=BB6_12675 Depth=3
	s_delay_alu instid0(SALU_CYCLE_1) | instskip(SKIP_3) | instid1(VALU_DEP_1)
	s_or_b32 exec_lo, exec_lo, s17
	v_or_b32_e32 v36, v91, v88
	s_mov_b32 s13, 0
	s_mov_b32 s30, exec_lo
                                        ; implicit-def: $sgpr17
	v_and_b32_e32 v37, 0xff, v36
	s_delay_alu instid0(VALU_DEP_1)
	v_cmpx_lt_i16_e32 0x7f, v37
	s_xor_b32 s30, exec_lo, s30
	s_cbranch_execnz .LBB6_14970
; %bb.13933:                            ;   in Loop: Header=BB6_12675 Depth=3
	s_or_saveexec_b32 s30, s30
	v_mov_b32_e32 v27, s17
	s_xor_b32 exec_lo, exec_lo, s30
	s_cbranch_execnz .LBB6_14973
.LBB6_13934:                            ;   in Loop: Header=BB6_12675 Depth=3
	s_or_b32 exec_lo, exec_lo, s30
	v_lshl_or_b32 v26, v36, 16, v26
	s_and_saveexec_b32 s17, s13
	s_cbranch_execz .LBB6_13936
.LBB6_13935:                            ;   in Loop: Header=BB6_12675 Depth=3
	s_delay_alu instid0(VALU_DEP_1) | instskip(SKIP_2) | instid1(VALU_DEP_3)
	v_bfe_u32 v27, v26, 16, 2
	v_lshrrev_b32_e32 v37, 16, v26
	v_lshlrev_b32_e32 v39, 8, v26
	v_clz_i32_u32_e32 v36, v27
	s_delay_alu instid0(VALU_DEP_1) | instskip(NEXT) | instid1(VALU_DEP_1)
	v_min_u32_e32 v36, 32, v36
	v_subrev_nc_u32_e32 v38, 29, v36
	v_sub_nc_u32_e32 v36, 30, v36
	s_delay_alu instid0(VALU_DEP_2) | instskip(SKIP_1) | instid1(VALU_DEP_1)
	v_lshlrev_b32_e32 v37, v38, v37
	v_bfe_u32 v38, v26, 18, 5
	v_cmp_eq_u32_e32 vcc_lo, 0, v38
	s_delay_alu instid0(VALU_DEP_3) | instskip(NEXT) | instid1(VALU_DEP_1)
	v_dual_cndmask_b32 v36, v38, v36 :: v_dual_and_b32 v37, 3, v37
	v_cndmask_b32_e32 v27, v27, v37, vcc_lo
	v_and_b32_e32 v37, 0x80000000, v39
	s_delay_alu instid0(VALU_DEP_3) | instskip(NEXT) | instid1(VALU_DEP_3)
	v_lshl_add_u32 v36, v36, 23, 0x37800000
	v_lshlrev_b32_e32 v27, 21, v27
	s_delay_alu instid0(VALU_DEP_1)
	v_or3_b32 v27, v37, v36, v27
.LBB6_13936:                            ;   in Loop: Header=BB6_12675 Depth=3
	s_or_b32 exec_lo, exec_lo, s17
	v_lshrrev_b32_e32 v36, 16, v19
	s_mov_b32 s13, 0
	s_mov_b32 s30, exec_lo
                                        ; implicit-def: $sgpr17
	s_delay_alu instid0(VALU_DEP_1) | instskip(NEXT) | instid1(VALU_DEP_1)
	v_and_b32_e32 v38, 0xff, v36
	v_cmpx_lt_i16_e32 0x7f, v38
	s_xor_b32 s30, exec_lo, s30
	s_cbranch_execnz .LBB6_14974
; %bb.13937:                            ;   in Loop: Header=BB6_12675 Depth=3
	s_or_saveexec_b32 s30, s30
	v_mov_b32_e32 v37, s17
	s_xor_b32 exec_lo, exec_lo, s30
	s_cbranch_execnz .LBB6_14977
.LBB6_13938:                            ;   in Loop: Header=BB6_12675 Depth=3
	s_or_b32 exec_lo, exec_lo, s30
	s_and_saveexec_b32 s17, s13
	s_cbranch_execz .LBB6_13940
.LBB6_13939:                            ;   in Loop: Header=BB6_12675 Depth=3
	v_bfe_u32 v37, v19, 16, 2
	v_lshlrev_b32_e32 v48, 8, v19
	s_delay_alu instid0(VALU_DEP_2) | instskip(NEXT) | instid1(VALU_DEP_1)
	v_clz_i32_u32_e32 v38, v37
	v_min_u32_e32 v38, 32, v38
	s_delay_alu instid0(VALU_DEP_1) | instskip(SKIP_1) | instid1(VALU_DEP_2)
	v_subrev_nc_u32_e32 v39, 29, v38
	v_sub_nc_u32_e32 v38, 30, v38
	v_lshlrev_b32_e32 v36, v39, v36
	v_bfe_u32 v39, v19, 18, 5
	s_delay_alu instid0(VALU_DEP_2) | instskip(NEXT) | instid1(VALU_DEP_2)
	v_and_b32_e32 v36, 3, v36
	v_cmp_eq_u32_e32 vcc_lo, 0, v39
	v_cndmask_b32_e32 v38, v39, v38, vcc_lo
	s_delay_alu instid0(VALU_DEP_3) | instskip(SKIP_1) | instid1(VALU_DEP_3)
	v_cndmask_b32_e32 v36, v37, v36, vcc_lo
	v_and_b32_e32 v37, 0x80000000, v48
	v_lshl_add_u32 v38, v38, 23, 0x37800000
	s_delay_alu instid0(VALU_DEP_3) | instskip(NEXT) | instid1(VALU_DEP_1)
	v_lshlrev_b32_e32 v36, 21, v36
	v_or3_b32 v37, v37, v38, v36
.LBB6_13940:                            ;   in Loop: Header=BB6_12675 Depth=3
	s_or_b32 exec_lo, exec_lo, s17
	s_delay_alu instid0(VALU_DEP_1) | instskip(SKIP_1) | instid1(VALU_DEP_1)
	v_dual_add_f32 v27, v27, v37 :: v_dual_mov_b32 v88, 0x80
	s_mov_b32 s17, exec_lo
	v_and_b32_e32 v36, 0x7f800000, v27
	s_delay_alu instid0(VALU_DEP_1)
	v_cmpx_ne_u32_e32 0x7f800000, v36
	s_cbranch_execz .LBB6_13948
; %bb.13941:                            ;   in Loop: Header=BB6_12675 Depth=3
	v_mov_b32_e32 v88, 0
	s_mov_b32 s30, exec_lo
	v_cmpx_ne_u32_e32 0, v27
	s_cbranch_execz .LBB6_13947
; %bb.13942:                            ;   in Loop: Header=BB6_12675 Depth=3
	v_bfe_u32 v36, v27, 23, 8
	s_delay_alu instid0(VALU_DEP_1) | instskip(SKIP_1) | instid1(VALU_DEP_2)
	v_sub_nc_u32_e32 v38, 0x70, v36
	v_cmp_gt_u32_e32 vcc_lo, 0x71, v36
	v_dual_cndmask_b32 v38, 0, v38 :: v_dual_and_b32 v37, 0x7fffff, v27
	s_delay_alu instid0(VALU_DEP_1) | instskip(SKIP_2) | instid1(VALU_DEP_4)
	v_or_b32_e32 v39, 0x800000, v37
	v_cmp_eq_u32_e32 vcc_lo, 0, v36
	v_add_nc_u32_e32 v36, 0xffffff91, v36
	v_cndmask_b32_e64 v38, v38, 0x6f, vcc_lo
	s_delay_alu instid0(VALU_DEP_4) | instskip(NEXT) | instid1(VALU_DEP_3)
	v_cndmask_b32_e32 v37, v39, v37, vcc_lo
	v_cndmask_b32_e64 v36, v36, 0xffffff92, vcc_lo
	s_delay_alu instid0(VALU_DEP_3) | instskip(NEXT) | instid1(VALU_DEP_3)
	v_lshl_add_u32 v39, 0x200000, v38, -1
	v_lshrrev_b32_e32 v48, v38, v37
	v_lshlrev_b32_e64 v50, v38, 0x100000
	s_delay_alu instid0(VALU_DEP_4) | instskip(NEXT) | instid1(VALU_DEP_4)
	v_add_nc_u32_e32 v38, v38, v36
	v_and_b32_e32 v37, v39, v37
	s_delay_alu instid0(VALU_DEP_4) | instskip(NEXT) | instid1(VALU_DEP_2)
	v_bfe_u32 v49, v48, 21, 1
	v_cmp_eq_u32_e64 s13, v37, v50
	s_delay_alu instid0(VALU_DEP_2) | instskip(NEXT) | instid1(VALU_DEP_1)
	v_add_nc_u32_e32 v39, -1, v49
	v_cndmask_b32_e64 v37, 0, v39, s13
	v_lshrrev_b32_e32 v39, 23, v48
	s_mov_b32 s13, exec_lo
	s_delay_alu instid0(VALU_DEP_2) | instskip(NEXT) | instid1(VALU_DEP_2)
	v_add_nc_u32_e32 v37, v37, v48
	v_xor_b32_e32 v39, 1, v39
	s_delay_alu instid0(VALU_DEP_2) | instskip(NEXT) | instid1(VALU_DEP_1)
	v_and_b32_e32 v36, 0x1fffff, v37
	v_add_nc_u32_e32 v37, v36, v48
                                        ; implicit-def: $vgpr36
	s_delay_alu instid0(VALU_DEP_3)
	v_cmpx_ne_u32_e64 v38, v39
	s_xor_b32 s13, exec_lo, s13
; %bb.13943:                            ;   in Loop: Header=BB6_12675 Depth=3
	s_delay_alu instid0(VALU_DEP_2) | instskip(SKIP_2) | instid1(VALU_DEP_2)
	v_cmp_lt_u32_e32 vcc_lo, 0xffffff, v37
	v_sub_nc_u32_e32 v36, v38, v39
	v_cndmask_b32_e64 v38, 0, 1, vcc_lo
	v_add_co_ci_u32_e32 v36, vcc_lo, 0, v36, vcc_lo
	s_delay_alu instid0(VALU_DEP_2)
	v_lshrrev_b32_e32 v37, v38, v37
; %bb.13944:                            ;   in Loop: Header=BB6_12675 Depth=3
	s_and_not1_saveexec_b32 s13, s13
; %bb.13945:                            ;   in Loop: Header=BB6_12675 Depth=3
	s_delay_alu instid0(VALU_DEP_1)
	v_bfe_u32 v36, v37, 23, 1
; %bb.13946:                            ;   in Loop: Header=BB6_12675 Depth=3
	s_or_b32 exec_lo, exec_lo, s13
	v_lshrrev_b32_e32 v37, 21, v37
	s_delay_alu instid0(VALU_DEP_2) | instskip(SKIP_2) | instid1(VALU_DEP_2)
	v_cmp_gt_i32_e32 vcc_lo, 32, v36
	v_min_i32_e32 v38, 31, v36
	v_lshrrev_b32_e32 v27, 24, v27
	v_dual_cndmask_b32 v37, 3, v37 :: v_dual_lshlrev_b32 v38, 2, v38
	s_delay_alu instid0(VALU_DEP_2) | instskip(NEXT) | instid1(VALU_DEP_2)
	v_and_b32_e32 v27, 0x80, v27
	v_or_b32_e32 v36, v36, v37
	s_delay_alu instid0(VALU_DEP_3) | instskip(NEXT) | instid1(VALU_DEP_2)
	v_and_b32_e32 v38, 0xfc, v38
	v_cmp_ne_u32_e32 vcc_lo, 0, v36
	v_and_b32_e32 v39, 3, v37
	s_delay_alu instid0(VALU_DEP_1) | instskip(NEXT) | instid1(VALU_DEP_1)
	v_or3_b32 v27, v38, v27, v39
	v_cndmask_b32_e32 v88, 0, v27, vcc_lo
.LBB6_13947:                            ;   in Loop: Header=BB6_12675 Depth=3
	s_or_b32 exec_lo, exec_lo, s30
.LBB6_13948:                            ;   in Loop: Header=BB6_12675 Depth=3
	s_delay_alu instid0(SALU_CYCLE_1) | instskip(SKIP_3) | instid1(VALU_DEP_1)
	s_or_b32 exec_lo, exec_lo, s17
	v_lshrrev_b32_e32 v36, 24, v26
	s_mov_b32 s13, 0
	s_mov_b32 s30, exec_lo
                                        ; implicit-def: $sgpr17
	v_cmpx_lt_i16_e32 0x7f, v36
	s_xor_b32 s30, exec_lo, s30
	s_cbranch_execnz .LBB6_14978
; %bb.13949:                            ;   in Loop: Header=BB6_12675 Depth=3
	s_or_saveexec_b32 s30, s30
	v_mov_b32_e32 v27, s17
	s_xor_b32 exec_lo, exec_lo, s30
	s_cbranch_execnz .LBB6_14981
.LBB6_13950:                            ;   in Loop: Header=BB6_12675 Depth=3
	s_or_b32 exec_lo, exec_lo, s30
	s_and_saveexec_b32 s17, s13
	s_cbranch_execz .LBB6_13952
.LBB6_13951:                            ;   in Loop: Header=BB6_12675 Depth=3
	v_bfe_u32 v27, v26, 24, 2
	s_delay_alu instid0(VALU_DEP_1) | instskip(NEXT) | instid1(VALU_DEP_1)
	v_clz_i32_u32_e32 v37, v27
	v_min_u32_e32 v37, 32, v37
	s_delay_alu instid0(VALU_DEP_1) | instskip(SKIP_1) | instid1(VALU_DEP_2)
	v_subrev_nc_u32_e32 v38, 29, v37
	v_sub_nc_u32_e32 v37, 30, v37
	v_lshlrev_b32_e32 v36, v38, v36
	v_bfe_u32 v38, v26, 26, 5
	v_and_b32_e32 v26, 0x80000000, v26
	s_delay_alu instid0(VALU_DEP_2) | instskip(NEXT) | instid1(VALU_DEP_4)
	v_cmp_eq_u32_e32 vcc_lo, 0, v38
	v_dual_cndmask_b32 v37, v38, v37 :: v_dual_and_b32 v36, 3, v36
	s_delay_alu instid0(VALU_DEP_1) | instskip(NEXT) | instid1(VALU_DEP_2)
	v_cndmask_b32_e32 v27, v27, v36, vcc_lo
	v_lshl_add_u32 v36, v37, 23, 0x37800000
	s_delay_alu instid0(VALU_DEP_2) | instskip(NEXT) | instid1(VALU_DEP_1)
	v_lshlrev_b32_e32 v27, 21, v27
	v_or3_b32 v27, v26, v36, v27
.LBB6_13952:                            ;   in Loop: Header=BB6_12675 Depth=3
	s_or_b32 exec_lo, exec_lo, s17
	v_lshrrev_b32_e32 v26, 24, v19
	s_mov_b32 s13, 0
	s_mov_b32 s30, exec_lo
                                        ; implicit-def: $sgpr17
	s_delay_alu instid0(VALU_DEP_1)
	v_cmpx_lt_i16_e32 0x7f, v26
	s_xor_b32 s30, exec_lo, s30
	s_cbranch_execnz .LBB6_14982
; %bb.13953:                            ;   in Loop: Header=BB6_12675 Depth=3
	s_or_saveexec_b32 s30, s30
	v_mov_b32_e32 v36, s17
	s_xor_b32 exec_lo, exec_lo, s30
	s_cbranch_execnz .LBB6_14985
.LBB6_13954:                            ;   in Loop: Header=BB6_12675 Depth=3
	s_or_b32 exec_lo, exec_lo, s30
	s_and_saveexec_b32 s17, s13
	s_cbranch_execz .LBB6_13956
.LBB6_13955:                            ;   in Loop: Header=BB6_12675 Depth=3
	v_bfe_u32 v36, v19, 24, 2
	s_delay_alu instid0(VALU_DEP_1) | instskip(NEXT) | instid1(VALU_DEP_1)
	v_clz_i32_u32_e32 v37, v36
	v_min_u32_e32 v37, 32, v37
	s_delay_alu instid0(VALU_DEP_1) | instskip(SKIP_1) | instid1(VALU_DEP_2)
	v_subrev_nc_u32_e32 v38, 29, v37
	v_sub_nc_u32_e32 v37, 30, v37
	v_lshlrev_b32_e32 v26, v38, v26
	v_bfe_u32 v38, v19, 26, 5
	v_and_b32_e32 v19, 0x80000000, v19
	s_delay_alu instid0(VALU_DEP_2) | instskip(NEXT) | instid1(VALU_DEP_4)
	v_cmp_eq_u32_e32 vcc_lo, 0, v38
	v_dual_cndmask_b32 v37, v38, v37 :: v_dual_and_b32 v26, 3, v26
	s_delay_alu instid0(VALU_DEP_1) | instskip(NEXT) | instid1(VALU_DEP_2)
	v_cndmask_b32_e32 v26, v36, v26, vcc_lo
	v_lshl_add_u32 v36, v37, 23, 0x37800000
	s_delay_alu instid0(VALU_DEP_2) | instskip(NEXT) | instid1(VALU_DEP_1)
	v_lshlrev_b32_e32 v26, 21, v26
	v_or3_b32 v36, v19, v36, v26
.LBB6_13956:                            ;   in Loop: Header=BB6_12675 Depth=3
	s_or_b32 exec_lo, exec_lo, s17
	s_delay_alu instid0(VALU_DEP_1) | instskip(NEXT) | instid1(VALU_DEP_1)
	v_add_f32_e32 v26, v27, v36
	v_and_b32_e32 v19, 0x7f800000, v26
	s_delay_alu instid0(VALU_DEP_1)
	v_cmp_ne_u32_e32 vcc_lo, 0x7f800000, v19
	v_mov_b32_e32 v19, 0x8000
	s_and_saveexec_b32 s17, vcc_lo
	s_cbranch_execz .LBB6_13964
; %bb.13957:                            ;   in Loop: Header=BB6_12675 Depth=3
	v_mov_b32_e32 v19, 0
	s_mov_b32 s30, exec_lo
	v_cmpx_ne_u32_e32 0, v26
	s_cbranch_execz .LBB6_13963
; %bb.13958:                            ;   in Loop: Header=BB6_12675 Depth=3
	v_bfe_u32 v19, v26, 23, 8
	s_delay_alu instid0(VALU_DEP_1) | instskip(SKIP_1) | instid1(VALU_DEP_2)
	v_sub_nc_u32_e32 v36, 0x70, v19
	v_cmp_gt_u32_e32 vcc_lo, 0x71, v19
	v_dual_cndmask_b32 v36, 0, v36 :: v_dual_and_b32 v27, 0x7fffff, v26
	s_delay_alu instid0(VALU_DEP_1) | instskip(SKIP_2) | instid1(VALU_DEP_4)
	v_or_b32_e32 v37, 0x800000, v27
	v_cmp_eq_u32_e32 vcc_lo, 0, v19
	v_add_nc_u32_e32 v19, 0xffffff91, v19
	v_cndmask_b32_e64 v36, v36, 0x6f, vcc_lo
	s_delay_alu instid0(VALU_DEP_4) | instskip(NEXT) | instid1(VALU_DEP_3)
	v_cndmask_b32_e32 v27, v37, v27, vcc_lo
	v_cndmask_b32_e64 v19, v19, 0xffffff92, vcc_lo
	s_delay_alu instid0(VALU_DEP_3) | instskip(NEXT) | instid1(VALU_DEP_3)
	v_lshl_add_u32 v37, 0x200000, v36, -1
	v_lshrrev_b32_e32 v38, v36, v27
	v_lshlrev_b32_e64 v48, v36, 0x100000
	s_delay_alu instid0(VALU_DEP_4) | instskip(NEXT) | instid1(VALU_DEP_4)
	v_add_nc_u32_e32 v36, v36, v19
	v_and_b32_e32 v27, v37, v27
	s_delay_alu instid0(VALU_DEP_4) | instskip(NEXT) | instid1(VALU_DEP_2)
	v_bfe_u32 v39, v38, 21, 1
	v_cmp_eq_u32_e64 s13, v27, v48
	s_delay_alu instid0(VALU_DEP_2) | instskip(NEXT) | instid1(VALU_DEP_1)
	v_add_nc_u32_e32 v37, -1, v39
	v_cndmask_b32_e64 v27, 0, v37, s13
	v_lshrrev_b32_e32 v37, 23, v38
	s_mov_b32 s13, exec_lo
	s_delay_alu instid0(VALU_DEP_2) | instskip(NEXT) | instid1(VALU_DEP_2)
	v_add_nc_u32_e32 v27, v27, v38
	v_xor_b32_e32 v37, 1, v37
	s_delay_alu instid0(VALU_DEP_2) | instskip(NEXT) | instid1(VALU_DEP_1)
	v_and_b32_e32 v19, 0x1fffff, v27
	v_add_nc_u32_e32 v27, v19, v38
                                        ; implicit-def: $vgpr19
	s_delay_alu instid0(VALU_DEP_3)
	v_cmpx_ne_u32_e64 v36, v37
	s_xor_b32 s13, exec_lo, s13
; %bb.13959:                            ;   in Loop: Header=BB6_12675 Depth=3
	s_delay_alu instid0(VALU_DEP_2) | instskip(SKIP_2) | instid1(VALU_DEP_2)
	v_cmp_lt_u32_e32 vcc_lo, 0xffffff, v27
	v_sub_nc_u32_e32 v19, v36, v37
	v_cndmask_b32_e64 v36, 0, 1, vcc_lo
	v_add_co_ci_u32_e32 v19, vcc_lo, 0, v19, vcc_lo
	s_delay_alu instid0(VALU_DEP_2)
	v_lshrrev_b32_e32 v27, v36, v27
; %bb.13960:                            ;   in Loop: Header=BB6_12675 Depth=3
	s_and_not1_saveexec_b32 s13, s13
; %bb.13961:                            ;   in Loop: Header=BB6_12675 Depth=3
	s_delay_alu instid0(VALU_DEP_1)
	v_bfe_u32 v19, v27, 23, 1
; %bb.13962:                            ;   in Loop: Header=BB6_12675 Depth=3
	s_or_b32 exec_lo, exec_lo, s13
	v_lshrrev_b32_e32 v27, 21, v27
	s_delay_alu instid0(VALU_DEP_2) | instskip(SKIP_2) | instid1(VALU_DEP_2)
	v_cmp_gt_i32_e32 vcc_lo, 32, v19
	v_min_i32_e32 v36, 31, v19
	v_lshrrev_b32_e32 v26, 24, v26
	v_dual_cndmask_b32 v27, 3, v27 :: v_dual_lshlrev_b32 v36, 2, v36
	s_delay_alu instid0(VALU_DEP_2) | instskip(NEXT) | instid1(VALU_DEP_2)
	v_and_b32_e32 v26, 0x80, v26
	v_or_b32_e32 v19, v19, v27
	v_and_b32_e32 v37, 3, v27
	s_delay_alu instid0(VALU_DEP_2) | instskip(SKIP_1) | instid1(VALU_DEP_1)
	v_cmp_ne_u32_e32 vcc_lo, 0, v19
	v_and_b32_e32 v36, 0xfc, v36
	v_or3_b32 v26, v26, v36, v37
	s_delay_alu instid0(VALU_DEP_1) | instskip(NEXT) | instid1(VALU_DEP_1)
	v_lshlrev_b32_e32 v26, 8, v26
	v_cndmask_b32_e32 v19, 0, v26, vcc_lo
.LBB6_13963:                            ;   in Loop: Header=BB6_12675 Depth=3
	s_or_b32 exec_lo, exec_lo, s30
.LBB6_13964:                            ;   in Loop: Header=BB6_12675 Depth=3
	s_delay_alu instid0(SALU_CYCLE_1) | instskip(SKIP_3) | instid1(VALU_DEP_1)
	s_or_b32 exec_lo, exec_lo, s17
	v_and_b32_e32 v27, 0xff, v78
	s_mov_b32 s13, 0
	s_mov_b32 s30, exec_lo
                                        ; implicit-def: $sgpr17
	v_cmpx_lt_i16_e32 0x7f, v27
	s_xor_b32 s30, exec_lo, s30
	s_cbranch_execnz .LBB6_14986
; %bb.13965:                            ;   in Loop: Header=BB6_12675 Depth=3
	s_or_saveexec_b32 s30, s30
	v_mov_b32_e32 v26, s17
	s_xor_b32 exec_lo, exec_lo, s30
	s_cbranch_execnz .LBB6_14989
.LBB6_13966:                            ;   in Loop: Header=BB6_12675 Depth=3
	s_or_b32 exec_lo, exec_lo, s30
	s_and_saveexec_b32 s17, s13
	s_cbranch_execz .LBB6_13968
.LBB6_13967:                            ;   in Loop: Header=BB6_12675 Depth=3
	v_bfe_u32 v37, v78, 2, 5
	v_lshlrev_b32_e32 v38, 24, v78
	s_delay_alu instid0(VALU_DEP_2) | instskip(SKIP_1) | instid1(VALU_DEP_1)
	v_cmp_eq_u32_e32 vcc_lo, 0, v37
	v_and_b32_e32 v26, 3, v78
	v_clz_i32_u32_e32 v27, v26
	s_delay_alu instid0(VALU_DEP_1) | instskip(NEXT) | instid1(VALU_DEP_1)
	v_min_u32_e32 v27, 32, v27
	v_subrev_nc_u32_e32 v36, 29, v27
	v_sub_nc_u32_e32 v27, 30, v27
	s_delay_alu instid0(VALU_DEP_1) | instskip(NEXT) | instid1(VALU_DEP_1)
	v_dual_cndmask_b32 v27, v37, v27 :: v_dual_lshlrev_b32 v36, v36, v78
	v_and_b32_e32 v36, 3, v36
	s_delay_alu instid0(VALU_DEP_2) | instskip(NEXT) | instid1(VALU_DEP_2)
	v_lshl_add_u32 v27, v27, 23, 0x37800000
	v_cndmask_b32_e32 v26, v26, v36, vcc_lo
	v_and_b32_e32 v36, 0x80000000, v38
	s_delay_alu instid0(VALU_DEP_2) | instskip(NEXT) | instid1(VALU_DEP_1)
	v_lshlrev_b32_e32 v26, 21, v26
	v_or3_b32 v26, v36, v27, v26
.LBB6_13968:                            ;   in Loop: Header=BB6_12675 Depth=3
	s_or_b32 exec_lo, exec_lo, s17
	s_waitcnt vmcnt(1)
	v_and_b32_e32 v36, 0xff, v12
	s_mov_b32 s13, 0
	s_mov_b32 s30, exec_lo
                                        ; implicit-def: $sgpr17
	s_delay_alu instid0(VALU_DEP_1)
	v_cmpx_lt_i16_e32 0x7f, v36
	s_xor_b32 s30, exec_lo, s30
	s_cbranch_execnz .LBB6_14990
; %bb.13969:                            ;   in Loop: Header=BB6_12675 Depth=3
	s_or_saveexec_b32 s30, s30
	v_mov_b32_e32 v27, s17
	s_xor_b32 exec_lo, exec_lo, s30
	s_cbranch_execnz .LBB6_14993
.LBB6_13970:                            ;   in Loop: Header=BB6_12675 Depth=3
	s_or_b32 exec_lo, exec_lo, s30
	s_and_saveexec_b32 s17, s13
	s_cbranch_execz .LBB6_13972
.LBB6_13971:                            ;   in Loop: Header=BB6_12675 Depth=3
	v_and_b32_e32 v27, 3, v12
	v_bfe_u32 v38, v12, 2, 5
	v_lshlrev_b32_e32 v39, 24, v12
	s_delay_alu instid0(VALU_DEP_3) | instskip(NEXT) | instid1(VALU_DEP_3)
	v_clz_i32_u32_e32 v36, v27
	v_cmp_eq_u32_e32 vcc_lo, 0, v38
	s_delay_alu instid0(VALU_DEP_2) | instskip(NEXT) | instid1(VALU_DEP_1)
	v_min_u32_e32 v36, 32, v36
	v_subrev_nc_u32_e32 v37, 29, v36
	v_sub_nc_u32_e32 v36, 30, v36
	s_delay_alu instid0(VALU_DEP_2) | instskip(NEXT) | instid1(VALU_DEP_1)
	v_lshlrev_b32_e32 v37, v37, v12
	v_dual_cndmask_b32 v36, v38, v36 :: v_dual_and_b32 v37, 3, v37
	s_delay_alu instid0(VALU_DEP_1) | instskip(NEXT) | instid1(VALU_DEP_2)
	v_lshl_add_u32 v36, v36, 23, 0x37800000
	v_cndmask_b32_e32 v27, v27, v37, vcc_lo
	v_and_b32_e32 v37, 0x80000000, v39
	s_delay_alu instid0(VALU_DEP_2) | instskip(NEXT) | instid1(VALU_DEP_1)
	v_lshlrev_b32_e32 v27, 21, v27
	v_or3_b32 v27, v37, v36, v27
.LBB6_13972:                            ;   in Loop: Header=BB6_12675 Depth=3
	s_or_b32 exec_lo, exec_lo, s17
	s_delay_alu instid0(VALU_DEP_1) | instskip(SKIP_2) | instid1(VALU_DEP_2)
	v_add_f32_e32 v26, v26, v27
	v_mov_b32_e32 v78, 0x80
	s_mov_b32 s17, exec_lo
	v_and_b32_e32 v27, 0x7f800000, v26
	s_delay_alu instid0(VALU_DEP_1)
	v_cmpx_ne_u32_e32 0x7f800000, v27
	s_cbranch_execz .LBB6_13980
; %bb.13973:                            ;   in Loop: Header=BB6_12675 Depth=3
	v_mov_b32_e32 v78, 0
	s_mov_b32 s30, exec_lo
	v_cmpx_ne_u32_e32 0, v26
	s_cbranch_execz .LBB6_13979
; %bb.13974:                            ;   in Loop: Header=BB6_12675 Depth=3
	v_bfe_u32 v27, v26, 23, 8
	s_delay_alu instid0(VALU_DEP_1) | instskip(SKIP_1) | instid1(VALU_DEP_2)
	v_sub_nc_u32_e32 v37, 0x70, v27
	v_cmp_gt_u32_e32 vcc_lo, 0x71, v27
	v_dual_cndmask_b32 v37, 0, v37 :: v_dual_and_b32 v36, 0x7fffff, v26
	s_delay_alu instid0(VALU_DEP_1) | instskip(SKIP_2) | instid1(VALU_DEP_4)
	v_or_b32_e32 v38, 0x800000, v36
	v_cmp_eq_u32_e32 vcc_lo, 0, v27
	v_add_nc_u32_e32 v27, 0xffffff91, v27
	v_cndmask_b32_e64 v37, v37, 0x6f, vcc_lo
	s_delay_alu instid0(VALU_DEP_4) | instskip(NEXT) | instid1(VALU_DEP_3)
	v_cndmask_b32_e32 v36, v38, v36, vcc_lo
	v_cndmask_b32_e64 v27, v27, 0xffffff92, vcc_lo
	s_delay_alu instid0(VALU_DEP_3) | instskip(NEXT) | instid1(VALU_DEP_3)
	v_lshl_add_u32 v38, 0x200000, v37, -1
	v_lshrrev_b32_e32 v39, v37, v36
	v_lshlrev_b32_e64 v49, v37, 0x100000
	s_delay_alu instid0(VALU_DEP_4) | instskip(NEXT) | instid1(VALU_DEP_4)
	v_add_nc_u32_e32 v37, v37, v27
	v_and_b32_e32 v36, v38, v36
	s_delay_alu instid0(VALU_DEP_4) | instskip(NEXT) | instid1(VALU_DEP_2)
	v_bfe_u32 v48, v39, 21, 1
	v_cmp_eq_u32_e64 s13, v36, v49
	s_delay_alu instid0(VALU_DEP_2) | instskip(NEXT) | instid1(VALU_DEP_1)
	v_add_nc_u32_e32 v38, -1, v48
	v_cndmask_b32_e64 v36, 0, v38, s13
	v_lshrrev_b32_e32 v38, 23, v39
	s_mov_b32 s13, exec_lo
	s_delay_alu instid0(VALU_DEP_2) | instskip(NEXT) | instid1(VALU_DEP_2)
	v_add_nc_u32_e32 v36, v36, v39
	v_xor_b32_e32 v38, 1, v38
	s_delay_alu instid0(VALU_DEP_2) | instskip(NEXT) | instid1(VALU_DEP_1)
	v_and_b32_e32 v27, 0x1fffff, v36
	v_add_nc_u32_e32 v36, v27, v39
                                        ; implicit-def: $vgpr27
	s_delay_alu instid0(VALU_DEP_3)
	v_cmpx_ne_u32_e64 v37, v38
	s_xor_b32 s13, exec_lo, s13
; %bb.13975:                            ;   in Loop: Header=BB6_12675 Depth=3
	s_delay_alu instid0(VALU_DEP_2) | instskip(SKIP_2) | instid1(VALU_DEP_2)
	v_cmp_lt_u32_e32 vcc_lo, 0xffffff, v36
	v_sub_nc_u32_e32 v27, v37, v38
	v_cndmask_b32_e64 v37, 0, 1, vcc_lo
	v_add_co_ci_u32_e32 v27, vcc_lo, 0, v27, vcc_lo
	s_delay_alu instid0(VALU_DEP_2)
	v_lshrrev_b32_e32 v36, v37, v36
; %bb.13976:                            ;   in Loop: Header=BB6_12675 Depth=3
	s_and_not1_saveexec_b32 s13, s13
; %bb.13977:                            ;   in Loop: Header=BB6_12675 Depth=3
	s_delay_alu instid0(VALU_DEP_1)
	v_bfe_u32 v27, v36, 23, 1
; %bb.13978:                            ;   in Loop: Header=BB6_12675 Depth=3
	s_or_b32 exec_lo, exec_lo, s13
	v_lshrrev_b32_e32 v36, 21, v36
	s_delay_alu instid0(VALU_DEP_2) | instskip(SKIP_2) | instid1(VALU_DEP_4)
	v_cmp_gt_i32_e32 vcc_lo, 32, v27
	v_lshrrev_b32_e32 v26, 24, v26
	v_min_i32_e32 v37, 31, v27
	v_cndmask_b32_e32 v36, 3, v36, vcc_lo
	s_delay_alu instid0(VALU_DEP_3) | instskip(NEXT) | instid1(VALU_DEP_3)
	v_and_b32_e32 v26, 0x80, v26
	v_lshlrev_b32_e32 v37, 2, v37
	s_delay_alu instid0(VALU_DEP_3) | instskip(SKIP_1) | instid1(VALU_DEP_2)
	v_and_b32_e32 v38, 3, v36
	v_or_b32_e32 v27, v27, v36
	v_or3_b32 v26, v37, v26, v38
	s_delay_alu instid0(VALU_DEP_2) | instskip(NEXT) | instid1(VALU_DEP_2)
	v_cmp_ne_u32_e32 vcc_lo, 0, v27
	v_cndmask_b32_e32 v78, 0, v26, vcc_lo
.LBB6_13979:                            ;   in Loop: Header=BB6_12675 Depth=3
	s_or_b32 exec_lo, exec_lo, s30
.LBB6_13980:                            ;   in Loop: Header=BB6_12675 Depth=3
	s_delay_alu instid0(SALU_CYCLE_1) | instskip(SKIP_3) | instid1(VALU_DEP_1)
	s_or_b32 exec_lo, exec_lo, s17
	v_and_b32_e32 v27, 0xff, v76
	s_mov_b32 s13, 0
	s_mov_b32 s30, exec_lo
                                        ; implicit-def: $sgpr17
	v_cmpx_lt_i16_e32 0x7f, v27
	s_xor_b32 s30, exec_lo, s30
	s_cbranch_execnz .LBB6_14994
; %bb.13981:                            ;   in Loop: Header=BB6_12675 Depth=3
	s_or_saveexec_b32 s30, s30
	v_mov_b32_e32 v26, s17
	s_xor_b32 exec_lo, exec_lo, s30
	s_cbranch_execnz .LBB6_14997
.LBB6_13982:                            ;   in Loop: Header=BB6_12675 Depth=3
	s_or_b32 exec_lo, exec_lo, s30
	s_and_saveexec_b32 s17, s13
	s_cbranch_execz .LBB6_13984
.LBB6_13983:                            ;   in Loop: Header=BB6_12675 Depth=3
	v_bfe_u32 v37, v76, 2, 5
	v_lshlrev_b32_e32 v38, 24, v76
	s_delay_alu instid0(VALU_DEP_2) | instskip(SKIP_1) | instid1(VALU_DEP_1)
	v_cmp_eq_u32_e32 vcc_lo, 0, v37
	v_and_b32_e32 v26, 3, v76
	v_clz_i32_u32_e32 v27, v26
	s_delay_alu instid0(VALU_DEP_1) | instskip(NEXT) | instid1(VALU_DEP_1)
	v_min_u32_e32 v27, 32, v27
	v_subrev_nc_u32_e32 v36, 29, v27
	v_sub_nc_u32_e32 v27, 30, v27
	s_delay_alu instid0(VALU_DEP_1) | instskip(NEXT) | instid1(VALU_DEP_1)
	v_dual_cndmask_b32 v27, v37, v27 :: v_dual_lshlrev_b32 v36, v36, v76
	v_and_b32_e32 v36, 3, v36
	s_delay_alu instid0(VALU_DEP_2) | instskip(NEXT) | instid1(VALU_DEP_2)
	v_lshl_add_u32 v27, v27, 23, 0x37800000
	v_cndmask_b32_e32 v26, v26, v36, vcc_lo
	v_and_b32_e32 v36, 0x80000000, v38
	s_delay_alu instid0(VALU_DEP_2) | instskip(NEXT) | instid1(VALU_DEP_1)
	v_lshlrev_b32_e32 v26, 21, v26
	v_or3_b32 v26, v36, v27, v26
.LBB6_13984:                            ;   in Loop: Header=BB6_12675 Depth=3
	s_or_b32 exec_lo, exec_lo, s17
	v_lshrrev_b16 v27, 8, v12
	s_mov_b32 s13, 0
	s_mov_b32 s30, exec_lo
                                        ; implicit-def: $sgpr17
	s_delay_alu instid0(VALU_DEP_1)
	v_cmpx_lt_i16_e32 0x7f, v27
	s_xor_b32 s30, exec_lo, s30
	s_cbranch_execnz .LBB6_14998
; %bb.13985:                            ;   in Loop: Header=BB6_12675 Depth=3
	s_or_saveexec_b32 s30, s30
	v_mov_b32_e32 v36, s17
	s_xor_b32 exec_lo, exec_lo, s30
	s_cbranch_execnz .LBB6_15001
.LBB6_13986:                            ;   in Loop: Header=BB6_12675 Depth=3
	s_or_b32 exec_lo, exec_lo, s30
	s_and_saveexec_b32 s17, s13
	s_cbranch_execz .LBB6_13988
.LBB6_13987:                            ;   in Loop: Header=BB6_12675 Depth=3
	v_and_b32_e32 v36, 0xffff, v27
	v_lshlrev_b32_e32 v27, 24, v27
	s_delay_alu instid0(VALU_DEP_2) | instskip(NEXT) | instid1(VALU_DEP_2)
	v_and_b32_e32 v37, 3, v36
	v_and_b32_e32 v27, 0x80000000, v27
	s_delay_alu instid0(VALU_DEP_2) | instskip(NEXT) | instid1(VALU_DEP_1)
	v_clz_i32_u32_e32 v38, v37
	v_min_u32_e32 v38, 32, v38
	s_delay_alu instid0(VALU_DEP_1) | instskip(SKIP_1) | instid1(VALU_DEP_2)
	v_subrev_nc_u32_e32 v39, 29, v38
	v_sub_nc_u32_e32 v38, 30, v38
	v_lshlrev_b32_e32 v39, v39, v36
	v_bfe_u32 v36, v36, 2, 5
	s_delay_alu instid0(VALU_DEP_2) | instskip(NEXT) | instid1(VALU_DEP_2)
	v_and_b32_e32 v39, 3, v39
	v_cmp_eq_u32_e32 vcc_lo, 0, v36
	s_delay_alu instid0(VALU_DEP_2) | instskip(NEXT) | instid1(VALU_DEP_1)
	v_dual_cndmask_b32 v36, v36, v38 :: v_dual_cndmask_b32 v37, v37, v39
	v_lshl_add_u32 v36, v36, 23, 0x37800000
	s_delay_alu instid0(VALU_DEP_2) | instskip(NEXT) | instid1(VALU_DEP_1)
	v_lshlrev_b32_e32 v37, 21, v37
	v_or3_b32 v36, v27, v36, v37
.LBB6_13988:                            ;   in Loop: Header=BB6_12675 Depth=3
	s_or_b32 exec_lo, exec_lo, s17
	s_delay_alu instid0(VALU_DEP_1) | instskip(SKIP_2) | instid1(VALU_DEP_2)
	v_add_f32_e32 v26, v26, v36
	v_mov_b32_e32 v76, 0x80
	s_mov_b32 s17, exec_lo
	v_and_b32_e32 v27, 0x7f800000, v26
	s_delay_alu instid0(VALU_DEP_1)
	v_cmpx_ne_u32_e32 0x7f800000, v27
	s_cbranch_execz .LBB6_13996
; %bb.13989:                            ;   in Loop: Header=BB6_12675 Depth=3
	v_mov_b32_e32 v76, 0
	s_mov_b32 s30, exec_lo
	v_cmpx_ne_u32_e32 0, v26
	s_cbranch_execz .LBB6_13995
; %bb.13990:                            ;   in Loop: Header=BB6_12675 Depth=3
	v_bfe_u32 v27, v26, 23, 8
	s_delay_alu instid0(VALU_DEP_1) | instskip(SKIP_1) | instid1(VALU_DEP_2)
	v_sub_nc_u32_e32 v37, 0x70, v27
	v_cmp_gt_u32_e32 vcc_lo, 0x71, v27
	v_dual_cndmask_b32 v37, 0, v37 :: v_dual_and_b32 v36, 0x7fffff, v26
	s_delay_alu instid0(VALU_DEP_1) | instskip(SKIP_2) | instid1(VALU_DEP_4)
	v_or_b32_e32 v38, 0x800000, v36
	v_cmp_eq_u32_e32 vcc_lo, 0, v27
	v_add_nc_u32_e32 v27, 0xffffff91, v27
	v_cndmask_b32_e64 v37, v37, 0x6f, vcc_lo
	s_delay_alu instid0(VALU_DEP_4) | instskip(NEXT) | instid1(VALU_DEP_3)
	v_cndmask_b32_e32 v36, v38, v36, vcc_lo
	v_cndmask_b32_e64 v27, v27, 0xffffff92, vcc_lo
	s_delay_alu instid0(VALU_DEP_3) | instskip(NEXT) | instid1(VALU_DEP_3)
	v_lshl_add_u32 v38, 0x200000, v37, -1
	v_lshrrev_b32_e32 v39, v37, v36
	v_lshlrev_b32_e64 v49, v37, 0x100000
	s_delay_alu instid0(VALU_DEP_4) | instskip(NEXT) | instid1(VALU_DEP_4)
	v_add_nc_u32_e32 v37, v37, v27
	v_and_b32_e32 v36, v38, v36
	s_delay_alu instid0(VALU_DEP_4) | instskip(NEXT) | instid1(VALU_DEP_2)
	v_bfe_u32 v48, v39, 21, 1
	v_cmp_eq_u32_e64 s13, v36, v49
	s_delay_alu instid0(VALU_DEP_2) | instskip(NEXT) | instid1(VALU_DEP_1)
	v_add_nc_u32_e32 v38, -1, v48
	v_cndmask_b32_e64 v36, 0, v38, s13
	v_lshrrev_b32_e32 v38, 23, v39
	s_mov_b32 s13, exec_lo
	s_delay_alu instid0(VALU_DEP_2) | instskip(NEXT) | instid1(VALU_DEP_2)
	v_add_nc_u32_e32 v36, v36, v39
	v_xor_b32_e32 v38, 1, v38
	s_delay_alu instid0(VALU_DEP_2) | instskip(NEXT) | instid1(VALU_DEP_1)
	v_and_b32_e32 v27, 0x1fffff, v36
	v_add_nc_u32_e32 v36, v27, v39
                                        ; implicit-def: $vgpr27
	s_delay_alu instid0(VALU_DEP_3)
	v_cmpx_ne_u32_e64 v37, v38
	s_xor_b32 s13, exec_lo, s13
; %bb.13991:                            ;   in Loop: Header=BB6_12675 Depth=3
	s_delay_alu instid0(VALU_DEP_2) | instskip(SKIP_2) | instid1(VALU_DEP_2)
	v_cmp_lt_u32_e32 vcc_lo, 0xffffff, v36
	v_sub_nc_u32_e32 v27, v37, v38
	v_cndmask_b32_e64 v37, 0, 1, vcc_lo
	v_add_co_ci_u32_e32 v27, vcc_lo, 0, v27, vcc_lo
	s_delay_alu instid0(VALU_DEP_2)
	v_lshrrev_b32_e32 v36, v37, v36
; %bb.13992:                            ;   in Loop: Header=BB6_12675 Depth=3
	s_and_not1_saveexec_b32 s13, s13
; %bb.13993:                            ;   in Loop: Header=BB6_12675 Depth=3
	s_delay_alu instid0(VALU_DEP_1)
	v_bfe_u32 v27, v36, 23, 1
; %bb.13994:                            ;   in Loop: Header=BB6_12675 Depth=3
	s_or_b32 exec_lo, exec_lo, s13
	v_lshrrev_b32_e32 v36, 21, v36
	s_delay_alu instid0(VALU_DEP_2) | instskip(SKIP_2) | instid1(VALU_DEP_4)
	v_cmp_gt_i32_e32 vcc_lo, 32, v27
	v_lshrrev_b32_e32 v26, 24, v26
	v_min_i32_e32 v37, 31, v27
	v_cndmask_b32_e32 v36, 3, v36, vcc_lo
	s_delay_alu instid0(VALU_DEP_3) | instskip(NEXT) | instid1(VALU_DEP_3)
	v_and_b32_e32 v26, 0x80, v26
	v_lshlrev_b32_e32 v37, 2, v37
	s_delay_alu instid0(VALU_DEP_3) | instskip(SKIP_1) | instid1(VALU_DEP_2)
	v_and_b32_e32 v38, 3, v36
	v_or_b32_e32 v27, v27, v36
	v_or3_b32 v26, v37, v26, v38
	s_delay_alu instid0(VALU_DEP_2) | instskip(NEXT) | instid1(VALU_DEP_2)
	v_cmp_ne_u32_e32 vcc_lo, 0, v27
	v_cndmask_b32_e32 v76, 0, v26, vcc_lo
.LBB6_13995:                            ;   in Loop: Header=BB6_12675 Depth=3
	s_or_b32 exec_lo, exec_lo, s30
.LBB6_13996:                            ;   in Loop: Header=BB6_12675 Depth=3
	s_delay_alu instid0(SALU_CYCLE_1) | instskip(SKIP_3) | instid1(VALU_DEP_1)
	s_or_b32 exec_lo, exec_lo, s17
	v_and_b32_e32 v27, 0xff, v74
	s_mov_b32 s13, 0
	s_mov_b32 s30, exec_lo
                                        ; implicit-def: $sgpr17
	v_cmpx_lt_i16_e32 0x7f, v27
	s_xor_b32 s30, exec_lo, s30
	s_cbranch_execnz .LBB6_15002
; %bb.13997:                            ;   in Loop: Header=BB6_12675 Depth=3
	s_or_saveexec_b32 s30, s30
	v_mov_b32_e32 v26, s17
	s_xor_b32 exec_lo, exec_lo, s30
	s_cbranch_execnz .LBB6_15005
.LBB6_13998:                            ;   in Loop: Header=BB6_12675 Depth=3
	s_or_b32 exec_lo, exec_lo, s30
	s_and_saveexec_b32 s17, s13
	s_cbranch_execz .LBB6_14000
.LBB6_13999:                            ;   in Loop: Header=BB6_12675 Depth=3
	v_bfe_u32 v37, v74, 2, 5
	v_lshlrev_b32_e32 v38, 24, v74
	s_delay_alu instid0(VALU_DEP_2) | instskip(SKIP_1) | instid1(VALU_DEP_1)
	v_cmp_eq_u32_e32 vcc_lo, 0, v37
	v_and_b32_e32 v26, 3, v74
	v_clz_i32_u32_e32 v27, v26
	s_delay_alu instid0(VALU_DEP_1) | instskip(NEXT) | instid1(VALU_DEP_1)
	v_min_u32_e32 v27, 32, v27
	v_subrev_nc_u32_e32 v36, 29, v27
	v_sub_nc_u32_e32 v27, 30, v27
	s_delay_alu instid0(VALU_DEP_1) | instskip(NEXT) | instid1(VALU_DEP_1)
	v_dual_cndmask_b32 v27, v37, v27 :: v_dual_lshlrev_b32 v36, v36, v74
	v_and_b32_e32 v36, 3, v36
	s_delay_alu instid0(VALU_DEP_2) | instskip(NEXT) | instid1(VALU_DEP_2)
	v_lshl_add_u32 v27, v27, 23, 0x37800000
	v_cndmask_b32_e32 v26, v26, v36, vcc_lo
	v_and_b32_e32 v36, 0x80000000, v38
	s_delay_alu instid0(VALU_DEP_2) | instskip(NEXT) | instid1(VALU_DEP_1)
	v_lshlrev_b32_e32 v26, 21, v26
	v_or3_b32 v26, v36, v27, v26
.LBB6_14000:                            ;   in Loop: Header=BB6_12675 Depth=3
	s_or_b32 exec_lo, exec_lo, s17
	v_lshrrev_b32_e32 v27, 16, v12
	s_mov_b32 s13, 0
	s_mov_b32 s30, exec_lo
                                        ; implicit-def: $sgpr17
	s_delay_alu instid0(VALU_DEP_1) | instskip(NEXT) | instid1(VALU_DEP_1)
	v_and_b32_e32 v37, 0xff, v27
	v_cmpx_lt_i16_e32 0x7f, v37
	s_xor_b32 s30, exec_lo, s30
	s_cbranch_execnz .LBB6_15006
; %bb.14001:                            ;   in Loop: Header=BB6_12675 Depth=3
	s_or_saveexec_b32 s30, s30
	v_mov_b32_e32 v36, s17
	s_xor_b32 exec_lo, exec_lo, s30
	s_cbranch_execnz .LBB6_15009
.LBB6_14002:                            ;   in Loop: Header=BB6_12675 Depth=3
	s_or_b32 exec_lo, exec_lo, s30
	s_and_saveexec_b32 s17, s13
	s_cbranch_execz .LBB6_14004
.LBB6_14003:                            ;   in Loop: Header=BB6_12675 Depth=3
	v_bfe_u32 v36, v12, 16, 2
	v_lshlrev_b32_e32 v39, 8, v12
	s_delay_alu instid0(VALU_DEP_2) | instskip(NEXT) | instid1(VALU_DEP_1)
	v_clz_i32_u32_e32 v37, v36
	v_min_u32_e32 v37, 32, v37
	s_delay_alu instid0(VALU_DEP_1) | instskip(SKIP_1) | instid1(VALU_DEP_2)
	v_subrev_nc_u32_e32 v38, 29, v37
	v_sub_nc_u32_e32 v37, 30, v37
	v_lshlrev_b32_e32 v27, v38, v27
	v_bfe_u32 v38, v12, 18, 5
	s_delay_alu instid0(VALU_DEP_2) | instskip(NEXT) | instid1(VALU_DEP_2)
	v_and_b32_e32 v27, 3, v27
	v_cmp_eq_u32_e32 vcc_lo, 0, v38
	v_cndmask_b32_e32 v37, v38, v37, vcc_lo
	s_delay_alu instid0(VALU_DEP_3) | instskip(SKIP_1) | instid1(VALU_DEP_3)
	v_cndmask_b32_e32 v27, v36, v27, vcc_lo
	v_and_b32_e32 v36, 0x80000000, v39
	v_lshl_add_u32 v37, v37, 23, 0x37800000
	s_delay_alu instid0(VALU_DEP_3) | instskip(NEXT) | instid1(VALU_DEP_1)
	v_lshlrev_b32_e32 v27, 21, v27
	v_or3_b32 v36, v36, v37, v27
.LBB6_14004:                            ;   in Loop: Header=BB6_12675 Depth=3
	s_or_b32 exec_lo, exec_lo, s17
	s_delay_alu instid0(VALU_DEP_1) | instskip(SKIP_2) | instid1(VALU_DEP_2)
	v_add_f32_e32 v26, v26, v36
	v_mov_b32_e32 v74, 0x80
	s_mov_b32 s17, exec_lo
	v_and_b32_e32 v27, 0x7f800000, v26
	s_delay_alu instid0(VALU_DEP_1)
	v_cmpx_ne_u32_e32 0x7f800000, v27
	s_cbranch_execz .LBB6_14012
; %bb.14005:                            ;   in Loop: Header=BB6_12675 Depth=3
	v_mov_b32_e32 v74, 0
	s_mov_b32 s30, exec_lo
	v_cmpx_ne_u32_e32 0, v26
	s_cbranch_execz .LBB6_14011
; %bb.14006:                            ;   in Loop: Header=BB6_12675 Depth=3
	v_bfe_u32 v27, v26, 23, 8
	s_delay_alu instid0(VALU_DEP_1) | instskip(SKIP_1) | instid1(VALU_DEP_2)
	v_sub_nc_u32_e32 v37, 0x70, v27
	v_cmp_gt_u32_e32 vcc_lo, 0x71, v27
	v_dual_cndmask_b32 v37, 0, v37 :: v_dual_and_b32 v36, 0x7fffff, v26
	s_delay_alu instid0(VALU_DEP_1) | instskip(SKIP_2) | instid1(VALU_DEP_4)
	v_or_b32_e32 v38, 0x800000, v36
	v_cmp_eq_u32_e32 vcc_lo, 0, v27
	v_add_nc_u32_e32 v27, 0xffffff91, v27
	v_cndmask_b32_e64 v37, v37, 0x6f, vcc_lo
	s_delay_alu instid0(VALU_DEP_4) | instskip(NEXT) | instid1(VALU_DEP_3)
	v_cndmask_b32_e32 v36, v38, v36, vcc_lo
	v_cndmask_b32_e64 v27, v27, 0xffffff92, vcc_lo
	s_delay_alu instid0(VALU_DEP_3) | instskip(NEXT) | instid1(VALU_DEP_3)
	v_lshl_add_u32 v38, 0x200000, v37, -1
	v_lshrrev_b32_e32 v39, v37, v36
	v_lshlrev_b32_e64 v49, v37, 0x100000
	s_delay_alu instid0(VALU_DEP_4) | instskip(NEXT) | instid1(VALU_DEP_4)
	v_add_nc_u32_e32 v37, v37, v27
	v_and_b32_e32 v36, v38, v36
	s_delay_alu instid0(VALU_DEP_4) | instskip(NEXT) | instid1(VALU_DEP_2)
	v_bfe_u32 v48, v39, 21, 1
	v_cmp_eq_u32_e64 s13, v36, v49
	s_delay_alu instid0(VALU_DEP_2) | instskip(NEXT) | instid1(VALU_DEP_1)
	v_add_nc_u32_e32 v38, -1, v48
	v_cndmask_b32_e64 v36, 0, v38, s13
	v_lshrrev_b32_e32 v38, 23, v39
	s_mov_b32 s13, exec_lo
	s_delay_alu instid0(VALU_DEP_2) | instskip(NEXT) | instid1(VALU_DEP_2)
	v_add_nc_u32_e32 v36, v36, v39
	v_xor_b32_e32 v38, 1, v38
	s_delay_alu instid0(VALU_DEP_2) | instskip(NEXT) | instid1(VALU_DEP_1)
	v_and_b32_e32 v27, 0x1fffff, v36
	v_add_nc_u32_e32 v36, v27, v39
                                        ; implicit-def: $vgpr27
	s_delay_alu instid0(VALU_DEP_3)
	v_cmpx_ne_u32_e64 v37, v38
	s_xor_b32 s13, exec_lo, s13
; %bb.14007:                            ;   in Loop: Header=BB6_12675 Depth=3
	s_delay_alu instid0(VALU_DEP_2) | instskip(SKIP_2) | instid1(VALU_DEP_2)
	v_cmp_lt_u32_e32 vcc_lo, 0xffffff, v36
	v_sub_nc_u32_e32 v27, v37, v38
	v_cndmask_b32_e64 v37, 0, 1, vcc_lo
	v_add_co_ci_u32_e32 v27, vcc_lo, 0, v27, vcc_lo
	s_delay_alu instid0(VALU_DEP_2)
	v_lshrrev_b32_e32 v36, v37, v36
; %bb.14008:                            ;   in Loop: Header=BB6_12675 Depth=3
	s_and_not1_saveexec_b32 s13, s13
; %bb.14009:                            ;   in Loop: Header=BB6_12675 Depth=3
	s_delay_alu instid0(VALU_DEP_1)
	v_bfe_u32 v27, v36, 23, 1
; %bb.14010:                            ;   in Loop: Header=BB6_12675 Depth=3
	s_or_b32 exec_lo, exec_lo, s13
	v_lshrrev_b32_e32 v36, 21, v36
	s_delay_alu instid0(VALU_DEP_2) | instskip(SKIP_2) | instid1(VALU_DEP_4)
	v_cmp_gt_i32_e32 vcc_lo, 32, v27
	v_lshrrev_b32_e32 v26, 24, v26
	v_min_i32_e32 v37, 31, v27
	v_cndmask_b32_e32 v36, 3, v36, vcc_lo
	s_delay_alu instid0(VALU_DEP_3) | instskip(NEXT) | instid1(VALU_DEP_3)
	v_and_b32_e32 v26, 0x80, v26
	v_lshlrev_b32_e32 v37, 2, v37
	s_delay_alu instid0(VALU_DEP_3) | instskip(SKIP_1) | instid1(VALU_DEP_2)
	v_and_b32_e32 v38, 3, v36
	v_or_b32_e32 v27, v27, v36
	v_or3_b32 v26, v37, v26, v38
	s_delay_alu instid0(VALU_DEP_2) | instskip(NEXT) | instid1(VALU_DEP_2)
	v_cmp_ne_u32_e32 vcc_lo, 0, v27
	v_cndmask_b32_e32 v74, 0, v26, vcc_lo
.LBB6_14011:                            ;   in Loop: Header=BB6_12675 Depth=3
	s_or_b32 exec_lo, exec_lo, s30
.LBB6_14012:                            ;   in Loop: Header=BB6_12675 Depth=3
	s_delay_alu instid0(SALU_CYCLE_1) | instskip(SKIP_3) | instid1(VALU_DEP_1)
	s_or_b32 exec_lo, exec_lo, s17
	v_and_b32_e32 v27, 0xff, v72
	s_mov_b32 s13, 0
	s_mov_b32 s30, exec_lo
                                        ; implicit-def: $sgpr17
	v_cmpx_lt_i16_e32 0x7f, v27
	s_xor_b32 s30, exec_lo, s30
	s_cbranch_execnz .LBB6_15010
; %bb.14013:                            ;   in Loop: Header=BB6_12675 Depth=3
	s_or_saveexec_b32 s30, s30
	v_mov_b32_e32 v26, s17
	s_xor_b32 exec_lo, exec_lo, s30
	s_cbranch_execnz .LBB6_15013
.LBB6_14014:                            ;   in Loop: Header=BB6_12675 Depth=3
	s_or_b32 exec_lo, exec_lo, s30
	s_and_saveexec_b32 s17, s13
	s_cbranch_execz .LBB6_14016
.LBB6_14015:                            ;   in Loop: Header=BB6_12675 Depth=3
	v_lshlrev_b32_e32 v26, 8, v72
	s_delay_alu instid0(VALU_DEP_1) | instskip(SKIP_1) | instid1(VALU_DEP_2)
	v_and_b32_e32 v36, 0xff00, v26
	v_bfe_u32 v26, v26, 10, 5
	v_bfe_u32 v37, v36, 8, 2
	s_delay_alu instid0(VALU_DEP_2) | instskip(SKIP_1) | instid1(VALU_DEP_3)
	v_cmp_eq_u32_e32 vcc_lo, 0, v26
	v_lshlrev_b32_e32 v36, 16, v36
	v_clz_i32_u32_e32 v38, v37
	s_delay_alu instid0(VALU_DEP_2) | instskip(NEXT) | instid1(VALU_DEP_2)
	v_and_b32_e32 v36, 0x80000000, v36
	v_min_u32_e32 v38, 32, v38
	s_delay_alu instid0(VALU_DEP_1) | instskip(SKIP_1) | instid1(VALU_DEP_1)
	v_subrev_nc_u32_e32 v39, 29, v38
	v_sub_nc_u32_e32 v38, 30, v38
	v_dual_cndmask_b32 v26, v26, v38 :: v_dual_lshlrev_b32 v27, v39, v27
	s_delay_alu instid0(VALU_DEP_1) | instskip(NEXT) | instid1(VALU_DEP_2)
	v_and_b32_e32 v27, 3, v27
	v_lshl_add_u32 v26, v26, 23, 0x37800000
	s_delay_alu instid0(VALU_DEP_2) | instskip(NEXT) | instid1(VALU_DEP_1)
	v_cndmask_b32_e32 v27, v37, v27, vcc_lo
	v_lshlrev_b32_e32 v27, 21, v27
	s_delay_alu instid0(VALU_DEP_1)
	v_or3_b32 v26, v36, v26, v27
.LBB6_14016:                            ;   in Loop: Header=BB6_12675 Depth=3
	s_or_b32 exec_lo, exec_lo, s17
	v_lshrrev_b32_e32 v27, 24, v12
	s_mov_b32 s13, 0
	s_mov_b32 s30, exec_lo
                                        ; implicit-def: $sgpr17
	s_delay_alu instid0(VALU_DEP_1)
	v_cmpx_lt_i16_e32 0x7f, v27
	s_xor_b32 s30, exec_lo, s30
	s_cbranch_execnz .LBB6_15014
; %bb.14017:                            ;   in Loop: Header=BB6_12675 Depth=3
	s_or_saveexec_b32 s30, s30
	v_mov_b32_e32 v36, s17
	s_xor_b32 exec_lo, exec_lo, s30
	s_cbranch_execnz .LBB6_15017
.LBB6_14018:                            ;   in Loop: Header=BB6_12675 Depth=3
	s_or_b32 exec_lo, exec_lo, s30
	s_and_saveexec_b32 s17, s13
	s_cbranch_execz .LBB6_14020
.LBB6_14019:                            ;   in Loop: Header=BB6_12675 Depth=3
	v_bfe_u32 v36, v12, 24, 2
	s_delay_alu instid0(VALU_DEP_1) | instskip(NEXT) | instid1(VALU_DEP_1)
	v_clz_i32_u32_e32 v37, v36
	v_min_u32_e32 v37, 32, v37
	s_delay_alu instid0(VALU_DEP_1) | instskip(SKIP_1) | instid1(VALU_DEP_2)
	v_subrev_nc_u32_e32 v38, 29, v37
	v_sub_nc_u32_e32 v37, 30, v37
	v_lshlrev_b32_e32 v27, v38, v27
	v_bfe_u32 v38, v12, 26, 5
	v_and_b32_e32 v12, 0x80000000, v12
	s_delay_alu instid0(VALU_DEP_3) | instskip(NEXT) | instid1(VALU_DEP_3)
	v_and_b32_e32 v27, 3, v27
	v_cmp_eq_u32_e32 vcc_lo, 0, v38
	v_cndmask_b32_e32 v37, v38, v37, vcc_lo
	s_delay_alu instid0(VALU_DEP_3) | instskip(NEXT) | instid1(VALU_DEP_2)
	v_cndmask_b32_e32 v27, v36, v27, vcc_lo
	v_lshl_add_u32 v36, v37, 23, 0x37800000
	s_delay_alu instid0(VALU_DEP_2) | instskip(NEXT) | instid1(VALU_DEP_1)
	v_lshlrev_b32_e32 v27, 21, v27
	v_or3_b32 v36, v12, v36, v27
.LBB6_14020:                            ;   in Loop: Header=BB6_12675 Depth=3
	s_or_b32 exec_lo, exec_lo, s17
	s_delay_alu instid0(VALU_DEP_1) | instskip(NEXT) | instid1(VALU_DEP_1)
	v_add_f32_e32 v26, v26, v36
	v_and_b32_e32 v12, 0x7f800000, v26
	s_delay_alu instid0(VALU_DEP_1)
	v_cmp_ne_u32_e32 vcc_lo, 0x7f800000, v12
	v_mov_b32_e32 v12, 0x80
	s_and_saveexec_b32 s17, vcc_lo
	s_cbranch_execz .LBB6_14028
; %bb.14021:                            ;   in Loop: Header=BB6_12675 Depth=3
	v_mov_b32_e32 v12, 0
	s_mov_b32 s30, exec_lo
	v_cmpx_ne_u32_e32 0, v26
	s_cbranch_execz .LBB6_14027
; %bb.14022:                            ;   in Loop: Header=BB6_12675 Depth=3
	v_bfe_u32 v12, v26, 23, 8
	s_delay_alu instid0(VALU_DEP_1) | instskip(SKIP_1) | instid1(VALU_DEP_2)
	v_sub_nc_u32_e32 v36, 0x70, v12
	v_cmp_gt_u32_e32 vcc_lo, 0x71, v12
	v_dual_cndmask_b32 v36, 0, v36 :: v_dual_and_b32 v27, 0x7fffff, v26
	s_delay_alu instid0(VALU_DEP_1) | instskip(SKIP_2) | instid1(VALU_DEP_4)
	v_or_b32_e32 v37, 0x800000, v27
	v_cmp_eq_u32_e32 vcc_lo, 0, v12
	v_add_nc_u32_e32 v12, 0xffffff91, v12
	v_cndmask_b32_e64 v36, v36, 0x6f, vcc_lo
	s_delay_alu instid0(VALU_DEP_4) | instskip(NEXT) | instid1(VALU_DEP_3)
	v_cndmask_b32_e32 v27, v37, v27, vcc_lo
	v_cndmask_b32_e64 v12, v12, 0xffffff92, vcc_lo
	s_delay_alu instid0(VALU_DEP_3) | instskip(NEXT) | instid1(VALU_DEP_3)
	v_lshl_add_u32 v37, 0x200000, v36, -1
	v_lshrrev_b32_e32 v38, v36, v27
	v_lshlrev_b32_e64 v48, v36, 0x100000
	s_delay_alu instid0(VALU_DEP_4) | instskip(NEXT) | instid1(VALU_DEP_4)
	v_add_nc_u32_e32 v36, v36, v12
	v_and_b32_e32 v27, v37, v27
	s_delay_alu instid0(VALU_DEP_4) | instskip(NEXT) | instid1(VALU_DEP_2)
	v_bfe_u32 v39, v38, 21, 1
	v_cmp_eq_u32_e64 s13, v27, v48
	s_delay_alu instid0(VALU_DEP_2) | instskip(NEXT) | instid1(VALU_DEP_1)
	v_add_nc_u32_e32 v37, -1, v39
	v_cndmask_b32_e64 v27, 0, v37, s13
	v_lshrrev_b32_e32 v37, 23, v38
	s_mov_b32 s13, exec_lo
	s_delay_alu instid0(VALU_DEP_2) | instskip(NEXT) | instid1(VALU_DEP_2)
	v_add_nc_u32_e32 v27, v27, v38
	v_xor_b32_e32 v37, 1, v37
	s_delay_alu instid0(VALU_DEP_2) | instskip(NEXT) | instid1(VALU_DEP_1)
	v_and_b32_e32 v12, 0x1fffff, v27
	v_add_nc_u32_e32 v27, v12, v38
                                        ; implicit-def: $vgpr12
	s_delay_alu instid0(VALU_DEP_3)
	v_cmpx_ne_u32_e64 v36, v37
	s_xor_b32 s13, exec_lo, s13
; %bb.14023:                            ;   in Loop: Header=BB6_12675 Depth=3
	s_delay_alu instid0(VALU_DEP_2) | instskip(SKIP_2) | instid1(VALU_DEP_2)
	v_cmp_lt_u32_e32 vcc_lo, 0xffffff, v27
	v_sub_nc_u32_e32 v12, v36, v37
	v_cndmask_b32_e64 v36, 0, 1, vcc_lo
	v_add_co_ci_u32_e32 v12, vcc_lo, 0, v12, vcc_lo
	s_delay_alu instid0(VALU_DEP_2)
	v_lshrrev_b32_e32 v27, v36, v27
; %bb.14024:                            ;   in Loop: Header=BB6_12675 Depth=3
	s_and_not1_saveexec_b32 s13, s13
; %bb.14025:                            ;   in Loop: Header=BB6_12675 Depth=3
	s_delay_alu instid0(VALU_DEP_1)
	v_bfe_u32 v12, v27, 23, 1
; %bb.14026:                            ;   in Loop: Header=BB6_12675 Depth=3
	s_or_b32 exec_lo, exec_lo, s13
	v_lshrrev_b32_e32 v27, 21, v27
	s_delay_alu instid0(VALU_DEP_2) | instskip(SKIP_2) | instid1(VALU_DEP_2)
	v_cmp_gt_i32_e32 vcc_lo, 32, v12
	v_lshrrev_b32_e32 v26, 24, v26
	v_min_i32_e32 v36, 31, v12
	v_dual_cndmask_b32 v27, 3, v27 :: v_dual_and_b32 v26, 0x80, v26
	s_delay_alu instid0(VALU_DEP_2) | instskip(NEXT) | instid1(VALU_DEP_2)
	v_lshlrev_b32_e32 v36, 2, v36
	v_or_b32_e32 v12, v12, v27
	s_delay_alu instid0(VALU_DEP_1) | instskip(SKIP_1) | instid1(VALU_DEP_1)
	v_cmp_ne_u32_e32 vcc_lo, 0, v12
	v_and_b32_e32 v37, 3, v27
	v_or3_b32 v26, v36, v26, v37
	s_delay_alu instid0(VALU_DEP_1)
	v_cndmask_b32_e32 v12, 0, v26, vcc_lo
.LBB6_14027:                            ;   in Loop: Header=BB6_12675 Depth=3
	s_or_b32 exec_lo, exec_lo, s30
.LBB6_14028:                            ;   in Loop: Header=BB6_12675 Depth=3
	s_delay_alu instid0(SALU_CYCLE_1) | instskip(SKIP_3) | instid1(VALU_DEP_1)
	s_or_b32 exec_lo, exec_lo, s17
	v_or_b32_e32 v26, v77, v63
	s_mov_b32 s13, 0
	s_mov_b32 s30, exec_lo
                                        ; implicit-def: $sgpr17
	v_and_b32_e32 v36, 0xff, v26
	s_delay_alu instid0(VALU_DEP_1)
	v_cmpx_lt_i16_e32 0x7f, v36
	s_xor_b32 s30, exec_lo, s30
	s_cbranch_execnz .LBB6_15018
; %bb.14029:                            ;   in Loop: Header=BB6_12675 Depth=3
	s_or_saveexec_b32 s30, s30
	v_mov_b32_e32 v27, s17
	s_xor_b32 exec_lo, exec_lo, s30
	s_cbranch_execnz .LBB6_15021
.LBB6_14030:                            ;   in Loop: Header=BB6_12675 Depth=3
	s_or_b32 exec_lo, exec_lo, s30
	s_and_saveexec_b32 s17, s13
	s_cbranch_execz .LBB6_14032
.LBB6_14031:                            ;   in Loop: Header=BB6_12675 Depth=3
	v_bfe_u32 v38, v26, 2, 5
	v_lshlrev_b32_e32 v39, 24, v26
	s_delay_alu instid0(VALU_DEP_2) | instskip(SKIP_1) | instid1(VALU_DEP_1)
	v_cmp_eq_u32_e32 vcc_lo, 0, v38
	v_and_b32_e32 v27, 3, v26
	v_clz_i32_u32_e32 v36, v27
	s_delay_alu instid0(VALU_DEP_1) | instskip(NEXT) | instid1(VALU_DEP_1)
	v_min_u32_e32 v36, 32, v36
	v_subrev_nc_u32_e32 v37, 29, v36
	v_sub_nc_u32_e32 v36, 30, v36
	s_delay_alu instid0(VALU_DEP_1) | instskip(NEXT) | instid1(VALU_DEP_1)
	v_dual_cndmask_b32 v36, v38, v36 :: v_dual_lshlrev_b32 v37, v37, v26
	v_and_b32_e32 v37, 3, v37
	s_delay_alu instid0(VALU_DEP_2) | instskip(NEXT) | instid1(VALU_DEP_2)
	v_lshl_add_u32 v36, v36, 23, 0x37800000
	v_cndmask_b32_e32 v27, v27, v37, vcc_lo
	v_and_b32_e32 v37, 0x80000000, v39
	s_delay_alu instid0(VALU_DEP_2) | instskip(NEXT) | instid1(VALU_DEP_1)
	v_lshlrev_b32_e32 v27, 21, v27
	v_or3_b32 v27, v37, v36, v27
.LBB6_14032:                            ;   in Loop: Header=BB6_12675 Depth=3
	s_or_b32 exec_lo, exec_lo, s17
	v_and_b32_e32 v37, 0xff, v13
	s_mov_b32 s13, 0
	s_mov_b32 s30, exec_lo
                                        ; implicit-def: $sgpr17
	s_delay_alu instid0(VALU_DEP_1)
	v_cmpx_lt_i16_e32 0x7f, v37
	s_xor_b32 s30, exec_lo, s30
	s_cbranch_execnz .LBB6_15022
; %bb.14033:                            ;   in Loop: Header=BB6_12675 Depth=3
	s_or_saveexec_b32 s30, s30
	v_mov_b32_e32 v36, s17
	s_xor_b32 exec_lo, exec_lo, s30
	s_cbranch_execnz .LBB6_15025
.LBB6_14034:                            ;   in Loop: Header=BB6_12675 Depth=3
	s_or_b32 exec_lo, exec_lo, s30
	s_and_saveexec_b32 s17, s13
	s_cbranch_execz .LBB6_14036
.LBB6_14035:                            ;   in Loop: Header=BB6_12675 Depth=3
	v_and_b32_e32 v36, 3, v13
	v_bfe_u32 v39, v13, 2, 5
	v_lshlrev_b32_e32 v48, 24, v13
	s_delay_alu instid0(VALU_DEP_3) | instskip(NEXT) | instid1(VALU_DEP_3)
	v_clz_i32_u32_e32 v37, v36
	v_cmp_eq_u32_e32 vcc_lo, 0, v39
	s_delay_alu instid0(VALU_DEP_2) | instskip(NEXT) | instid1(VALU_DEP_1)
	v_min_u32_e32 v37, 32, v37
	v_subrev_nc_u32_e32 v38, 29, v37
	v_sub_nc_u32_e32 v37, 30, v37
	s_delay_alu instid0(VALU_DEP_2) | instskip(NEXT) | instid1(VALU_DEP_1)
	v_lshlrev_b32_e32 v38, v38, v13
	v_dual_cndmask_b32 v37, v39, v37 :: v_dual_and_b32 v38, 3, v38
	s_delay_alu instid0(VALU_DEP_1) | instskip(NEXT) | instid1(VALU_DEP_2)
	v_lshl_add_u32 v37, v37, 23, 0x37800000
	v_cndmask_b32_e32 v36, v36, v38, vcc_lo
	v_and_b32_e32 v38, 0x80000000, v48
	s_delay_alu instid0(VALU_DEP_2) | instskip(NEXT) | instid1(VALU_DEP_1)
	v_lshlrev_b32_e32 v36, 21, v36
	v_or3_b32 v36, v38, v37, v36
.LBB6_14036:                            ;   in Loop: Header=BB6_12675 Depth=3
	s_or_b32 exec_lo, exec_lo, s17
	s_delay_alu instid0(VALU_DEP_1) | instskip(SKIP_2) | instid1(VALU_DEP_2)
	v_add_f32_e32 v27, v27, v36
	v_mov_b32_e32 v63, 0x80
	s_mov_b32 s17, exec_lo
	v_and_b32_e32 v36, 0x7f800000, v27
	s_delay_alu instid0(VALU_DEP_1)
	v_cmpx_ne_u32_e32 0x7f800000, v36
	s_cbranch_execz .LBB6_14044
; %bb.14037:                            ;   in Loop: Header=BB6_12675 Depth=3
	v_mov_b32_e32 v63, 0
	s_mov_b32 s30, exec_lo
	v_cmpx_ne_u32_e32 0, v27
	s_cbranch_execz .LBB6_14043
; %bb.14038:                            ;   in Loop: Header=BB6_12675 Depth=3
	v_bfe_u32 v36, v27, 23, 8
	s_delay_alu instid0(VALU_DEP_1) | instskip(SKIP_1) | instid1(VALU_DEP_2)
	v_sub_nc_u32_e32 v38, 0x70, v36
	v_cmp_gt_u32_e32 vcc_lo, 0x71, v36
	v_dual_cndmask_b32 v38, 0, v38 :: v_dual_and_b32 v37, 0x7fffff, v27
	s_delay_alu instid0(VALU_DEP_1) | instskip(SKIP_2) | instid1(VALU_DEP_4)
	v_or_b32_e32 v39, 0x800000, v37
	v_cmp_eq_u32_e32 vcc_lo, 0, v36
	v_add_nc_u32_e32 v36, 0xffffff91, v36
	v_cndmask_b32_e64 v38, v38, 0x6f, vcc_lo
	s_delay_alu instid0(VALU_DEP_4) | instskip(NEXT) | instid1(VALU_DEP_3)
	v_cndmask_b32_e32 v37, v39, v37, vcc_lo
	v_cndmask_b32_e64 v36, v36, 0xffffff92, vcc_lo
	s_delay_alu instid0(VALU_DEP_3) | instskip(NEXT) | instid1(VALU_DEP_3)
	v_lshl_add_u32 v39, 0x200000, v38, -1
	v_lshrrev_b32_e32 v48, v38, v37
	v_lshlrev_b32_e64 v50, v38, 0x100000
	s_delay_alu instid0(VALU_DEP_4) | instskip(NEXT) | instid1(VALU_DEP_4)
	v_add_nc_u32_e32 v38, v38, v36
	v_and_b32_e32 v37, v39, v37
	s_delay_alu instid0(VALU_DEP_4) | instskip(NEXT) | instid1(VALU_DEP_2)
	v_bfe_u32 v49, v48, 21, 1
	v_cmp_eq_u32_e64 s13, v37, v50
	s_delay_alu instid0(VALU_DEP_2) | instskip(NEXT) | instid1(VALU_DEP_1)
	v_add_nc_u32_e32 v39, -1, v49
	v_cndmask_b32_e64 v37, 0, v39, s13
	v_lshrrev_b32_e32 v39, 23, v48
	s_mov_b32 s13, exec_lo
	s_delay_alu instid0(VALU_DEP_2) | instskip(NEXT) | instid1(VALU_DEP_2)
	v_add_nc_u32_e32 v37, v37, v48
	v_xor_b32_e32 v39, 1, v39
	s_delay_alu instid0(VALU_DEP_2) | instskip(NEXT) | instid1(VALU_DEP_1)
	v_and_b32_e32 v36, 0x1fffff, v37
	v_add_nc_u32_e32 v37, v36, v48
                                        ; implicit-def: $vgpr36
	s_delay_alu instid0(VALU_DEP_3)
	v_cmpx_ne_u32_e64 v38, v39
	s_xor_b32 s13, exec_lo, s13
; %bb.14039:                            ;   in Loop: Header=BB6_12675 Depth=3
	s_delay_alu instid0(VALU_DEP_2) | instskip(SKIP_2) | instid1(VALU_DEP_2)
	v_cmp_lt_u32_e32 vcc_lo, 0xffffff, v37
	v_sub_nc_u32_e32 v36, v38, v39
	v_cndmask_b32_e64 v38, 0, 1, vcc_lo
	v_add_co_ci_u32_e32 v36, vcc_lo, 0, v36, vcc_lo
	s_delay_alu instid0(VALU_DEP_2)
	v_lshrrev_b32_e32 v37, v38, v37
; %bb.14040:                            ;   in Loop: Header=BB6_12675 Depth=3
	s_and_not1_saveexec_b32 s13, s13
; %bb.14041:                            ;   in Loop: Header=BB6_12675 Depth=3
	s_delay_alu instid0(VALU_DEP_1)
	v_bfe_u32 v36, v37, 23, 1
; %bb.14042:                            ;   in Loop: Header=BB6_12675 Depth=3
	s_or_b32 exec_lo, exec_lo, s13
	v_lshrrev_b32_e32 v37, 21, v37
	s_delay_alu instid0(VALU_DEP_2) | instskip(SKIP_2) | instid1(VALU_DEP_4)
	v_cmp_gt_i32_e32 vcc_lo, 32, v36
	v_lshrrev_b32_e32 v27, 24, v27
	v_min_i32_e32 v38, 31, v36
	v_cndmask_b32_e32 v37, 3, v37, vcc_lo
	s_delay_alu instid0(VALU_DEP_3) | instskip(NEXT) | instid1(VALU_DEP_3)
	v_and_b32_e32 v27, 0x80, v27
	v_lshlrev_b32_e32 v38, 2, v38
	s_delay_alu instid0(VALU_DEP_3) | instskip(SKIP_1) | instid1(VALU_DEP_2)
	v_and_b32_e32 v39, 3, v37
	v_or_b32_e32 v36, v36, v37
	v_or3_b32 v27, v38, v27, v39
	s_delay_alu instid0(VALU_DEP_2) | instskip(NEXT) | instid1(VALU_DEP_2)
	v_cmp_ne_u32_e32 vcc_lo, 0, v36
	v_cndmask_b32_e32 v63, 0, v27, vcc_lo
.LBB6_14043:                            ;   in Loop: Header=BB6_12675 Depth=3
	s_or_b32 exec_lo, exec_lo, s30
.LBB6_14044:                            ;   in Loop: Header=BB6_12675 Depth=3
	s_delay_alu instid0(SALU_CYCLE_1) | instskip(SKIP_3) | instid1(VALU_DEP_1)
	s_or_b32 exec_lo, exec_lo, s17
	v_lshrrev_b16 v36, 8, v26
	s_mov_b32 s13, 0
	s_mov_b32 s30, exec_lo
                                        ; implicit-def: $sgpr17
	v_cmpx_lt_i16_e32 0x7f, v36
	s_xor_b32 s30, exec_lo, s30
	s_cbranch_execnz .LBB6_15026
; %bb.14045:                            ;   in Loop: Header=BB6_12675 Depth=3
	s_or_saveexec_b32 s30, s30
	v_mov_b32_e32 v27, s17
	s_xor_b32 exec_lo, exec_lo, s30
	s_cbranch_execnz .LBB6_15029
.LBB6_14046:                            ;   in Loop: Header=BB6_12675 Depth=3
	s_or_b32 exec_lo, exec_lo, s30
	s_and_saveexec_b32 s17, s13
	s_cbranch_execz .LBB6_14048
.LBB6_14047:                            ;   in Loop: Header=BB6_12675 Depth=3
	v_and_b32_e32 v27, 0xffff, v36
	s_delay_alu instid0(VALU_DEP_1) | instskip(NEXT) | instid1(VALU_DEP_1)
	v_and_b32_e32 v37, 3, v27
	v_clz_i32_u32_e32 v38, v37
	s_delay_alu instid0(VALU_DEP_1) | instskip(NEXT) | instid1(VALU_DEP_1)
	v_min_u32_e32 v38, 32, v38
	v_subrev_nc_u32_e32 v39, 29, v38
	v_sub_nc_u32_e32 v38, 30, v38
	s_delay_alu instid0(VALU_DEP_2) | instskip(SKIP_1) | instid1(VALU_DEP_2)
	v_lshlrev_b32_e32 v39, v39, v27
	v_bfe_u32 v27, v27, 2, 5
	v_and_b32_e32 v39, 3, v39
	s_delay_alu instid0(VALU_DEP_2) | instskip(SKIP_1) | instid1(VALU_DEP_1)
	v_cmp_eq_u32_e32 vcc_lo, 0, v27
	v_dual_cndmask_b32 v27, v27, v38 :: v_dual_lshlrev_b32 v36, 24, v36
	v_dual_cndmask_b32 v37, v37, v39 :: v_dual_and_b32 v36, 0x80000000, v36
	s_delay_alu instid0(VALU_DEP_2) | instskip(NEXT) | instid1(VALU_DEP_2)
	v_lshl_add_u32 v27, v27, 23, 0x37800000
	v_lshlrev_b32_e32 v37, 21, v37
	s_delay_alu instid0(VALU_DEP_1)
	v_or3_b32 v27, v36, v27, v37
.LBB6_14048:                            ;   in Loop: Header=BB6_12675 Depth=3
	s_or_b32 exec_lo, exec_lo, s17
	v_lshrrev_b16 v36, 8, v13
	s_mov_b32 s13, 0
	s_mov_b32 s30, exec_lo
                                        ; implicit-def: $sgpr17
	s_delay_alu instid0(VALU_DEP_1)
	v_cmpx_lt_i16_e32 0x7f, v36
	s_xor_b32 s30, exec_lo, s30
	s_cbranch_execnz .LBB6_15030
; %bb.14049:                            ;   in Loop: Header=BB6_12675 Depth=3
	s_or_saveexec_b32 s30, s30
	v_mov_b32_e32 v37, s17
	s_xor_b32 exec_lo, exec_lo, s30
	s_cbranch_execnz .LBB6_15033
.LBB6_14050:                            ;   in Loop: Header=BB6_12675 Depth=3
	s_or_b32 exec_lo, exec_lo, s30
	s_and_saveexec_b32 s17, s13
	s_cbranch_execz .LBB6_14052
.LBB6_14051:                            ;   in Loop: Header=BB6_12675 Depth=3
	v_and_b32_e32 v37, 0xffff, v36
	v_lshlrev_b32_e32 v36, 24, v36
	s_delay_alu instid0(VALU_DEP_2) | instskip(NEXT) | instid1(VALU_DEP_2)
	v_and_b32_e32 v38, 3, v37
	v_and_b32_e32 v36, 0x80000000, v36
	s_delay_alu instid0(VALU_DEP_2) | instskip(NEXT) | instid1(VALU_DEP_1)
	v_clz_i32_u32_e32 v39, v38
	v_min_u32_e32 v39, 32, v39
	s_delay_alu instid0(VALU_DEP_1) | instskip(SKIP_1) | instid1(VALU_DEP_2)
	v_subrev_nc_u32_e32 v48, 29, v39
	v_sub_nc_u32_e32 v39, 30, v39
	v_lshlrev_b32_e32 v48, v48, v37
	v_bfe_u32 v37, v37, 2, 5
	s_delay_alu instid0(VALU_DEP_2) | instskip(NEXT) | instid1(VALU_DEP_2)
	v_and_b32_e32 v48, 3, v48
	v_cmp_eq_u32_e32 vcc_lo, 0, v37
	s_delay_alu instid0(VALU_DEP_2) | instskip(NEXT) | instid1(VALU_DEP_1)
	v_dual_cndmask_b32 v37, v37, v39 :: v_dual_cndmask_b32 v38, v38, v48
	v_lshl_add_u32 v37, v37, 23, 0x37800000
	s_delay_alu instid0(VALU_DEP_2) | instskip(NEXT) | instid1(VALU_DEP_1)
	v_lshlrev_b32_e32 v38, 21, v38
	v_or3_b32 v37, v36, v37, v38
.LBB6_14052:                            ;   in Loop: Header=BB6_12675 Depth=3
	s_or_b32 exec_lo, exec_lo, s17
	s_delay_alu instid0(VALU_DEP_1) | instskip(SKIP_1) | instid1(VALU_DEP_1)
	v_dual_add_f32 v27, v27, v37 :: v_dual_mov_b32 v72, 0x8000
	s_mov_b32 s17, exec_lo
	v_and_b32_e32 v36, 0x7f800000, v27
	s_delay_alu instid0(VALU_DEP_1)
	v_cmpx_ne_u32_e32 0x7f800000, v36
	s_cbranch_execz .LBB6_14060
; %bb.14053:                            ;   in Loop: Header=BB6_12675 Depth=3
	v_mov_b32_e32 v72, 0
	s_mov_b32 s30, exec_lo
	v_cmpx_ne_u32_e32 0, v27
	s_cbranch_execz .LBB6_14059
; %bb.14054:                            ;   in Loop: Header=BB6_12675 Depth=3
	v_bfe_u32 v36, v27, 23, 8
	s_delay_alu instid0(VALU_DEP_1) | instskip(SKIP_1) | instid1(VALU_DEP_2)
	v_sub_nc_u32_e32 v38, 0x70, v36
	v_cmp_gt_u32_e32 vcc_lo, 0x71, v36
	v_dual_cndmask_b32 v38, 0, v38 :: v_dual_and_b32 v37, 0x7fffff, v27
	s_delay_alu instid0(VALU_DEP_1) | instskip(SKIP_2) | instid1(VALU_DEP_4)
	v_or_b32_e32 v39, 0x800000, v37
	v_cmp_eq_u32_e32 vcc_lo, 0, v36
	v_add_nc_u32_e32 v36, 0xffffff91, v36
	v_cndmask_b32_e64 v38, v38, 0x6f, vcc_lo
	s_delay_alu instid0(VALU_DEP_4) | instskip(NEXT) | instid1(VALU_DEP_3)
	v_cndmask_b32_e32 v37, v39, v37, vcc_lo
	v_cndmask_b32_e64 v36, v36, 0xffffff92, vcc_lo
	s_delay_alu instid0(VALU_DEP_3) | instskip(NEXT) | instid1(VALU_DEP_3)
	v_lshl_add_u32 v39, 0x200000, v38, -1
	v_lshrrev_b32_e32 v48, v38, v37
	v_lshlrev_b32_e64 v50, v38, 0x100000
	s_delay_alu instid0(VALU_DEP_4) | instskip(NEXT) | instid1(VALU_DEP_4)
	v_add_nc_u32_e32 v38, v38, v36
	v_and_b32_e32 v37, v39, v37
	s_delay_alu instid0(VALU_DEP_4) | instskip(NEXT) | instid1(VALU_DEP_2)
	v_bfe_u32 v49, v48, 21, 1
	v_cmp_eq_u32_e64 s13, v37, v50
	s_delay_alu instid0(VALU_DEP_2) | instskip(NEXT) | instid1(VALU_DEP_1)
	v_add_nc_u32_e32 v39, -1, v49
	v_cndmask_b32_e64 v37, 0, v39, s13
	v_lshrrev_b32_e32 v39, 23, v48
	s_mov_b32 s13, exec_lo
	s_delay_alu instid0(VALU_DEP_2) | instskip(NEXT) | instid1(VALU_DEP_2)
	v_add_nc_u32_e32 v37, v37, v48
	v_xor_b32_e32 v39, 1, v39
	s_delay_alu instid0(VALU_DEP_2) | instskip(NEXT) | instid1(VALU_DEP_1)
	v_and_b32_e32 v36, 0x1fffff, v37
	v_add_nc_u32_e32 v37, v36, v48
                                        ; implicit-def: $vgpr36
	s_delay_alu instid0(VALU_DEP_3)
	v_cmpx_ne_u32_e64 v38, v39
	s_xor_b32 s13, exec_lo, s13
; %bb.14055:                            ;   in Loop: Header=BB6_12675 Depth=3
	s_delay_alu instid0(VALU_DEP_2) | instskip(SKIP_2) | instid1(VALU_DEP_2)
	v_cmp_lt_u32_e32 vcc_lo, 0xffffff, v37
	v_sub_nc_u32_e32 v36, v38, v39
	v_cndmask_b32_e64 v38, 0, 1, vcc_lo
	v_add_co_ci_u32_e32 v36, vcc_lo, 0, v36, vcc_lo
	s_delay_alu instid0(VALU_DEP_2)
	v_lshrrev_b32_e32 v37, v38, v37
; %bb.14056:                            ;   in Loop: Header=BB6_12675 Depth=3
	s_and_not1_saveexec_b32 s13, s13
; %bb.14057:                            ;   in Loop: Header=BB6_12675 Depth=3
	s_delay_alu instid0(VALU_DEP_1)
	v_bfe_u32 v36, v37, 23, 1
; %bb.14058:                            ;   in Loop: Header=BB6_12675 Depth=3
	s_or_b32 exec_lo, exec_lo, s13
	v_lshrrev_b32_e32 v37, 21, v37
	s_delay_alu instid0(VALU_DEP_2) | instskip(SKIP_2) | instid1(VALU_DEP_2)
	v_cmp_gt_i32_e32 vcc_lo, 32, v36
	v_min_i32_e32 v38, 31, v36
	v_lshrrev_b32_e32 v27, 24, v27
	v_dual_cndmask_b32 v37, 3, v37 :: v_dual_lshlrev_b32 v38, 2, v38
	s_delay_alu instid0(VALU_DEP_2) | instskip(NEXT) | instid1(VALU_DEP_2)
	v_and_b32_e32 v27, 0x80, v27
	v_or_b32_e32 v36, v36, v37
	s_delay_alu instid0(VALU_DEP_3) | instskip(NEXT) | instid1(VALU_DEP_2)
	v_and_b32_e32 v38, 0xfc, v38
	v_cmp_ne_u32_e32 vcc_lo, 0, v36
	v_and_b32_e32 v39, 3, v37
	s_delay_alu instid0(VALU_DEP_1) | instskip(NEXT) | instid1(VALU_DEP_1)
	v_or3_b32 v27, v27, v38, v39
	v_lshlrev_b32_e32 v27, 8, v27
	s_delay_alu instid0(VALU_DEP_1)
	v_cndmask_b32_e32 v72, 0, v27, vcc_lo
.LBB6_14059:                            ;   in Loop: Header=BB6_12675 Depth=3
	s_or_b32 exec_lo, exec_lo, s30
.LBB6_14060:                            ;   in Loop: Header=BB6_12675 Depth=3
	s_delay_alu instid0(SALU_CYCLE_1) | instskip(SKIP_3) | instid1(VALU_DEP_1)
	s_or_b32 exec_lo, exec_lo, s17
	v_or_b32_e32 v36, v73, v61
	s_mov_b32 s13, 0
	s_mov_b32 s30, exec_lo
                                        ; implicit-def: $sgpr17
	v_and_b32_e32 v37, 0xff, v36
	s_delay_alu instid0(VALU_DEP_1)
	v_cmpx_lt_i16_e32 0x7f, v37
	s_xor_b32 s30, exec_lo, s30
	s_cbranch_execnz .LBB6_15034
; %bb.14061:                            ;   in Loop: Header=BB6_12675 Depth=3
	s_or_saveexec_b32 s30, s30
	v_mov_b32_e32 v27, s17
	s_xor_b32 exec_lo, exec_lo, s30
	s_cbranch_execnz .LBB6_15037
.LBB6_14062:                            ;   in Loop: Header=BB6_12675 Depth=3
	s_or_b32 exec_lo, exec_lo, s30
	v_lshl_or_b32 v26, v36, 16, v26
	s_and_saveexec_b32 s17, s13
	s_cbranch_execz .LBB6_14064
.LBB6_14063:                            ;   in Loop: Header=BB6_12675 Depth=3
	s_delay_alu instid0(VALU_DEP_1) | instskip(SKIP_2) | instid1(VALU_DEP_3)
	v_bfe_u32 v27, v26, 16, 2
	v_lshrrev_b32_e32 v37, 16, v26
	v_lshlrev_b32_e32 v39, 8, v26
	v_clz_i32_u32_e32 v36, v27
	s_delay_alu instid0(VALU_DEP_1) | instskip(NEXT) | instid1(VALU_DEP_1)
	v_min_u32_e32 v36, 32, v36
	v_subrev_nc_u32_e32 v38, 29, v36
	v_sub_nc_u32_e32 v36, 30, v36
	s_delay_alu instid0(VALU_DEP_2) | instskip(SKIP_1) | instid1(VALU_DEP_1)
	v_lshlrev_b32_e32 v37, v38, v37
	v_bfe_u32 v38, v26, 18, 5
	v_cmp_eq_u32_e32 vcc_lo, 0, v38
	s_delay_alu instid0(VALU_DEP_3) | instskip(NEXT) | instid1(VALU_DEP_1)
	v_dual_cndmask_b32 v36, v38, v36 :: v_dual_and_b32 v37, 3, v37
	v_cndmask_b32_e32 v27, v27, v37, vcc_lo
	v_and_b32_e32 v37, 0x80000000, v39
	s_delay_alu instid0(VALU_DEP_3) | instskip(NEXT) | instid1(VALU_DEP_3)
	v_lshl_add_u32 v36, v36, 23, 0x37800000
	v_lshlrev_b32_e32 v27, 21, v27
	s_delay_alu instid0(VALU_DEP_1)
	v_or3_b32 v27, v37, v36, v27
.LBB6_14064:                            ;   in Loop: Header=BB6_12675 Depth=3
	s_or_b32 exec_lo, exec_lo, s17
	v_lshrrev_b32_e32 v36, 16, v13
	s_mov_b32 s13, 0
	s_mov_b32 s30, exec_lo
                                        ; implicit-def: $sgpr17
	s_delay_alu instid0(VALU_DEP_1) | instskip(NEXT) | instid1(VALU_DEP_1)
	v_and_b32_e32 v38, 0xff, v36
	v_cmpx_lt_i16_e32 0x7f, v38
	s_xor_b32 s30, exec_lo, s30
	s_cbranch_execnz .LBB6_15038
; %bb.14065:                            ;   in Loop: Header=BB6_12675 Depth=3
	s_or_saveexec_b32 s30, s30
	v_mov_b32_e32 v37, s17
	s_xor_b32 exec_lo, exec_lo, s30
	s_cbranch_execnz .LBB6_15041
.LBB6_14066:                            ;   in Loop: Header=BB6_12675 Depth=3
	s_or_b32 exec_lo, exec_lo, s30
	s_and_saveexec_b32 s17, s13
	s_cbranch_execz .LBB6_14068
.LBB6_14067:                            ;   in Loop: Header=BB6_12675 Depth=3
	v_bfe_u32 v37, v13, 16, 2
	v_lshlrev_b32_e32 v48, 8, v13
	s_delay_alu instid0(VALU_DEP_2) | instskip(NEXT) | instid1(VALU_DEP_1)
	v_clz_i32_u32_e32 v38, v37
	v_min_u32_e32 v38, 32, v38
	s_delay_alu instid0(VALU_DEP_1) | instskip(SKIP_1) | instid1(VALU_DEP_2)
	v_subrev_nc_u32_e32 v39, 29, v38
	v_sub_nc_u32_e32 v38, 30, v38
	v_lshlrev_b32_e32 v36, v39, v36
	v_bfe_u32 v39, v13, 18, 5
	s_delay_alu instid0(VALU_DEP_2) | instskip(NEXT) | instid1(VALU_DEP_2)
	v_and_b32_e32 v36, 3, v36
	v_cmp_eq_u32_e32 vcc_lo, 0, v39
	v_cndmask_b32_e32 v38, v39, v38, vcc_lo
	s_delay_alu instid0(VALU_DEP_3) | instskip(SKIP_1) | instid1(VALU_DEP_3)
	v_cndmask_b32_e32 v36, v37, v36, vcc_lo
	v_and_b32_e32 v37, 0x80000000, v48
	v_lshl_add_u32 v38, v38, 23, 0x37800000
	s_delay_alu instid0(VALU_DEP_3) | instskip(NEXT) | instid1(VALU_DEP_1)
	v_lshlrev_b32_e32 v36, 21, v36
	v_or3_b32 v37, v37, v38, v36
.LBB6_14068:                            ;   in Loop: Header=BB6_12675 Depth=3
	s_or_b32 exec_lo, exec_lo, s17
	s_delay_alu instid0(VALU_DEP_1) | instskip(SKIP_2) | instid1(VALU_DEP_2)
	v_add_f32_e32 v27, v27, v37
	v_mov_b32_e32 v61, 0x80
	s_mov_b32 s17, exec_lo
	v_and_b32_e32 v36, 0x7f800000, v27
	s_delay_alu instid0(VALU_DEP_1)
	v_cmpx_ne_u32_e32 0x7f800000, v36
	s_cbranch_execz .LBB6_14076
; %bb.14069:                            ;   in Loop: Header=BB6_12675 Depth=3
	v_mov_b32_e32 v61, 0
	s_mov_b32 s30, exec_lo
	v_cmpx_ne_u32_e32 0, v27
	s_cbranch_execz .LBB6_14075
; %bb.14070:                            ;   in Loop: Header=BB6_12675 Depth=3
	v_bfe_u32 v36, v27, 23, 8
	s_delay_alu instid0(VALU_DEP_1) | instskip(SKIP_1) | instid1(VALU_DEP_2)
	v_sub_nc_u32_e32 v38, 0x70, v36
	v_cmp_gt_u32_e32 vcc_lo, 0x71, v36
	v_dual_cndmask_b32 v38, 0, v38 :: v_dual_and_b32 v37, 0x7fffff, v27
	s_delay_alu instid0(VALU_DEP_1) | instskip(SKIP_2) | instid1(VALU_DEP_4)
	v_or_b32_e32 v39, 0x800000, v37
	v_cmp_eq_u32_e32 vcc_lo, 0, v36
	v_add_nc_u32_e32 v36, 0xffffff91, v36
	v_cndmask_b32_e64 v38, v38, 0x6f, vcc_lo
	s_delay_alu instid0(VALU_DEP_4) | instskip(NEXT) | instid1(VALU_DEP_3)
	v_cndmask_b32_e32 v37, v39, v37, vcc_lo
	v_cndmask_b32_e64 v36, v36, 0xffffff92, vcc_lo
	s_delay_alu instid0(VALU_DEP_3) | instskip(NEXT) | instid1(VALU_DEP_3)
	v_lshl_add_u32 v39, 0x200000, v38, -1
	v_lshrrev_b32_e32 v48, v38, v37
	v_lshlrev_b32_e64 v50, v38, 0x100000
	s_delay_alu instid0(VALU_DEP_4) | instskip(NEXT) | instid1(VALU_DEP_4)
	v_add_nc_u32_e32 v38, v38, v36
	v_and_b32_e32 v37, v39, v37
	s_delay_alu instid0(VALU_DEP_4) | instskip(NEXT) | instid1(VALU_DEP_2)
	v_bfe_u32 v49, v48, 21, 1
	v_cmp_eq_u32_e64 s13, v37, v50
	s_delay_alu instid0(VALU_DEP_2) | instskip(NEXT) | instid1(VALU_DEP_1)
	v_add_nc_u32_e32 v39, -1, v49
	v_cndmask_b32_e64 v37, 0, v39, s13
	v_lshrrev_b32_e32 v39, 23, v48
	s_mov_b32 s13, exec_lo
	s_delay_alu instid0(VALU_DEP_2) | instskip(NEXT) | instid1(VALU_DEP_2)
	v_add_nc_u32_e32 v37, v37, v48
	v_xor_b32_e32 v39, 1, v39
	s_delay_alu instid0(VALU_DEP_2) | instskip(NEXT) | instid1(VALU_DEP_1)
	v_and_b32_e32 v36, 0x1fffff, v37
	v_add_nc_u32_e32 v37, v36, v48
                                        ; implicit-def: $vgpr36
	s_delay_alu instid0(VALU_DEP_3)
	v_cmpx_ne_u32_e64 v38, v39
	s_xor_b32 s13, exec_lo, s13
; %bb.14071:                            ;   in Loop: Header=BB6_12675 Depth=3
	s_delay_alu instid0(VALU_DEP_2) | instskip(SKIP_2) | instid1(VALU_DEP_2)
	v_cmp_lt_u32_e32 vcc_lo, 0xffffff, v37
	v_sub_nc_u32_e32 v36, v38, v39
	v_cndmask_b32_e64 v38, 0, 1, vcc_lo
	v_add_co_ci_u32_e32 v36, vcc_lo, 0, v36, vcc_lo
	s_delay_alu instid0(VALU_DEP_2)
	v_lshrrev_b32_e32 v37, v38, v37
; %bb.14072:                            ;   in Loop: Header=BB6_12675 Depth=3
	s_and_not1_saveexec_b32 s13, s13
; %bb.14073:                            ;   in Loop: Header=BB6_12675 Depth=3
	s_delay_alu instid0(VALU_DEP_1)
	v_bfe_u32 v36, v37, 23, 1
; %bb.14074:                            ;   in Loop: Header=BB6_12675 Depth=3
	s_or_b32 exec_lo, exec_lo, s13
	v_lshrrev_b32_e32 v37, 21, v37
	s_delay_alu instid0(VALU_DEP_2) | instskip(SKIP_2) | instid1(VALU_DEP_2)
	v_cmp_gt_i32_e32 vcc_lo, 32, v36
	v_min_i32_e32 v38, 31, v36
	v_lshrrev_b32_e32 v27, 24, v27
	v_dual_cndmask_b32 v37, 3, v37 :: v_dual_lshlrev_b32 v38, 2, v38
	s_delay_alu instid0(VALU_DEP_2) | instskip(NEXT) | instid1(VALU_DEP_2)
	v_and_b32_e32 v27, 0x80, v27
	v_or_b32_e32 v36, v36, v37
	v_and_b32_e32 v39, 3, v37
	s_delay_alu instid0(VALU_DEP_2) | instskip(SKIP_1) | instid1(VALU_DEP_1)
	v_cmp_ne_u32_e32 vcc_lo, 0, v36
	v_and_b32_e32 v38, 0xfc, v38
	v_or3_b32 v27, v38, v27, v39
	s_delay_alu instid0(VALU_DEP_1)
	v_cndmask_b32_e32 v61, 0, v27, vcc_lo
.LBB6_14075:                            ;   in Loop: Header=BB6_12675 Depth=3
	s_or_b32 exec_lo, exec_lo, s30
.LBB6_14076:                            ;   in Loop: Header=BB6_12675 Depth=3
	s_delay_alu instid0(SALU_CYCLE_1) | instskip(SKIP_3) | instid1(VALU_DEP_1)
	s_or_b32 exec_lo, exec_lo, s17
	v_lshrrev_b32_e32 v36, 24, v26
	s_mov_b32 s13, 0
	s_mov_b32 s30, exec_lo
                                        ; implicit-def: $sgpr17
	v_cmpx_lt_i16_e32 0x7f, v36
	s_xor_b32 s30, exec_lo, s30
	s_cbranch_execnz .LBB6_15042
; %bb.14077:                            ;   in Loop: Header=BB6_12675 Depth=3
	s_or_saveexec_b32 s30, s30
	v_mov_b32_e32 v27, s17
	s_xor_b32 exec_lo, exec_lo, s30
	s_cbranch_execnz .LBB6_15045
.LBB6_14078:                            ;   in Loop: Header=BB6_12675 Depth=3
	s_or_b32 exec_lo, exec_lo, s30
	s_and_saveexec_b32 s17, s13
	s_cbranch_execz .LBB6_14080
.LBB6_14079:                            ;   in Loop: Header=BB6_12675 Depth=3
	v_bfe_u32 v27, v26, 24, 2
	s_delay_alu instid0(VALU_DEP_1) | instskip(NEXT) | instid1(VALU_DEP_1)
	v_clz_i32_u32_e32 v37, v27
	v_min_u32_e32 v37, 32, v37
	s_delay_alu instid0(VALU_DEP_1) | instskip(SKIP_1) | instid1(VALU_DEP_2)
	v_subrev_nc_u32_e32 v38, 29, v37
	v_sub_nc_u32_e32 v37, 30, v37
	v_lshlrev_b32_e32 v36, v38, v36
	v_bfe_u32 v38, v26, 26, 5
	v_and_b32_e32 v26, 0x80000000, v26
	s_delay_alu instid0(VALU_DEP_2) | instskip(NEXT) | instid1(VALU_DEP_4)
	v_cmp_eq_u32_e32 vcc_lo, 0, v38
	v_dual_cndmask_b32 v37, v38, v37 :: v_dual_and_b32 v36, 3, v36
	s_delay_alu instid0(VALU_DEP_1) | instskip(NEXT) | instid1(VALU_DEP_2)
	v_cndmask_b32_e32 v27, v27, v36, vcc_lo
	v_lshl_add_u32 v36, v37, 23, 0x37800000
	s_delay_alu instid0(VALU_DEP_2) | instskip(NEXT) | instid1(VALU_DEP_1)
	v_lshlrev_b32_e32 v27, 21, v27
	v_or3_b32 v27, v26, v36, v27
.LBB6_14080:                            ;   in Loop: Header=BB6_12675 Depth=3
	s_or_b32 exec_lo, exec_lo, s17
	v_lshrrev_b32_e32 v26, 24, v13
	s_mov_b32 s13, 0
	s_mov_b32 s30, exec_lo
                                        ; implicit-def: $sgpr17
	s_delay_alu instid0(VALU_DEP_1)
	v_cmpx_lt_i16_e32 0x7f, v26
	s_xor_b32 s30, exec_lo, s30
	s_cbranch_execnz .LBB6_15046
; %bb.14081:                            ;   in Loop: Header=BB6_12675 Depth=3
	s_or_saveexec_b32 s30, s30
	v_mov_b32_e32 v36, s17
	s_xor_b32 exec_lo, exec_lo, s30
	s_cbranch_execnz .LBB6_15049
.LBB6_14082:                            ;   in Loop: Header=BB6_12675 Depth=3
	s_or_b32 exec_lo, exec_lo, s30
	s_and_saveexec_b32 s17, s13
	s_cbranch_execz .LBB6_14084
.LBB6_14083:                            ;   in Loop: Header=BB6_12675 Depth=3
	v_bfe_u32 v36, v13, 24, 2
	s_delay_alu instid0(VALU_DEP_1) | instskip(NEXT) | instid1(VALU_DEP_1)
	v_clz_i32_u32_e32 v37, v36
	v_min_u32_e32 v37, 32, v37
	s_delay_alu instid0(VALU_DEP_1) | instskip(SKIP_1) | instid1(VALU_DEP_2)
	v_subrev_nc_u32_e32 v38, 29, v37
	v_sub_nc_u32_e32 v37, 30, v37
	v_lshlrev_b32_e32 v26, v38, v26
	v_bfe_u32 v38, v13, 26, 5
	v_and_b32_e32 v13, 0x80000000, v13
	s_delay_alu instid0(VALU_DEP_2) | instskip(NEXT) | instid1(VALU_DEP_4)
	v_cmp_eq_u32_e32 vcc_lo, 0, v38
	v_dual_cndmask_b32 v37, v38, v37 :: v_dual_and_b32 v26, 3, v26
	s_delay_alu instid0(VALU_DEP_1) | instskip(NEXT) | instid1(VALU_DEP_2)
	v_cndmask_b32_e32 v26, v36, v26, vcc_lo
	v_lshl_add_u32 v36, v37, 23, 0x37800000
	s_delay_alu instid0(VALU_DEP_2) | instskip(NEXT) | instid1(VALU_DEP_1)
	v_lshlrev_b32_e32 v26, 21, v26
	v_or3_b32 v36, v13, v36, v26
.LBB6_14084:                            ;   in Loop: Header=BB6_12675 Depth=3
	s_or_b32 exec_lo, exec_lo, s17
	s_delay_alu instid0(VALU_DEP_1) | instskip(NEXT) | instid1(VALU_DEP_1)
	v_add_f32_e32 v26, v27, v36
	v_and_b32_e32 v13, 0x7f800000, v26
	s_delay_alu instid0(VALU_DEP_1)
	v_cmp_ne_u32_e32 vcc_lo, 0x7f800000, v13
	v_mov_b32_e32 v13, 0x8000
	s_and_saveexec_b32 s17, vcc_lo
	s_cbranch_execz .LBB6_14092
; %bb.14085:                            ;   in Loop: Header=BB6_12675 Depth=3
	v_mov_b32_e32 v13, 0
	s_mov_b32 s30, exec_lo
	v_cmpx_ne_u32_e32 0, v26
	s_cbranch_execz .LBB6_14091
; %bb.14086:                            ;   in Loop: Header=BB6_12675 Depth=3
	v_bfe_u32 v13, v26, 23, 8
	s_delay_alu instid0(VALU_DEP_1) | instskip(SKIP_1) | instid1(VALU_DEP_2)
	v_sub_nc_u32_e32 v36, 0x70, v13
	v_cmp_gt_u32_e32 vcc_lo, 0x71, v13
	v_dual_cndmask_b32 v36, 0, v36 :: v_dual_and_b32 v27, 0x7fffff, v26
	s_delay_alu instid0(VALU_DEP_1) | instskip(SKIP_2) | instid1(VALU_DEP_4)
	v_or_b32_e32 v37, 0x800000, v27
	v_cmp_eq_u32_e32 vcc_lo, 0, v13
	v_add_nc_u32_e32 v13, 0xffffff91, v13
	v_cndmask_b32_e64 v36, v36, 0x6f, vcc_lo
	s_delay_alu instid0(VALU_DEP_2) | instskip(SKIP_1) | instid1(VALU_DEP_3)
	v_cndmask_b32_e64 v13, v13, 0xffffff92, vcc_lo
	v_cndmask_b32_e32 v27, v37, v27, vcc_lo
	v_lshl_add_u32 v37, 0x200000, v36, -1
	v_lshlrev_b32_e64 v48, v36, 0x100000
	s_delay_alu instid0(VALU_DEP_3) | instskip(SKIP_1) | instid1(VALU_DEP_4)
	v_lshrrev_b32_e32 v38, v36, v27
	v_add_nc_u32_e32 v36, v36, v13
	v_and_b32_e32 v27, v37, v27
	s_delay_alu instid0(VALU_DEP_3) | instskip(NEXT) | instid1(VALU_DEP_2)
	v_bfe_u32 v39, v38, 21, 1
	v_cmp_eq_u32_e64 s13, v27, v48
	s_delay_alu instid0(VALU_DEP_2) | instskip(NEXT) | instid1(VALU_DEP_1)
	v_add_nc_u32_e32 v37, -1, v39
	v_cndmask_b32_e64 v27, 0, v37, s13
	v_lshrrev_b32_e32 v37, 23, v38
	s_mov_b32 s13, exec_lo
	s_delay_alu instid0(VALU_DEP_2) | instskip(NEXT) | instid1(VALU_DEP_2)
	v_add_nc_u32_e32 v27, v27, v38
	v_xor_b32_e32 v37, 1, v37
	s_delay_alu instid0(VALU_DEP_2) | instskip(NEXT) | instid1(VALU_DEP_1)
	v_and_b32_e32 v13, 0x1fffff, v27
	v_add_nc_u32_e32 v27, v13, v38
                                        ; implicit-def: $vgpr13
	s_delay_alu instid0(VALU_DEP_3)
	v_cmpx_ne_u32_e64 v36, v37
	s_xor_b32 s13, exec_lo, s13
; %bb.14087:                            ;   in Loop: Header=BB6_12675 Depth=3
	s_delay_alu instid0(VALU_DEP_2) | instskip(SKIP_2) | instid1(VALU_DEP_2)
	v_cmp_lt_u32_e32 vcc_lo, 0xffffff, v27
	v_sub_nc_u32_e32 v13, v36, v37
	v_cndmask_b32_e64 v36, 0, 1, vcc_lo
	v_add_co_ci_u32_e32 v13, vcc_lo, 0, v13, vcc_lo
	s_delay_alu instid0(VALU_DEP_2)
	v_lshrrev_b32_e32 v27, v36, v27
; %bb.14088:                            ;   in Loop: Header=BB6_12675 Depth=3
	s_and_not1_saveexec_b32 s13, s13
; %bb.14089:                            ;   in Loop: Header=BB6_12675 Depth=3
	s_delay_alu instid0(VALU_DEP_1)
	v_bfe_u32 v13, v27, 23, 1
; %bb.14090:                            ;   in Loop: Header=BB6_12675 Depth=3
	s_or_b32 exec_lo, exec_lo, s13
	v_lshrrev_b32_e32 v27, 21, v27
	s_delay_alu instid0(VALU_DEP_2) | instskip(SKIP_2) | instid1(VALU_DEP_2)
	v_cmp_gt_i32_e32 vcc_lo, 32, v13
	v_min_i32_e32 v36, 31, v13
	v_lshrrev_b32_e32 v26, 24, v26
	v_dual_cndmask_b32 v27, 3, v27 :: v_dual_lshlrev_b32 v36, 2, v36
	s_delay_alu instid0(VALU_DEP_2) | instskip(NEXT) | instid1(VALU_DEP_2)
	v_and_b32_e32 v26, 0x80, v26
	v_or_b32_e32 v13, v13, v27
	v_and_b32_e32 v37, 3, v27
	s_delay_alu instid0(VALU_DEP_2) | instskip(SKIP_1) | instid1(VALU_DEP_1)
	v_cmp_ne_u32_e32 vcc_lo, 0, v13
	v_and_b32_e32 v36, 0xfc, v36
	v_or3_b32 v26, v26, v36, v37
	s_delay_alu instid0(VALU_DEP_1) | instskip(NEXT) | instid1(VALU_DEP_1)
	v_lshlrev_b32_e32 v26, 8, v26
	v_cndmask_b32_e32 v13, 0, v26, vcc_lo
.LBB6_14091:                            ;   in Loop: Header=BB6_12675 Depth=3
	s_or_b32 exec_lo, exec_lo, s30
.LBB6_14092:                            ;   in Loop: Header=BB6_12675 Depth=3
	s_delay_alu instid0(SALU_CYCLE_1) | instskip(SKIP_3) | instid1(VALU_DEP_1)
	s_or_b32 exec_lo, exec_lo, s17
	v_and_b32_e32 v27, 0xff, v60
	s_mov_b32 s13, 0
	s_mov_b32 s30, exec_lo
                                        ; implicit-def: $sgpr17
	v_cmpx_lt_i16_e32 0x7f, v27
	s_xor_b32 s30, exec_lo, s30
	s_cbranch_execnz .LBB6_15050
; %bb.14093:                            ;   in Loop: Header=BB6_12675 Depth=3
	s_or_saveexec_b32 s30, s30
	v_mov_b32_e32 v26, s17
	s_xor_b32 exec_lo, exec_lo, s30
	s_cbranch_execnz .LBB6_15053
.LBB6_14094:                            ;   in Loop: Header=BB6_12675 Depth=3
	s_or_b32 exec_lo, exec_lo, s30
	s_and_saveexec_b32 s17, s13
	s_cbranch_execz .LBB6_14096
.LBB6_14095:                            ;   in Loop: Header=BB6_12675 Depth=3
	v_bfe_u32 v37, v60, 2, 5
	v_lshlrev_b32_e32 v38, 24, v60
	s_delay_alu instid0(VALU_DEP_2) | instskip(SKIP_1) | instid1(VALU_DEP_1)
	v_cmp_eq_u32_e32 vcc_lo, 0, v37
	v_and_b32_e32 v26, 3, v60
	v_clz_i32_u32_e32 v27, v26
	s_delay_alu instid0(VALU_DEP_1) | instskip(NEXT) | instid1(VALU_DEP_1)
	v_min_u32_e32 v27, 32, v27
	v_subrev_nc_u32_e32 v36, 29, v27
	v_sub_nc_u32_e32 v27, 30, v27
	s_delay_alu instid0(VALU_DEP_1) | instskip(NEXT) | instid1(VALU_DEP_1)
	v_dual_cndmask_b32 v27, v37, v27 :: v_dual_lshlrev_b32 v36, v36, v60
	v_and_b32_e32 v36, 3, v36
	s_delay_alu instid0(VALU_DEP_2) | instskip(NEXT) | instid1(VALU_DEP_2)
	v_lshl_add_u32 v27, v27, 23, 0x37800000
	v_cndmask_b32_e32 v26, v26, v36, vcc_lo
	v_and_b32_e32 v36, 0x80000000, v38
	s_delay_alu instid0(VALU_DEP_2) | instskip(NEXT) | instid1(VALU_DEP_1)
	v_lshlrev_b32_e32 v26, 21, v26
	v_or3_b32 v26, v36, v27, v26
.LBB6_14096:                            ;   in Loop: Header=BB6_12675 Depth=3
	s_or_b32 exec_lo, exec_lo, s17
	v_and_b32_e32 v36, 0xff, v14
	s_mov_b32 s13, 0
	s_mov_b32 s30, exec_lo
                                        ; implicit-def: $sgpr17
	s_delay_alu instid0(VALU_DEP_1)
	v_cmpx_lt_i16_e32 0x7f, v36
	s_xor_b32 s30, exec_lo, s30
	s_cbranch_execnz .LBB6_15054
; %bb.14097:                            ;   in Loop: Header=BB6_12675 Depth=3
	s_or_saveexec_b32 s30, s30
	v_mov_b32_e32 v27, s17
	s_xor_b32 exec_lo, exec_lo, s30
	s_cbranch_execnz .LBB6_15057
.LBB6_14098:                            ;   in Loop: Header=BB6_12675 Depth=3
	s_or_b32 exec_lo, exec_lo, s30
	s_and_saveexec_b32 s17, s13
	s_cbranch_execz .LBB6_14100
.LBB6_14099:                            ;   in Loop: Header=BB6_12675 Depth=3
	v_bfe_u32 v38, v14, 2, 5
	v_lshlrev_b32_e32 v39, 24, v14
	s_delay_alu instid0(VALU_DEP_2) | instskip(SKIP_1) | instid1(VALU_DEP_1)
	v_cmp_eq_u32_e32 vcc_lo, 0, v38
	v_and_b32_e32 v27, 3, v14
	v_clz_i32_u32_e32 v36, v27
	s_delay_alu instid0(VALU_DEP_1) | instskip(NEXT) | instid1(VALU_DEP_1)
	v_min_u32_e32 v36, 32, v36
	v_subrev_nc_u32_e32 v37, 29, v36
	v_sub_nc_u32_e32 v36, 30, v36
	s_delay_alu instid0(VALU_DEP_1) | instskip(NEXT) | instid1(VALU_DEP_1)
	v_dual_cndmask_b32 v36, v38, v36 :: v_dual_lshlrev_b32 v37, v37, v14
	v_and_b32_e32 v37, 3, v37
	s_delay_alu instid0(VALU_DEP_2) | instskip(NEXT) | instid1(VALU_DEP_2)
	v_lshl_add_u32 v36, v36, 23, 0x37800000
	v_cndmask_b32_e32 v27, v27, v37, vcc_lo
	v_and_b32_e32 v37, 0x80000000, v39
	s_delay_alu instid0(VALU_DEP_2) | instskip(NEXT) | instid1(VALU_DEP_1)
	v_lshlrev_b32_e32 v27, 21, v27
	v_or3_b32 v27, v37, v36, v27
.LBB6_14100:                            ;   in Loop: Header=BB6_12675 Depth=3
	s_or_b32 exec_lo, exec_lo, s17
	s_delay_alu instid0(VALU_DEP_1) | instskip(SKIP_2) | instid1(VALU_DEP_2)
	v_add_f32_e32 v26, v26, v27
	v_mov_b32_e32 v60, 0x80
	s_mov_b32 s17, exec_lo
	v_and_b32_e32 v27, 0x7f800000, v26
	s_delay_alu instid0(VALU_DEP_1)
	v_cmpx_ne_u32_e32 0x7f800000, v27
	s_cbranch_execz .LBB6_14108
; %bb.14101:                            ;   in Loop: Header=BB6_12675 Depth=3
	v_mov_b32_e32 v60, 0
	s_mov_b32 s30, exec_lo
	v_cmpx_ne_u32_e32 0, v26
	s_cbranch_execz .LBB6_14107
; %bb.14102:                            ;   in Loop: Header=BB6_12675 Depth=3
	v_bfe_u32 v27, v26, 23, 8
	s_delay_alu instid0(VALU_DEP_1) | instskip(SKIP_1) | instid1(VALU_DEP_2)
	v_sub_nc_u32_e32 v37, 0x70, v27
	v_cmp_gt_u32_e32 vcc_lo, 0x71, v27
	v_dual_cndmask_b32 v37, 0, v37 :: v_dual_and_b32 v36, 0x7fffff, v26
	s_delay_alu instid0(VALU_DEP_1) | instskip(SKIP_2) | instid1(VALU_DEP_4)
	v_or_b32_e32 v38, 0x800000, v36
	v_cmp_eq_u32_e32 vcc_lo, 0, v27
	v_add_nc_u32_e32 v27, 0xffffff91, v27
	v_cndmask_b32_e64 v37, v37, 0x6f, vcc_lo
	s_delay_alu instid0(VALU_DEP_4) | instskip(NEXT) | instid1(VALU_DEP_3)
	v_cndmask_b32_e32 v36, v38, v36, vcc_lo
	v_cndmask_b32_e64 v27, v27, 0xffffff92, vcc_lo
	s_delay_alu instid0(VALU_DEP_3) | instskip(NEXT) | instid1(VALU_DEP_3)
	v_lshl_add_u32 v38, 0x200000, v37, -1
	v_lshrrev_b32_e32 v39, v37, v36
	v_lshlrev_b32_e64 v49, v37, 0x100000
	s_delay_alu instid0(VALU_DEP_4) | instskip(NEXT) | instid1(VALU_DEP_4)
	v_add_nc_u32_e32 v37, v37, v27
	v_and_b32_e32 v36, v38, v36
	s_delay_alu instid0(VALU_DEP_4) | instskip(NEXT) | instid1(VALU_DEP_2)
	v_bfe_u32 v48, v39, 21, 1
	v_cmp_eq_u32_e64 s13, v36, v49
	s_delay_alu instid0(VALU_DEP_2) | instskip(NEXT) | instid1(VALU_DEP_1)
	v_add_nc_u32_e32 v38, -1, v48
	v_cndmask_b32_e64 v36, 0, v38, s13
	v_lshrrev_b32_e32 v38, 23, v39
	s_mov_b32 s13, exec_lo
	s_delay_alu instid0(VALU_DEP_2) | instskip(NEXT) | instid1(VALU_DEP_2)
	v_add_nc_u32_e32 v36, v36, v39
	v_xor_b32_e32 v38, 1, v38
	s_delay_alu instid0(VALU_DEP_2) | instskip(NEXT) | instid1(VALU_DEP_1)
	v_and_b32_e32 v27, 0x1fffff, v36
	v_add_nc_u32_e32 v36, v27, v39
                                        ; implicit-def: $vgpr27
	s_delay_alu instid0(VALU_DEP_3)
	v_cmpx_ne_u32_e64 v37, v38
	s_xor_b32 s13, exec_lo, s13
; %bb.14103:                            ;   in Loop: Header=BB6_12675 Depth=3
	s_delay_alu instid0(VALU_DEP_2) | instskip(SKIP_2) | instid1(VALU_DEP_2)
	v_cmp_lt_u32_e32 vcc_lo, 0xffffff, v36
	v_sub_nc_u32_e32 v27, v37, v38
	v_cndmask_b32_e64 v37, 0, 1, vcc_lo
	v_add_co_ci_u32_e32 v27, vcc_lo, 0, v27, vcc_lo
	s_delay_alu instid0(VALU_DEP_2)
	v_lshrrev_b32_e32 v36, v37, v36
; %bb.14104:                            ;   in Loop: Header=BB6_12675 Depth=3
	s_and_not1_saveexec_b32 s13, s13
; %bb.14105:                            ;   in Loop: Header=BB6_12675 Depth=3
	s_delay_alu instid0(VALU_DEP_1)
	v_bfe_u32 v27, v36, 23, 1
; %bb.14106:                            ;   in Loop: Header=BB6_12675 Depth=3
	s_or_b32 exec_lo, exec_lo, s13
	v_lshrrev_b32_e32 v36, 21, v36
	s_delay_alu instid0(VALU_DEP_2) | instskip(SKIP_2) | instid1(VALU_DEP_4)
	v_cmp_gt_i32_e32 vcc_lo, 32, v27
	v_lshrrev_b32_e32 v26, 24, v26
	v_min_i32_e32 v37, 31, v27
	v_cndmask_b32_e32 v36, 3, v36, vcc_lo
	s_delay_alu instid0(VALU_DEP_3) | instskip(NEXT) | instid1(VALU_DEP_3)
	v_and_b32_e32 v26, 0x80, v26
	v_lshlrev_b32_e32 v37, 2, v37
	s_delay_alu instid0(VALU_DEP_3) | instskip(SKIP_1) | instid1(VALU_DEP_2)
	v_and_b32_e32 v38, 3, v36
	v_or_b32_e32 v27, v27, v36
	v_or3_b32 v26, v37, v26, v38
	s_delay_alu instid0(VALU_DEP_2) | instskip(NEXT) | instid1(VALU_DEP_2)
	v_cmp_ne_u32_e32 vcc_lo, 0, v27
	v_cndmask_b32_e32 v60, 0, v26, vcc_lo
.LBB6_14107:                            ;   in Loop: Header=BB6_12675 Depth=3
	s_or_b32 exec_lo, exec_lo, s30
.LBB6_14108:                            ;   in Loop: Header=BB6_12675 Depth=3
	s_delay_alu instid0(SALU_CYCLE_1) | instskip(SKIP_3) | instid1(VALU_DEP_1)
	s_or_b32 exec_lo, exec_lo, s17
	v_and_b32_e32 v27, 0xff, v58
	s_mov_b32 s13, 0
	s_mov_b32 s30, exec_lo
                                        ; implicit-def: $sgpr17
	v_cmpx_lt_i16_e32 0x7f, v27
	s_xor_b32 s30, exec_lo, s30
	s_cbranch_execnz .LBB6_15058
; %bb.14109:                            ;   in Loop: Header=BB6_12675 Depth=3
	s_or_saveexec_b32 s30, s30
	v_mov_b32_e32 v26, s17
	s_xor_b32 exec_lo, exec_lo, s30
	s_cbranch_execnz .LBB6_15061
.LBB6_14110:                            ;   in Loop: Header=BB6_12675 Depth=3
	s_or_b32 exec_lo, exec_lo, s30
	s_and_saveexec_b32 s17, s13
	s_cbranch_execz .LBB6_14112
.LBB6_14111:                            ;   in Loop: Header=BB6_12675 Depth=3
	v_bfe_u32 v37, v58, 2, 5
	v_lshlrev_b32_e32 v38, 24, v58
	s_delay_alu instid0(VALU_DEP_2) | instskip(SKIP_1) | instid1(VALU_DEP_1)
	v_cmp_eq_u32_e32 vcc_lo, 0, v37
	v_and_b32_e32 v26, 3, v58
	v_clz_i32_u32_e32 v27, v26
	s_delay_alu instid0(VALU_DEP_1) | instskip(NEXT) | instid1(VALU_DEP_1)
	v_min_u32_e32 v27, 32, v27
	v_subrev_nc_u32_e32 v36, 29, v27
	v_sub_nc_u32_e32 v27, 30, v27
	s_delay_alu instid0(VALU_DEP_1) | instskip(NEXT) | instid1(VALU_DEP_1)
	v_dual_cndmask_b32 v27, v37, v27 :: v_dual_lshlrev_b32 v36, v36, v58
	v_and_b32_e32 v36, 3, v36
	s_delay_alu instid0(VALU_DEP_2) | instskip(NEXT) | instid1(VALU_DEP_2)
	v_lshl_add_u32 v27, v27, 23, 0x37800000
	v_cndmask_b32_e32 v26, v26, v36, vcc_lo
	v_and_b32_e32 v36, 0x80000000, v38
	s_delay_alu instid0(VALU_DEP_2) | instskip(NEXT) | instid1(VALU_DEP_1)
	v_lshlrev_b32_e32 v26, 21, v26
	v_or3_b32 v26, v36, v27, v26
.LBB6_14112:                            ;   in Loop: Header=BB6_12675 Depth=3
	s_or_b32 exec_lo, exec_lo, s17
	v_lshrrev_b16 v27, 8, v14
	s_mov_b32 s13, 0
	s_mov_b32 s30, exec_lo
                                        ; implicit-def: $sgpr17
	s_delay_alu instid0(VALU_DEP_1)
	v_cmpx_lt_i16_e32 0x7f, v27
	s_xor_b32 s30, exec_lo, s30
	s_cbranch_execnz .LBB6_15062
; %bb.14113:                            ;   in Loop: Header=BB6_12675 Depth=3
	s_or_saveexec_b32 s30, s30
	v_mov_b32_e32 v36, s17
	s_xor_b32 exec_lo, exec_lo, s30
	s_cbranch_execnz .LBB6_15065
.LBB6_14114:                            ;   in Loop: Header=BB6_12675 Depth=3
	s_or_b32 exec_lo, exec_lo, s30
	s_and_saveexec_b32 s17, s13
	s_cbranch_execz .LBB6_14116
.LBB6_14115:                            ;   in Loop: Header=BB6_12675 Depth=3
	v_and_b32_e32 v36, 0xffff, v27
	v_lshlrev_b32_e32 v27, 24, v27
	s_delay_alu instid0(VALU_DEP_2) | instskip(NEXT) | instid1(VALU_DEP_2)
	v_and_b32_e32 v37, 3, v36
	v_and_b32_e32 v27, 0x80000000, v27
	s_delay_alu instid0(VALU_DEP_2) | instskip(NEXT) | instid1(VALU_DEP_1)
	v_clz_i32_u32_e32 v38, v37
	v_min_u32_e32 v38, 32, v38
	s_delay_alu instid0(VALU_DEP_1) | instskip(SKIP_1) | instid1(VALU_DEP_2)
	v_subrev_nc_u32_e32 v39, 29, v38
	v_sub_nc_u32_e32 v38, 30, v38
	v_lshlrev_b32_e32 v39, v39, v36
	v_bfe_u32 v36, v36, 2, 5
	s_delay_alu instid0(VALU_DEP_2) | instskip(NEXT) | instid1(VALU_DEP_2)
	v_and_b32_e32 v39, 3, v39
	v_cmp_eq_u32_e32 vcc_lo, 0, v36
	s_delay_alu instid0(VALU_DEP_2) | instskip(NEXT) | instid1(VALU_DEP_1)
	v_dual_cndmask_b32 v36, v36, v38 :: v_dual_cndmask_b32 v37, v37, v39
	v_lshl_add_u32 v36, v36, 23, 0x37800000
	s_delay_alu instid0(VALU_DEP_2) | instskip(NEXT) | instid1(VALU_DEP_1)
	v_lshlrev_b32_e32 v37, 21, v37
	v_or3_b32 v36, v27, v36, v37
.LBB6_14116:                            ;   in Loop: Header=BB6_12675 Depth=3
	s_or_b32 exec_lo, exec_lo, s17
	s_delay_alu instid0(VALU_DEP_1) | instskip(SKIP_2) | instid1(VALU_DEP_2)
	v_add_f32_e32 v26, v26, v36
	v_mov_b32_e32 v58, 0x80
	s_mov_b32 s17, exec_lo
	v_and_b32_e32 v27, 0x7f800000, v26
	s_delay_alu instid0(VALU_DEP_1)
	v_cmpx_ne_u32_e32 0x7f800000, v27
	s_cbranch_execz .LBB6_14124
; %bb.14117:                            ;   in Loop: Header=BB6_12675 Depth=3
	v_mov_b32_e32 v58, 0
	s_mov_b32 s30, exec_lo
	v_cmpx_ne_u32_e32 0, v26
	s_cbranch_execz .LBB6_14123
; %bb.14118:                            ;   in Loop: Header=BB6_12675 Depth=3
	v_bfe_u32 v27, v26, 23, 8
	s_delay_alu instid0(VALU_DEP_1) | instskip(SKIP_1) | instid1(VALU_DEP_2)
	v_sub_nc_u32_e32 v37, 0x70, v27
	v_cmp_gt_u32_e32 vcc_lo, 0x71, v27
	v_dual_cndmask_b32 v37, 0, v37 :: v_dual_and_b32 v36, 0x7fffff, v26
	s_delay_alu instid0(VALU_DEP_1) | instskip(SKIP_2) | instid1(VALU_DEP_4)
	v_or_b32_e32 v38, 0x800000, v36
	v_cmp_eq_u32_e32 vcc_lo, 0, v27
	v_add_nc_u32_e32 v27, 0xffffff91, v27
	v_cndmask_b32_e64 v37, v37, 0x6f, vcc_lo
	s_delay_alu instid0(VALU_DEP_4) | instskip(NEXT) | instid1(VALU_DEP_3)
	v_cndmask_b32_e32 v36, v38, v36, vcc_lo
	v_cndmask_b32_e64 v27, v27, 0xffffff92, vcc_lo
	s_delay_alu instid0(VALU_DEP_3) | instskip(NEXT) | instid1(VALU_DEP_3)
	v_lshl_add_u32 v38, 0x200000, v37, -1
	v_lshrrev_b32_e32 v39, v37, v36
	v_lshlrev_b32_e64 v49, v37, 0x100000
	s_delay_alu instid0(VALU_DEP_4) | instskip(NEXT) | instid1(VALU_DEP_4)
	v_add_nc_u32_e32 v37, v37, v27
	v_and_b32_e32 v36, v38, v36
	s_delay_alu instid0(VALU_DEP_4) | instskip(NEXT) | instid1(VALU_DEP_2)
	v_bfe_u32 v48, v39, 21, 1
	v_cmp_eq_u32_e64 s13, v36, v49
	s_delay_alu instid0(VALU_DEP_2) | instskip(NEXT) | instid1(VALU_DEP_1)
	v_add_nc_u32_e32 v38, -1, v48
	v_cndmask_b32_e64 v36, 0, v38, s13
	v_lshrrev_b32_e32 v38, 23, v39
	s_mov_b32 s13, exec_lo
	s_delay_alu instid0(VALU_DEP_2) | instskip(NEXT) | instid1(VALU_DEP_2)
	v_add_nc_u32_e32 v36, v36, v39
	v_xor_b32_e32 v38, 1, v38
	s_delay_alu instid0(VALU_DEP_2) | instskip(NEXT) | instid1(VALU_DEP_1)
	v_and_b32_e32 v27, 0x1fffff, v36
	v_add_nc_u32_e32 v36, v27, v39
                                        ; implicit-def: $vgpr27
	s_delay_alu instid0(VALU_DEP_3)
	v_cmpx_ne_u32_e64 v37, v38
	s_xor_b32 s13, exec_lo, s13
; %bb.14119:                            ;   in Loop: Header=BB6_12675 Depth=3
	s_delay_alu instid0(VALU_DEP_2) | instskip(SKIP_2) | instid1(VALU_DEP_2)
	v_cmp_lt_u32_e32 vcc_lo, 0xffffff, v36
	v_sub_nc_u32_e32 v27, v37, v38
	v_cndmask_b32_e64 v37, 0, 1, vcc_lo
	v_add_co_ci_u32_e32 v27, vcc_lo, 0, v27, vcc_lo
	s_delay_alu instid0(VALU_DEP_2)
	v_lshrrev_b32_e32 v36, v37, v36
; %bb.14120:                            ;   in Loop: Header=BB6_12675 Depth=3
	s_and_not1_saveexec_b32 s13, s13
; %bb.14121:                            ;   in Loop: Header=BB6_12675 Depth=3
	s_delay_alu instid0(VALU_DEP_1)
	v_bfe_u32 v27, v36, 23, 1
; %bb.14122:                            ;   in Loop: Header=BB6_12675 Depth=3
	s_or_b32 exec_lo, exec_lo, s13
	v_lshrrev_b32_e32 v36, 21, v36
	s_delay_alu instid0(VALU_DEP_2) | instskip(SKIP_2) | instid1(VALU_DEP_4)
	v_cmp_gt_i32_e32 vcc_lo, 32, v27
	v_lshrrev_b32_e32 v26, 24, v26
	v_min_i32_e32 v37, 31, v27
	v_cndmask_b32_e32 v36, 3, v36, vcc_lo
	s_delay_alu instid0(VALU_DEP_3) | instskip(NEXT) | instid1(VALU_DEP_3)
	v_and_b32_e32 v26, 0x80, v26
	v_lshlrev_b32_e32 v37, 2, v37
	s_delay_alu instid0(VALU_DEP_3) | instskip(SKIP_1) | instid1(VALU_DEP_2)
	v_and_b32_e32 v38, 3, v36
	v_or_b32_e32 v27, v27, v36
	v_or3_b32 v26, v37, v26, v38
	s_delay_alu instid0(VALU_DEP_2) | instskip(NEXT) | instid1(VALU_DEP_2)
	v_cmp_ne_u32_e32 vcc_lo, 0, v27
	v_cndmask_b32_e32 v58, 0, v26, vcc_lo
.LBB6_14123:                            ;   in Loop: Header=BB6_12675 Depth=3
	s_or_b32 exec_lo, exec_lo, s30
.LBB6_14124:                            ;   in Loop: Header=BB6_12675 Depth=3
	s_delay_alu instid0(SALU_CYCLE_1) | instskip(SKIP_3) | instid1(VALU_DEP_1)
	s_or_b32 exec_lo, exec_lo, s17
	v_and_b32_e32 v27, 0xff, v57
	s_mov_b32 s13, 0
	s_mov_b32 s30, exec_lo
                                        ; implicit-def: $sgpr17
	v_cmpx_lt_i16_e32 0x7f, v27
	s_xor_b32 s30, exec_lo, s30
	s_cbranch_execnz .LBB6_15066
; %bb.14125:                            ;   in Loop: Header=BB6_12675 Depth=3
	s_or_saveexec_b32 s30, s30
	v_mov_b32_e32 v26, s17
	s_xor_b32 exec_lo, exec_lo, s30
	s_cbranch_execnz .LBB6_15069
.LBB6_14126:                            ;   in Loop: Header=BB6_12675 Depth=3
	s_or_b32 exec_lo, exec_lo, s30
	s_and_saveexec_b32 s17, s13
	s_cbranch_execz .LBB6_14128
.LBB6_14127:                            ;   in Loop: Header=BB6_12675 Depth=3
	v_bfe_u32 v37, v57, 2, 5
	v_lshlrev_b32_e32 v38, 24, v57
	s_delay_alu instid0(VALU_DEP_2) | instskip(SKIP_1) | instid1(VALU_DEP_1)
	v_cmp_eq_u32_e32 vcc_lo, 0, v37
	v_and_b32_e32 v26, 3, v57
	v_clz_i32_u32_e32 v27, v26
	s_delay_alu instid0(VALU_DEP_1) | instskip(NEXT) | instid1(VALU_DEP_1)
	v_min_u32_e32 v27, 32, v27
	v_subrev_nc_u32_e32 v36, 29, v27
	v_sub_nc_u32_e32 v27, 30, v27
	s_delay_alu instid0(VALU_DEP_1) | instskip(NEXT) | instid1(VALU_DEP_1)
	v_dual_cndmask_b32 v27, v37, v27 :: v_dual_lshlrev_b32 v36, v36, v57
	v_and_b32_e32 v36, 3, v36
	s_delay_alu instid0(VALU_DEP_2) | instskip(NEXT) | instid1(VALU_DEP_2)
	v_lshl_add_u32 v27, v27, 23, 0x37800000
	v_cndmask_b32_e32 v26, v26, v36, vcc_lo
	v_and_b32_e32 v36, 0x80000000, v38
	s_delay_alu instid0(VALU_DEP_2) | instskip(NEXT) | instid1(VALU_DEP_1)
	v_lshlrev_b32_e32 v26, 21, v26
	v_or3_b32 v26, v36, v27, v26
.LBB6_14128:                            ;   in Loop: Header=BB6_12675 Depth=3
	s_or_b32 exec_lo, exec_lo, s17
	v_lshrrev_b32_e32 v27, 16, v14
	s_mov_b32 s13, 0
	s_mov_b32 s30, exec_lo
                                        ; implicit-def: $sgpr17
	s_delay_alu instid0(VALU_DEP_1) | instskip(NEXT) | instid1(VALU_DEP_1)
	v_and_b32_e32 v37, 0xff, v27
	v_cmpx_lt_i16_e32 0x7f, v37
	s_xor_b32 s30, exec_lo, s30
	s_cbranch_execnz .LBB6_15070
; %bb.14129:                            ;   in Loop: Header=BB6_12675 Depth=3
	s_or_saveexec_b32 s30, s30
	v_mov_b32_e32 v36, s17
	s_xor_b32 exec_lo, exec_lo, s30
	s_cbranch_execnz .LBB6_15073
.LBB6_14130:                            ;   in Loop: Header=BB6_12675 Depth=3
	s_or_b32 exec_lo, exec_lo, s30
	s_and_saveexec_b32 s17, s13
	s_cbranch_execz .LBB6_14132
.LBB6_14131:                            ;   in Loop: Header=BB6_12675 Depth=3
	v_bfe_u32 v36, v14, 16, 2
	v_lshlrev_b32_e32 v39, 8, v14
	s_delay_alu instid0(VALU_DEP_2) | instskip(NEXT) | instid1(VALU_DEP_1)
	v_clz_i32_u32_e32 v37, v36
	v_min_u32_e32 v37, 32, v37
	s_delay_alu instid0(VALU_DEP_1) | instskip(SKIP_1) | instid1(VALU_DEP_2)
	v_subrev_nc_u32_e32 v38, 29, v37
	v_sub_nc_u32_e32 v37, 30, v37
	v_lshlrev_b32_e32 v27, v38, v27
	v_bfe_u32 v38, v14, 18, 5
	s_delay_alu instid0(VALU_DEP_2) | instskip(NEXT) | instid1(VALU_DEP_2)
	v_and_b32_e32 v27, 3, v27
	v_cmp_eq_u32_e32 vcc_lo, 0, v38
	v_cndmask_b32_e32 v37, v38, v37, vcc_lo
	s_delay_alu instid0(VALU_DEP_3) | instskip(SKIP_1) | instid1(VALU_DEP_3)
	v_cndmask_b32_e32 v27, v36, v27, vcc_lo
	v_and_b32_e32 v36, 0x80000000, v39
	v_lshl_add_u32 v37, v37, 23, 0x37800000
	s_delay_alu instid0(VALU_DEP_3) | instskip(NEXT) | instid1(VALU_DEP_1)
	v_lshlrev_b32_e32 v27, 21, v27
	v_or3_b32 v36, v36, v37, v27
.LBB6_14132:                            ;   in Loop: Header=BB6_12675 Depth=3
	s_or_b32 exec_lo, exec_lo, s17
	s_delay_alu instid0(VALU_DEP_1) | instskip(SKIP_1) | instid1(VALU_DEP_1)
	v_dual_add_f32 v26, v26, v36 :: v_dual_mov_b32 v57, 0x80
	s_mov_b32 s17, exec_lo
	v_and_b32_e32 v27, 0x7f800000, v26
	s_delay_alu instid0(VALU_DEP_1)
	v_cmpx_ne_u32_e32 0x7f800000, v27
	s_cbranch_execz .LBB6_14140
; %bb.14133:                            ;   in Loop: Header=BB6_12675 Depth=3
	v_mov_b32_e32 v57, 0
	s_mov_b32 s30, exec_lo
	v_cmpx_ne_u32_e32 0, v26
	s_cbranch_execz .LBB6_14139
; %bb.14134:                            ;   in Loop: Header=BB6_12675 Depth=3
	v_bfe_u32 v27, v26, 23, 8
	s_delay_alu instid0(VALU_DEP_1) | instskip(SKIP_1) | instid1(VALU_DEP_2)
	v_sub_nc_u32_e32 v37, 0x70, v27
	v_cmp_gt_u32_e32 vcc_lo, 0x71, v27
	v_dual_cndmask_b32 v37, 0, v37 :: v_dual_and_b32 v36, 0x7fffff, v26
	s_delay_alu instid0(VALU_DEP_1) | instskip(SKIP_2) | instid1(VALU_DEP_4)
	v_or_b32_e32 v38, 0x800000, v36
	v_cmp_eq_u32_e32 vcc_lo, 0, v27
	v_add_nc_u32_e32 v27, 0xffffff91, v27
	v_cndmask_b32_e64 v37, v37, 0x6f, vcc_lo
	s_delay_alu instid0(VALU_DEP_4) | instskip(NEXT) | instid1(VALU_DEP_3)
	v_cndmask_b32_e32 v36, v38, v36, vcc_lo
	v_cndmask_b32_e64 v27, v27, 0xffffff92, vcc_lo
	s_delay_alu instid0(VALU_DEP_3) | instskip(NEXT) | instid1(VALU_DEP_3)
	v_lshl_add_u32 v38, 0x200000, v37, -1
	v_lshrrev_b32_e32 v39, v37, v36
	v_lshlrev_b32_e64 v49, v37, 0x100000
	s_delay_alu instid0(VALU_DEP_4) | instskip(NEXT) | instid1(VALU_DEP_4)
	v_add_nc_u32_e32 v37, v37, v27
	v_and_b32_e32 v36, v38, v36
	s_delay_alu instid0(VALU_DEP_4) | instskip(NEXT) | instid1(VALU_DEP_2)
	v_bfe_u32 v48, v39, 21, 1
	v_cmp_eq_u32_e64 s13, v36, v49
	s_delay_alu instid0(VALU_DEP_2) | instskip(NEXT) | instid1(VALU_DEP_1)
	v_add_nc_u32_e32 v38, -1, v48
	v_cndmask_b32_e64 v36, 0, v38, s13
	v_lshrrev_b32_e32 v38, 23, v39
	s_mov_b32 s13, exec_lo
	s_delay_alu instid0(VALU_DEP_2) | instskip(NEXT) | instid1(VALU_DEP_2)
	v_add_nc_u32_e32 v36, v36, v39
	v_xor_b32_e32 v38, 1, v38
	s_delay_alu instid0(VALU_DEP_2) | instskip(NEXT) | instid1(VALU_DEP_1)
	v_and_b32_e32 v27, 0x1fffff, v36
	v_add_nc_u32_e32 v36, v27, v39
                                        ; implicit-def: $vgpr27
	s_delay_alu instid0(VALU_DEP_3)
	v_cmpx_ne_u32_e64 v37, v38
	s_xor_b32 s13, exec_lo, s13
; %bb.14135:                            ;   in Loop: Header=BB6_12675 Depth=3
	s_delay_alu instid0(VALU_DEP_2) | instskip(SKIP_2) | instid1(VALU_DEP_2)
	v_cmp_lt_u32_e32 vcc_lo, 0xffffff, v36
	v_sub_nc_u32_e32 v27, v37, v38
	v_cndmask_b32_e64 v37, 0, 1, vcc_lo
	v_add_co_ci_u32_e32 v27, vcc_lo, 0, v27, vcc_lo
	s_delay_alu instid0(VALU_DEP_2)
	v_lshrrev_b32_e32 v36, v37, v36
; %bb.14136:                            ;   in Loop: Header=BB6_12675 Depth=3
	s_and_not1_saveexec_b32 s13, s13
; %bb.14137:                            ;   in Loop: Header=BB6_12675 Depth=3
	s_delay_alu instid0(VALU_DEP_1)
	v_bfe_u32 v27, v36, 23, 1
; %bb.14138:                            ;   in Loop: Header=BB6_12675 Depth=3
	s_or_b32 exec_lo, exec_lo, s13
	v_lshrrev_b32_e32 v36, 21, v36
	s_delay_alu instid0(VALU_DEP_2) | instskip(SKIP_2) | instid1(VALU_DEP_2)
	v_cmp_gt_i32_e32 vcc_lo, 32, v27
	v_min_i32_e32 v37, 31, v27
	v_lshrrev_b32_e32 v26, 24, v26
	v_dual_cndmask_b32 v36, 3, v36 :: v_dual_lshlrev_b32 v37, 2, v37
	s_delay_alu instid0(VALU_DEP_2) | instskip(NEXT) | instid1(VALU_DEP_2)
	v_and_b32_e32 v26, 0x80, v26
	v_or_b32_e32 v27, v27, v36
	s_delay_alu instid0(VALU_DEP_1) | instskip(SKIP_1) | instid1(VALU_DEP_1)
	v_cmp_ne_u32_e32 vcc_lo, 0, v27
	v_and_b32_e32 v38, 3, v36
	v_or3_b32 v26, v37, v26, v38
	s_delay_alu instid0(VALU_DEP_1)
	v_cndmask_b32_e32 v57, 0, v26, vcc_lo
.LBB6_14139:                            ;   in Loop: Header=BB6_12675 Depth=3
	s_or_b32 exec_lo, exec_lo, s30
.LBB6_14140:                            ;   in Loop: Header=BB6_12675 Depth=3
	s_delay_alu instid0(SALU_CYCLE_1) | instskip(SKIP_3) | instid1(VALU_DEP_1)
	s_or_b32 exec_lo, exec_lo, s17
	v_and_b32_e32 v27, 0xff, v54
	s_mov_b32 s13, 0
	s_mov_b32 s30, exec_lo
                                        ; implicit-def: $sgpr17
	v_cmpx_lt_i16_e32 0x7f, v27
	s_xor_b32 s30, exec_lo, s30
	s_cbranch_execnz .LBB6_15074
; %bb.14141:                            ;   in Loop: Header=BB6_12675 Depth=3
	s_or_saveexec_b32 s30, s30
	v_mov_b32_e32 v26, s17
	s_xor_b32 exec_lo, exec_lo, s30
	s_cbranch_execnz .LBB6_15077
.LBB6_14142:                            ;   in Loop: Header=BB6_12675 Depth=3
	s_or_b32 exec_lo, exec_lo, s30
	s_and_saveexec_b32 s17, s13
	s_cbranch_execz .LBB6_14144
.LBB6_14143:                            ;   in Loop: Header=BB6_12675 Depth=3
	v_lshlrev_b32_e32 v26, 8, v54
	s_delay_alu instid0(VALU_DEP_1) | instskip(SKIP_1) | instid1(VALU_DEP_2)
	v_and_b32_e32 v36, 0xff00, v26
	v_bfe_u32 v26, v26, 10, 5
	v_bfe_u32 v37, v36, 8, 2
	s_delay_alu instid0(VALU_DEP_2) | instskip(SKIP_1) | instid1(VALU_DEP_3)
	v_cmp_eq_u32_e32 vcc_lo, 0, v26
	v_lshlrev_b32_e32 v36, 16, v36
	v_clz_i32_u32_e32 v38, v37
	s_delay_alu instid0(VALU_DEP_2) | instskip(NEXT) | instid1(VALU_DEP_2)
	v_and_b32_e32 v36, 0x80000000, v36
	v_min_u32_e32 v38, 32, v38
	s_delay_alu instid0(VALU_DEP_1) | instskip(SKIP_1) | instid1(VALU_DEP_1)
	v_subrev_nc_u32_e32 v39, 29, v38
	v_sub_nc_u32_e32 v38, 30, v38
	v_dual_cndmask_b32 v26, v26, v38 :: v_dual_lshlrev_b32 v27, v39, v27
	s_delay_alu instid0(VALU_DEP_1) | instskip(NEXT) | instid1(VALU_DEP_2)
	v_and_b32_e32 v27, 3, v27
	v_lshl_add_u32 v26, v26, 23, 0x37800000
	s_delay_alu instid0(VALU_DEP_2) | instskip(NEXT) | instid1(VALU_DEP_1)
	v_cndmask_b32_e32 v27, v37, v27, vcc_lo
	v_lshlrev_b32_e32 v27, 21, v27
	s_delay_alu instid0(VALU_DEP_1)
	v_or3_b32 v26, v36, v26, v27
.LBB6_14144:                            ;   in Loop: Header=BB6_12675 Depth=3
	s_or_b32 exec_lo, exec_lo, s17
	v_lshrrev_b32_e32 v27, 24, v14
	s_mov_b32 s13, 0
	s_mov_b32 s30, exec_lo
                                        ; implicit-def: $sgpr17
	s_delay_alu instid0(VALU_DEP_1)
	v_cmpx_lt_i16_e32 0x7f, v27
	s_xor_b32 s30, exec_lo, s30
	s_cbranch_execnz .LBB6_15078
; %bb.14145:                            ;   in Loop: Header=BB6_12675 Depth=3
	s_or_saveexec_b32 s30, s30
	v_mov_b32_e32 v36, s17
	s_xor_b32 exec_lo, exec_lo, s30
	s_cbranch_execnz .LBB6_15081
.LBB6_14146:                            ;   in Loop: Header=BB6_12675 Depth=3
	s_or_b32 exec_lo, exec_lo, s30
	s_and_saveexec_b32 s17, s13
	s_cbranch_execz .LBB6_14148
.LBB6_14147:                            ;   in Loop: Header=BB6_12675 Depth=3
	v_bfe_u32 v36, v14, 24, 2
	s_delay_alu instid0(VALU_DEP_1) | instskip(NEXT) | instid1(VALU_DEP_1)
	v_clz_i32_u32_e32 v37, v36
	v_min_u32_e32 v37, 32, v37
	s_delay_alu instid0(VALU_DEP_1) | instskip(SKIP_1) | instid1(VALU_DEP_2)
	v_subrev_nc_u32_e32 v38, 29, v37
	v_sub_nc_u32_e32 v37, 30, v37
	v_lshlrev_b32_e32 v27, v38, v27
	v_bfe_u32 v38, v14, 26, 5
	v_and_b32_e32 v14, 0x80000000, v14
	s_delay_alu instid0(VALU_DEP_3) | instskip(NEXT) | instid1(VALU_DEP_3)
	v_and_b32_e32 v27, 3, v27
	v_cmp_eq_u32_e32 vcc_lo, 0, v38
	v_cndmask_b32_e32 v37, v38, v37, vcc_lo
	s_delay_alu instid0(VALU_DEP_3) | instskip(NEXT) | instid1(VALU_DEP_2)
	v_cndmask_b32_e32 v27, v36, v27, vcc_lo
	v_lshl_add_u32 v36, v37, 23, 0x37800000
	s_delay_alu instid0(VALU_DEP_2) | instskip(NEXT) | instid1(VALU_DEP_1)
	v_lshlrev_b32_e32 v27, 21, v27
	v_or3_b32 v36, v14, v36, v27
.LBB6_14148:                            ;   in Loop: Header=BB6_12675 Depth=3
	s_or_b32 exec_lo, exec_lo, s17
	s_delay_alu instid0(VALU_DEP_1) | instskip(NEXT) | instid1(VALU_DEP_1)
	v_add_f32_e32 v26, v26, v36
	v_and_b32_e32 v14, 0x7f800000, v26
	s_delay_alu instid0(VALU_DEP_1)
	v_cmp_ne_u32_e32 vcc_lo, 0x7f800000, v14
	v_mov_b32_e32 v14, 0x80
	s_and_saveexec_b32 s17, vcc_lo
	s_cbranch_execz .LBB6_14156
; %bb.14149:                            ;   in Loop: Header=BB6_12675 Depth=3
	v_mov_b32_e32 v14, 0
	s_mov_b32 s30, exec_lo
	v_cmpx_ne_u32_e32 0, v26
	s_cbranch_execz .LBB6_14155
; %bb.14150:                            ;   in Loop: Header=BB6_12675 Depth=3
	v_bfe_u32 v14, v26, 23, 8
	s_delay_alu instid0(VALU_DEP_1) | instskip(SKIP_1) | instid1(VALU_DEP_2)
	v_sub_nc_u32_e32 v36, 0x70, v14
	v_cmp_gt_u32_e32 vcc_lo, 0x71, v14
	v_dual_cndmask_b32 v36, 0, v36 :: v_dual_and_b32 v27, 0x7fffff, v26
	s_delay_alu instid0(VALU_DEP_1) | instskip(SKIP_2) | instid1(VALU_DEP_4)
	v_or_b32_e32 v37, 0x800000, v27
	v_cmp_eq_u32_e32 vcc_lo, 0, v14
	v_add_nc_u32_e32 v14, 0xffffff91, v14
	v_cndmask_b32_e64 v36, v36, 0x6f, vcc_lo
	s_delay_alu instid0(VALU_DEP_4) | instskip(NEXT) | instid1(VALU_DEP_3)
	v_cndmask_b32_e32 v27, v37, v27, vcc_lo
	v_cndmask_b32_e64 v14, v14, 0xffffff92, vcc_lo
	s_delay_alu instid0(VALU_DEP_3) | instskip(NEXT) | instid1(VALU_DEP_3)
	v_lshl_add_u32 v37, 0x200000, v36, -1
	v_lshrrev_b32_e32 v38, v36, v27
	v_lshlrev_b32_e64 v48, v36, 0x100000
	s_delay_alu instid0(VALU_DEP_4) | instskip(NEXT) | instid1(VALU_DEP_4)
	v_add_nc_u32_e32 v36, v36, v14
	v_and_b32_e32 v27, v37, v27
	s_delay_alu instid0(VALU_DEP_4) | instskip(NEXT) | instid1(VALU_DEP_2)
	v_bfe_u32 v39, v38, 21, 1
	v_cmp_eq_u32_e64 s13, v27, v48
	s_delay_alu instid0(VALU_DEP_2) | instskip(NEXT) | instid1(VALU_DEP_1)
	v_add_nc_u32_e32 v37, -1, v39
	v_cndmask_b32_e64 v27, 0, v37, s13
	v_lshrrev_b32_e32 v37, 23, v38
	s_mov_b32 s13, exec_lo
	s_delay_alu instid0(VALU_DEP_2) | instskip(NEXT) | instid1(VALU_DEP_2)
	v_add_nc_u32_e32 v27, v27, v38
	v_xor_b32_e32 v37, 1, v37
	s_delay_alu instid0(VALU_DEP_2) | instskip(NEXT) | instid1(VALU_DEP_1)
	v_and_b32_e32 v14, 0x1fffff, v27
	v_add_nc_u32_e32 v27, v14, v38
                                        ; implicit-def: $vgpr14
	s_delay_alu instid0(VALU_DEP_3)
	v_cmpx_ne_u32_e64 v36, v37
	s_xor_b32 s13, exec_lo, s13
; %bb.14151:                            ;   in Loop: Header=BB6_12675 Depth=3
	s_delay_alu instid0(VALU_DEP_2) | instskip(SKIP_2) | instid1(VALU_DEP_2)
	v_cmp_lt_u32_e32 vcc_lo, 0xffffff, v27
	v_sub_nc_u32_e32 v14, v36, v37
	v_cndmask_b32_e64 v36, 0, 1, vcc_lo
	v_add_co_ci_u32_e32 v14, vcc_lo, 0, v14, vcc_lo
	s_delay_alu instid0(VALU_DEP_2)
	v_lshrrev_b32_e32 v27, v36, v27
; %bb.14152:                            ;   in Loop: Header=BB6_12675 Depth=3
	s_and_not1_saveexec_b32 s13, s13
; %bb.14153:                            ;   in Loop: Header=BB6_12675 Depth=3
	s_delay_alu instid0(VALU_DEP_1)
	v_bfe_u32 v14, v27, 23, 1
; %bb.14154:                            ;   in Loop: Header=BB6_12675 Depth=3
	s_or_b32 exec_lo, exec_lo, s13
	v_lshrrev_b32_e32 v27, 21, v27
	s_delay_alu instid0(VALU_DEP_2) | instskip(SKIP_2) | instid1(VALU_DEP_2)
	v_cmp_gt_i32_e32 vcc_lo, 32, v14
	v_lshrrev_b32_e32 v26, 24, v26
	v_min_i32_e32 v36, 31, v14
	v_dual_cndmask_b32 v27, 3, v27 :: v_dual_and_b32 v26, 0x80, v26
	s_delay_alu instid0(VALU_DEP_2) | instskip(NEXT) | instid1(VALU_DEP_2)
	v_lshlrev_b32_e32 v36, 2, v36
	v_or_b32_e32 v14, v14, v27
	s_delay_alu instid0(VALU_DEP_1) | instskip(SKIP_1) | instid1(VALU_DEP_1)
	v_cmp_ne_u32_e32 vcc_lo, 0, v14
	v_and_b32_e32 v37, 3, v27
	v_or3_b32 v26, v36, v26, v37
	s_delay_alu instid0(VALU_DEP_1)
	v_cndmask_b32_e32 v14, 0, v26, vcc_lo
.LBB6_14155:                            ;   in Loop: Header=BB6_12675 Depth=3
	s_or_b32 exec_lo, exec_lo, s30
.LBB6_14156:                            ;   in Loop: Header=BB6_12675 Depth=3
	s_delay_alu instid0(SALU_CYCLE_1) | instskip(SKIP_3) | instid1(VALU_DEP_1)
	s_or_b32 exec_lo, exec_lo, s17
	v_or_b32_e32 v26, v59, v45
	s_mov_b32 s13, 0
	s_mov_b32 s30, exec_lo
                                        ; implicit-def: $sgpr17
	v_and_b32_e32 v36, 0xff, v26
	s_delay_alu instid0(VALU_DEP_1)
	v_cmpx_lt_i16_e32 0x7f, v36
	s_xor_b32 s30, exec_lo, s30
	s_cbranch_execnz .LBB6_15082
; %bb.14157:                            ;   in Loop: Header=BB6_12675 Depth=3
	s_or_saveexec_b32 s30, s30
	v_mov_b32_e32 v27, s17
	s_xor_b32 exec_lo, exec_lo, s30
	s_cbranch_execnz .LBB6_15085
.LBB6_14158:                            ;   in Loop: Header=BB6_12675 Depth=3
	s_or_b32 exec_lo, exec_lo, s30
	s_and_saveexec_b32 s17, s13
	s_cbranch_execz .LBB6_14160
.LBB6_14159:                            ;   in Loop: Header=BB6_12675 Depth=3
	v_bfe_u32 v38, v26, 2, 5
	v_lshlrev_b32_e32 v39, 24, v26
	s_delay_alu instid0(VALU_DEP_2) | instskip(SKIP_1) | instid1(VALU_DEP_1)
	v_cmp_eq_u32_e32 vcc_lo, 0, v38
	v_and_b32_e32 v27, 3, v26
	v_clz_i32_u32_e32 v36, v27
	s_delay_alu instid0(VALU_DEP_1) | instskip(NEXT) | instid1(VALU_DEP_1)
	v_min_u32_e32 v36, 32, v36
	v_subrev_nc_u32_e32 v37, 29, v36
	v_sub_nc_u32_e32 v36, 30, v36
	s_delay_alu instid0(VALU_DEP_1) | instskip(NEXT) | instid1(VALU_DEP_1)
	v_dual_cndmask_b32 v36, v38, v36 :: v_dual_lshlrev_b32 v37, v37, v26
	v_and_b32_e32 v37, 3, v37
	s_delay_alu instid0(VALU_DEP_2) | instskip(NEXT) | instid1(VALU_DEP_2)
	v_lshl_add_u32 v36, v36, 23, 0x37800000
	v_cndmask_b32_e32 v27, v27, v37, vcc_lo
	v_and_b32_e32 v37, 0x80000000, v39
	s_delay_alu instid0(VALU_DEP_2) | instskip(NEXT) | instid1(VALU_DEP_1)
	v_lshlrev_b32_e32 v27, 21, v27
	v_or3_b32 v27, v37, v36, v27
.LBB6_14160:                            ;   in Loop: Header=BB6_12675 Depth=3
	s_or_b32 exec_lo, exec_lo, s17
	v_and_b32_e32 v37, 0xff, v15
	s_mov_b32 s13, 0
	s_mov_b32 s30, exec_lo
                                        ; implicit-def: $sgpr17
	s_delay_alu instid0(VALU_DEP_1)
	v_cmpx_lt_i16_e32 0x7f, v37
	s_xor_b32 s30, exec_lo, s30
	s_cbranch_execnz .LBB6_15086
; %bb.14161:                            ;   in Loop: Header=BB6_12675 Depth=3
	s_or_saveexec_b32 s30, s30
	v_mov_b32_e32 v36, s17
	s_xor_b32 exec_lo, exec_lo, s30
	s_cbranch_execnz .LBB6_15089
.LBB6_14162:                            ;   in Loop: Header=BB6_12675 Depth=3
	s_or_b32 exec_lo, exec_lo, s30
	s_and_saveexec_b32 s17, s13
	s_cbranch_execz .LBB6_14164
.LBB6_14163:                            ;   in Loop: Header=BB6_12675 Depth=3
	v_bfe_u32 v39, v15, 2, 5
	v_lshlrev_b32_e32 v48, 24, v15
	s_delay_alu instid0(VALU_DEP_2) | instskip(SKIP_1) | instid1(VALU_DEP_1)
	v_cmp_eq_u32_e32 vcc_lo, 0, v39
	v_and_b32_e32 v36, 3, v15
	v_clz_i32_u32_e32 v37, v36
	s_delay_alu instid0(VALU_DEP_1) | instskip(NEXT) | instid1(VALU_DEP_1)
	v_min_u32_e32 v37, 32, v37
	v_subrev_nc_u32_e32 v38, 29, v37
	v_sub_nc_u32_e32 v37, 30, v37
	s_delay_alu instid0(VALU_DEP_1) | instskip(NEXT) | instid1(VALU_DEP_1)
	v_dual_cndmask_b32 v37, v39, v37 :: v_dual_lshlrev_b32 v38, v38, v15
	v_and_b32_e32 v38, 3, v38
	s_delay_alu instid0(VALU_DEP_2) | instskip(NEXT) | instid1(VALU_DEP_2)
	v_lshl_add_u32 v37, v37, 23, 0x37800000
	v_cndmask_b32_e32 v36, v36, v38, vcc_lo
	v_and_b32_e32 v38, 0x80000000, v48
	s_delay_alu instid0(VALU_DEP_2) | instskip(NEXT) | instid1(VALU_DEP_1)
	v_lshlrev_b32_e32 v36, 21, v36
	v_or3_b32 v36, v38, v37, v36
.LBB6_14164:                            ;   in Loop: Header=BB6_12675 Depth=3
	s_or_b32 exec_lo, exec_lo, s17
	s_delay_alu instid0(VALU_DEP_1) | instskip(SKIP_1) | instid1(VALU_DEP_1)
	v_dual_add_f32 v27, v27, v36 :: v_dual_mov_b32 v96, 0x80
	s_mov_b32 s17, exec_lo
	v_and_b32_e32 v36, 0x7f800000, v27
	s_delay_alu instid0(VALU_DEP_1)
	v_cmpx_ne_u32_e32 0x7f800000, v36
	s_cbranch_execz .LBB6_14172
; %bb.14165:                            ;   in Loop: Header=BB6_12675 Depth=3
	v_mov_b32_e32 v96, 0
	s_mov_b32 s30, exec_lo
	v_cmpx_ne_u32_e32 0, v27
	s_cbranch_execz .LBB6_14171
; %bb.14166:                            ;   in Loop: Header=BB6_12675 Depth=3
	v_bfe_u32 v36, v27, 23, 8
	s_delay_alu instid0(VALU_DEP_1) | instskip(SKIP_1) | instid1(VALU_DEP_2)
	v_sub_nc_u32_e32 v38, 0x70, v36
	v_cmp_gt_u32_e32 vcc_lo, 0x71, v36
	v_dual_cndmask_b32 v38, 0, v38 :: v_dual_and_b32 v37, 0x7fffff, v27
	s_delay_alu instid0(VALU_DEP_1) | instskip(SKIP_2) | instid1(VALU_DEP_4)
	v_or_b32_e32 v39, 0x800000, v37
	v_cmp_eq_u32_e32 vcc_lo, 0, v36
	v_add_nc_u32_e32 v36, 0xffffff91, v36
	v_cndmask_b32_e64 v38, v38, 0x6f, vcc_lo
	s_delay_alu instid0(VALU_DEP_4) | instskip(NEXT) | instid1(VALU_DEP_3)
	v_cndmask_b32_e32 v37, v39, v37, vcc_lo
	v_cndmask_b32_e64 v36, v36, 0xffffff92, vcc_lo
	s_delay_alu instid0(VALU_DEP_3) | instskip(NEXT) | instid1(VALU_DEP_3)
	v_lshl_add_u32 v39, 0x200000, v38, -1
	v_lshrrev_b32_e32 v48, v38, v37
	v_lshlrev_b32_e64 v50, v38, 0x100000
	s_delay_alu instid0(VALU_DEP_4) | instskip(NEXT) | instid1(VALU_DEP_4)
	v_add_nc_u32_e32 v38, v38, v36
	v_and_b32_e32 v37, v39, v37
	s_delay_alu instid0(VALU_DEP_4) | instskip(NEXT) | instid1(VALU_DEP_2)
	v_bfe_u32 v49, v48, 21, 1
	v_cmp_eq_u32_e64 s13, v37, v50
	s_delay_alu instid0(VALU_DEP_2) | instskip(NEXT) | instid1(VALU_DEP_1)
	v_add_nc_u32_e32 v39, -1, v49
	v_cndmask_b32_e64 v37, 0, v39, s13
	v_lshrrev_b32_e32 v39, 23, v48
	s_mov_b32 s13, exec_lo
	s_delay_alu instid0(VALU_DEP_2) | instskip(NEXT) | instid1(VALU_DEP_2)
	v_add_nc_u32_e32 v37, v37, v48
	v_xor_b32_e32 v39, 1, v39
	s_delay_alu instid0(VALU_DEP_2) | instskip(NEXT) | instid1(VALU_DEP_1)
	v_and_b32_e32 v36, 0x1fffff, v37
	v_add_nc_u32_e32 v37, v36, v48
                                        ; implicit-def: $vgpr36
	s_delay_alu instid0(VALU_DEP_3)
	v_cmpx_ne_u32_e64 v38, v39
	s_xor_b32 s13, exec_lo, s13
; %bb.14167:                            ;   in Loop: Header=BB6_12675 Depth=3
	s_delay_alu instid0(VALU_DEP_2) | instskip(SKIP_2) | instid1(VALU_DEP_2)
	v_cmp_lt_u32_e32 vcc_lo, 0xffffff, v37
	v_sub_nc_u32_e32 v36, v38, v39
	v_cndmask_b32_e64 v38, 0, 1, vcc_lo
	v_add_co_ci_u32_e32 v36, vcc_lo, 0, v36, vcc_lo
	s_delay_alu instid0(VALU_DEP_2)
	v_lshrrev_b32_e32 v37, v38, v37
; %bb.14168:                            ;   in Loop: Header=BB6_12675 Depth=3
	s_and_not1_saveexec_b32 s13, s13
; %bb.14169:                            ;   in Loop: Header=BB6_12675 Depth=3
	s_delay_alu instid0(VALU_DEP_1)
	v_bfe_u32 v36, v37, 23, 1
; %bb.14170:                            ;   in Loop: Header=BB6_12675 Depth=3
	s_or_b32 exec_lo, exec_lo, s13
	v_lshrrev_b32_e32 v37, 21, v37
	s_delay_alu instid0(VALU_DEP_2) | instskip(SKIP_2) | instid1(VALU_DEP_2)
	v_cmp_gt_i32_e32 vcc_lo, 32, v36
	v_min_i32_e32 v38, 31, v36
	v_lshrrev_b32_e32 v27, 24, v27
	v_dual_cndmask_b32 v37, 3, v37 :: v_dual_lshlrev_b32 v38, 2, v38
	s_delay_alu instid0(VALU_DEP_2) | instskip(NEXT) | instid1(VALU_DEP_2)
	v_and_b32_e32 v27, 0x80, v27
	v_or_b32_e32 v36, v36, v37
	s_delay_alu instid0(VALU_DEP_1) | instskip(SKIP_1) | instid1(VALU_DEP_1)
	v_cmp_ne_u32_e32 vcc_lo, 0, v36
	v_and_b32_e32 v39, 3, v37
	v_or3_b32 v27, v38, v27, v39
	s_delay_alu instid0(VALU_DEP_1)
	v_cndmask_b32_e32 v96, 0, v27, vcc_lo
.LBB6_14171:                            ;   in Loop: Header=BB6_12675 Depth=3
	s_or_b32 exec_lo, exec_lo, s30
.LBB6_14172:                            ;   in Loop: Header=BB6_12675 Depth=3
	s_delay_alu instid0(SALU_CYCLE_1) | instskip(SKIP_3) | instid1(VALU_DEP_1)
	s_or_b32 exec_lo, exec_lo, s17
	v_lshrrev_b16 v36, 8, v26
	s_mov_b32 s13, 0
	s_mov_b32 s30, exec_lo
                                        ; implicit-def: $sgpr17
	v_cmpx_lt_i16_e32 0x7f, v36
	s_xor_b32 s30, exec_lo, s30
	s_cbranch_execnz .LBB6_15090
; %bb.14173:                            ;   in Loop: Header=BB6_12675 Depth=3
	s_or_saveexec_b32 s30, s30
	v_mov_b32_e32 v27, s17
	s_xor_b32 exec_lo, exec_lo, s30
	s_cbranch_execnz .LBB6_15093
.LBB6_14174:                            ;   in Loop: Header=BB6_12675 Depth=3
	s_or_b32 exec_lo, exec_lo, s30
	s_and_saveexec_b32 s17, s13
	s_cbranch_execz .LBB6_14176
.LBB6_14175:                            ;   in Loop: Header=BB6_12675 Depth=3
	v_and_b32_e32 v27, 0xffff, v36
	s_delay_alu instid0(VALU_DEP_1) | instskip(NEXT) | instid1(VALU_DEP_1)
	v_and_b32_e32 v37, 3, v27
	v_clz_i32_u32_e32 v38, v37
	s_delay_alu instid0(VALU_DEP_1) | instskip(NEXT) | instid1(VALU_DEP_1)
	v_min_u32_e32 v38, 32, v38
	v_subrev_nc_u32_e32 v39, 29, v38
	v_sub_nc_u32_e32 v38, 30, v38
	s_delay_alu instid0(VALU_DEP_2) | instskip(SKIP_1) | instid1(VALU_DEP_2)
	v_lshlrev_b32_e32 v39, v39, v27
	v_bfe_u32 v27, v27, 2, 5
	v_and_b32_e32 v39, 3, v39
	s_delay_alu instid0(VALU_DEP_2) | instskip(SKIP_1) | instid1(VALU_DEP_1)
	v_cmp_eq_u32_e32 vcc_lo, 0, v27
	v_dual_cndmask_b32 v27, v27, v38 :: v_dual_lshlrev_b32 v36, 24, v36
	v_dual_cndmask_b32 v37, v37, v39 :: v_dual_and_b32 v36, 0x80000000, v36
	s_delay_alu instid0(VALU_DEP_2) | instskip(NEXT) | instid1(VALU_DEP_2)
	v_lshl_add_u32 v27, v27, 23, 0x37800000
	v_lshlrev_b32_e32 v37, 21, v37
	s_delay_alu instid0(VALU_DEP_1)
	v_or3_b32 v27, v36, v27, v37
.LBB6_14176:                            ;   in Loop: Header=BB6_12675 Depth=3
	s_or_b32 exec_lo, exec_lo, s17
	v_lshrrev_b16 v36, 8, v15
	s_mov_b32 s13, 0
	s_mov_b32 s30, exec_lo
                                        ; implicit-def: $sgpr17
	s_delay_alu instid0(VALU_DEP_1)
	v_cmpx_lt_i16_e32 0x7f, v36
	s_xor_b32 s30, exec_lo, s30
	s_cbranch_execnz .LBB6_15094
; %bb.14177:                            ;   in Loop: Header=BB6_12675 Depth=3
	s_or_saveexec_b32 s30, s30
	v_mov_b32_e32 v37, s17
	s_xor_b32 exec_lo, exec_lo, s30
	s_cbranch_execnz .LBB6_15097
.LBB6_14178:                            ;   in Loop: Header=BB6_12675 Depth=3
	s_or_b32 exec_lo, exec_lo, s30
	s_and_saveexec_b32 s17, s13
	s_cbranch_execz .LBB6_14180
.LBB6_14179:                            ;   in Loop: Header=BB6_12675 Depth=3
	v_and_b32_e32 v37, 0xffff, v36
	v_lshlrev_b32_e32 v36, 24, v36
	s_delay_alu instid0(VALU_DEP_2) | instskip(NEXT) | instid1(VALU_DEP_2)
	v_and_b32_e32 v38, 3, v37
	v_and_b32_e32 v36, 0x80000000, v36
	s_delay_alu instid0(VALU_DEP_2) | instskip(NEXT) | instid1(VALU_DEP_1)
	v_clz_i32_u32_e32 v39, v38
	v_min_u32_e32 v39, 32, v39
	s_delay_alu instid0(VALU_DEP_1) | instskip(SKIP_1) | instid1(VALU_DEP_2)
	v_subrev_nc_u32_e32 v48, 29, v39
	v_sub_nc_u32_e32 v39, 30, v39
	v_lshlrev_b32_e32 v48, v48, v37
	v_bfe_u32 v37, v37, 2, 5
	s_delay_alu instid0(VALU_DEP_2) | instskip(NEXT) | instid1(VALU_DEP_2)
	v_and_b32_e32 v48, 3, v48
	v_cmp_eq_u32_e32 vcc_lo, 0, v37
	s_delay_alu instid0(VALU_DEP_2) | instskip(NEXT) | instid1(VALU_DEP_1)
	v_dual_cndmask_b32 v37, v37, v39 :: v_dual_cndmask_b32 v38, v38, v48
	v_lshl_add_u32 v37, v37, 23, 0x37800000
	s_delay_alu instid0(VALU_DEP_2) | instskip(NEXT) | instid1(VALU_DEP_1)
	v_lshlrev_b32_e32 v38, 21, v38
	v_or3_b32 v37, v36, v37, v38
.LBB6_14180:                            ;   in Loop: Header=BB6_12675 Depth=3
	s_or_b32 exec_lo, exec_lo, s17
	s_delay_alu instid0(VALU_DEP_1) | instskip(SKIP_2) | instid1(VALU_DEP_2)
	v_add_f32_e32 v27, v27, v37
	v_mov_b32_e32 v133, 0x8000
	s_mov_b32 s17, exec_lo
	v_and_b32_e32 v36, 0x7f800000, v27
	s_delay_alu instid0(VALU_DEP_1)
	v_cmpx_ne_u32_e32 0x7f800000, v36
	s_cbranch_execz .LBB6_14188
; %bb.14181:                            ;   in Loop: Header=BB6_12675 Depth=3
	v_mov_b32_e32 v133, 0
	s_mov_b32 s30, exec_lo
	v_cmpx_ne_u32_e32 0, v27
	s_cbranch_execz .LBB6_14187
; %bb.14182:                            ;   in Loop: Header=BB6_12675 Depth=3
	v_bfe_u32 v36, v27, 23, 8
	s_delay_alu instid0(VALU_DEP_1) | instskip(SKIP_1) | instid1(VALU_DEP_2)
	v_sub_nc_u32_e32 v38, 0x70, v36
	v_cmp_gt_u32_e32 vcc_lo, 0x71, v36
	v_dual_cndmask_b32 v38, 0, v38 :: v_dual_and_b32 v37, 0x7fffff, v27
	s_delay_alu instid0(VALU_DEP_1) | instskip(SKIP_2) | instid1(VALU_DEP_4)
	v_or_b32_e32 v39, 0x800000, v37
	v_cmp_eq_u32_e32 vcc_lo, 0, v36
	v_add_nc_u32_e32 v36, 0xffffff91, v36
	v_cndmask_b32_e64 v38, v38, 0x6f, vcc_lo
	s_delay_alu instid0(VALU_DEP_4) | instskip(NEXT) | instid1(VALU_DEP_3)
	v_cndmask_b32_e32 v37, v39, v37, vcc_lo
	v_cndmask_b32_e64 v36, v36, 0xffffff92, vcc_lo
	s_delay_alu instid0(VALU_DEP_3) | instskip(NEXT) | instid1(VALU_DEP_3)
	v_lshl_add_u32 v39, 0x200000, v38, -1
	v_lshrrev_b32_e32 v48, v38, v37
	v_lshlrev_b32_e64 v50, v38, 0x100000
	s_delay_alu instid0(VALU_DEP_4) | instskip(NEXT) | instid1(VALU_DEP_4)
	v_add_nc_u32_e32 v38, v38, v36
	v_and_b32_e32 v37, v39, v37
	s_delay_alu instid0(VALU_DEP_4) | instskip(NEXT) | instid1(VALU_DEP_2)
	v_bfe_u32 v49, v48, 21, 1
	v_cmp_eq_u32_e64 s13, v37, v50
	s_delay_alu instid0(VALU_DEP_2) | instskip(NEXT) | instid1(VALU_DEP_1)
	v_add_nc_u32_e32 v39, -1, v49
	v_cndmask_b32_e64 v37, 0, v39, s13
	v_lshrrev_b32_e32 v39, 23, v48
	s_mov_b32 s13, exec_lo
	s_delay_alu instid0(VALU_DEP_2) | instskip(NEXT) | instid1(VALU_DEP_2)
	v_add_nc_u32_e32 v37, v37, v48
	v_xor_b32_e32 v39, 1, v39
	s_delay_alu instid0(VALU_DEP_2) | instskip(NEXT) | instid1(VALU_DEP_1)
	v_and_b32_e32 v36, 0x1fffff, v37
	v_add_nc_u32_e32 v37, v36, v48
                                        ; implicit-def: $vgpr36
	s_delay_alu instid0(VALU_DEP_3)
	v_cmpx_ne_u32_e64 v38, v39
	s_xor_b32 s13, exec_lo, s13
; %bb.14183:                            ;   in Loop: Header=BB6_12675 Depth=3
	s_delay_alu instid0(VALU_DEP_2) | instskip(SKIP_2) | instid1(VALU_DEP_2)
	v_cmp_lt_u32_e32 vcc_lo, 0xffffff, v37
	v_sub_nc_u32_e32 v36, v38, v39
	v_cndmask_b32_e64 v38, 0, 1, vcc_lo
	v_add_co_ci_u32_e32 v36, vcc_lo, 0, v36, vcc_lo
	s_delay_alu instid0(VALU_DEP_2)
	v_lshrrev_b32_e32 v37, v38, v37
; %bb.14184:                            ;   in Loop: Header=BB6_12675 Depth=3
	s_and_not1_saveexec_b32 s13, s13
; %bb.14185:                            ;   in Loop: Header=BB6_12675 Depth=3
	s_delay_alu instid0(VALU_DEP_1)
	v_bfe_u32 v36, v37, 23, 1
; %bb.14186:                            ;   in Loop: Header=BB6_12675 Depth=3
	s_or_b32 exec_lo, exec_lo, s13
	v_lshrrev_b32_e32 v37, 21, v37
	s_delay_alu instid0(VALU_DEP_2) | instskip(SKIP_2) | instid1(VALU_DEP_2)
	v_cmp_gt_i32_e32 vcc_lo, 32, v36
	v_min_i32_e32 v38, 31, v36
	v_lshrrev_b32_e32 v27, 24, v27
	v_dual_cndmask_b32 v37, 3, v37 :: v_dual_lshlrev_b32 v38, 2, v38
	s_delay_alu instid0(VALU_DEP_2) | instskip(NEXT) | instid1(VALU_DEP_2)
	v_and_b32_e32 v27, 0x80, v27
	v_or_b32_e32 v36, v36, v37
	v_and_b32_e32 v39, 3, v37
	s_delay_alu instid0(VALU_DEP_2) | instskip(SKIP_1) | instid1(VALU_DEP_1)
	v_cmp_ne_u32_e32 vcc_lo, 0, v36
	v_and_b32_e32 v38, 0xfc, v38
	v_or3_b32 v27, v27, v38, v39
	s_delay_alu instid0(VALU_DEP_1) | instskip(NEXT) | instid1(VALU_DEP_1)
	v_lshlrev_b32_e32 v27, 8, v27
	v_cndmask_b32_e32 v133, 0, v27, vcc_lo
.LBB6_14187:                            ;   in Loop: Header=BB6_12675 Depth=3
	s_or_b32 exec_lo, exec_lo, s30
.LBB6_14188:                            ;   in Loop: Header=BB6_12675 Depth=3
	s_delay_alu instid0(SALU_CYCLE_1) | instskip(SKIP_3) | instid1(VALU_DEP_1)
	s_or_b32 exec_lo, exec_lo, s17
	v_or_b32_e32 v36, v47, v44
	s_mov_b32 s13, 0
	s_mov_b32 s30, exec_lo
                                        ; implicit-def: $sgpr17
	v_and_b32_e32 v37, 0xff, v36
	s_delay_alu instid0(VALU_DEP_1)
	v_cmpx_lt_i16_e32 0x7f, v37
	s_xor_b32 s30, exec_lo, s30
	s_cbranch_execnz .LBB6_15098
; %bb.14189:                            ;   in Loop: Header=BB6_12675 Depth=3
	s_or_saveexec_b32 s30, s30
	v_mov_b32_e32 v27, s17
	s_xor_b32 exec_lo, exec_lo, s30
	s_cbranch_execnz .LBB6_15101
.LBB6_14190:                            ;   in Loop: Header=BB6_12675 Depth=3
	s_or_b32 exec_lo, exec_lo, s30
	v_lshl_or_b32 v26, v36, 16, v26
	s_and_saveexec_b32 s17, s13
	s_cbranch_execz .LBB6_14192
.LBB6_14191:                            ;   in Loop: Header=BB6_12675 Depth=3
	s_delay_alu instid0(VALU_DEP_1) | instskip(SKIP_2) | instid1(VALU_DEP_3)
	v_bfe_u32 v27, v26, 16, 2
	v_lshrrev_b32_e32 v37, 16, v26
	v_lshlrev_b32_e32 v39, 8, v26
	v_clz_i32_u32_e32 v36, v27
	s_delay_alu instid0(VALU_DEP_1) | instskip(NEXT) | instid1(VALU_DEP_1)
	v_min_u32_e32 v36, 32, v36
	v_subrev_nc_u32_e32 v38, 29, v36
	v_sub_nc_u32_e32 v36, 30, v36
	s_delay_alu instid0(VALU_DEP_2) | instskip(SKIP_1) | instid1(VALU_DEP_1)
	v_lshlrev_b32_e32 v37, v38, v37
	v_bfe_u32 v38, v26, 18, 5
	v_cmp_eq_u32_e32 vcc_lo, 0, v38
	s_delay_alu instid0(VALU_DEP_3) | instskip(NEXT) | instid1(VALU_DEP_1)
	v_dual_cndmask_b32 v36, v38, v36 :: v_dual_and_b32 v37, 3, v37
	v_cndmask_b32_e32 v27, v27, v37, vcc_lo
	v_and_b32_e32 v37, 0x80000000, v39
	s_delay_alu instid0(VALU_DEP_3) | instskip(NEXT) | instid1(VALU_DEP_3)
	v_lshl_add_u32 v36, v36, 23, 0x37800000
	v_lshlrev_b32_e32 v27, 21, v27
	s_delay_alu instid0(VALU_DEP_1)
	v_or3_b32 v27, v37, v36, v27
.LBB6_14192:                            ;   in Loop: Header=BB6_12675 Depth=3
	s_or_b32 exec_lo, exec_lo, s17
	v_lshrrev_b32_e32 v36, 16, v15
	s_mov_b32 s13, 0
	s_mov_b32 s30, exec_lo
                                        ; implicit-def: $sgpr17
	s_delay_alu instid0(VALU_DEP_1) | instskip(NEXT) | instid1(VALU_DEP_1)
	v_and_b32_e32 v38, 0xff, v36
	v_cmpx_lt_i16_e32 0x7f, v38
	s_xor_b32 s30, exec_lo, s30
	s_cbranch_execnz .LBB6_15102
; %bb.14193:                            ;   in Loop: Header=BB6_12675 Depth=3
	s_or_saveexec_b32 s30, s30
	v_mov_b32_e32 v37, s17
	s_xor_b32 exec_lo, exec_lo, s30
	s_cbranch_execnz .LBB6_15105
.LBB6_14194:                            ;   in Loop: Header=BB6_12675 Depth=3
	s_or_b32 exec_lo, exec_lo, s30
	s_and_saveexec_b32 s17, s13
	s_cbranch_execz .LBB6_14196
.LBB6_14195:                            ;   in Loop: Header=BB6_12675 Depth=3
	v_bfe_u32 v37, v15, 16, 2
	v_lshlrev_b32_e32 v48, 8, v15
	s_delay_alu instid0(VALU_DEP_2) | instskip(NEXT) | instid1(VALU_DEP_1)
	v_clz_i32_u32_e32 v38, v37
	v_min_u32_e32 v38, 32, v38
	s_delay_alu instid0(VALU_DEP_1) | instskip(SKIP_1) | instid1(VALU_DEP_2)
	v_subrev_nc_u32_e32 v39, 29, v38
	v_sub_nc_u32_e32 v38, 30, v38
	v_lshlrev_b32_e32 v36, v39, v36
	v_bfe_u32 v39, v15, 18, 5
	s_delay_alu instid0(VALU_DEP_2) | instskip(NEXT) | instid1(VALU_DEP_2)
	v_and_b32_e32 v36, 3, v36
	v_cmp_eq_u32_e32 vcc_lo, 0, v39
	v_cndmask_b32_e32 v38, v39, v38, vcc_lo
	s_delay_alu instid0(VALU_DEP_3) | instskip(SKIP_1) | instid1(VALU_DEP_3)
	v_cndmask_b32_e32 v36, v37, v36, vcc_lo
	v_and_b32_e32 v37, 0x80000000, v48
	v_lshl_add_u32 v38, v38, 23, 0x37800000
	s_delay_alu instid0(VALU_DEP_3) | instskip(NEXT) | instid1(VALU_DEP_1)
	v_lshlrev_b32_e32 v36, 21, v36
	v_or3_b32 v37, v37, v38, v36
.LBB6_14196:                            ;   in Loop: Header=BB6_12675 Depth=3
	s_or_b32 exec_lo, exec_lo, s17
	s_delay_alu instid0(VALU_DEP_1) | instskip(SKIP_2) | instid1(VALU_DEP_2)
	v_add_f32_e32 v27, v27, v37
	v_mov_b32_e32 v103, 0x80
	s_mov_b32 s17, exec_lo
	v_and_b32_e32 v36, 0x7f800000, v27
	s_delay_alu instid0(VALU_DEP_1)
	v_cmpx_ne_u32_e32 0x7f800000, v36
	s_cbranch_execz .LBB6_14204
; %bb.14197:                            ;   in Loop: Header=BB6_12675 Depth=3
	v_mov_b32_e32 v103, 0
	s_mov_b32 s30, exec_lo
	v_cmpx_ne_u32_e32 0, v27
	s_cbranch_execz .LBB6_14203
; %bb.14198:                            ;   in Loop: Header=BB6_12675 Depth=3
	v_bfe_u32 v36, v27, 23, 8
	s_delay_alu instid0(VALU_DEP_1) | instskip(SKIP_1) | instid1(VALU_DEP_2)
	v_sub_nc_u32_e32 v38, 0x70, v36
	v_cmp_gt_u32_e32 vcc_lo, 0x71, v36
	v_dual_cndmask_b32 v38, 0, v38 :: v_dual_and_b32 v37, 0x7fffff, v27
	s_delay_alu instid0(VALU_DEP_1) | instskip(SKIP_2) | instid1(VALU_DEP_4)
	v_or_b32_e32 v39, 0x800000, v37
	v_cmp_eq_u32_e32 vcc_lo, 0, v36
	v_add_nc_u32_e32 v36, 0xffffff91, v36
	v_cndmask_b32_e64 v38, v38, 0x6f, vcc_lo
	s_delay_alu instid0(VALU_DEP_4) | instskip(NEXT) | instid1(VALU_DEP_3)
	v_cndmask_b32_e32 v37, v39, v37, vcc_lo
	v_cndmask_b32_e64 v36, v36, 0xffffff92, vcc_lo
	s_delay_alu instid0(VALU_DEP_3) | instskip(NEXT) | instid1(VALU_DEP_3)
	v_lshl_add_u32 v39, 0x200000, v38, -1
	v_lshrrev_b32_e32 v48, v38, v37
	v_lshlrev_b32_e64 v50, v38, 0x100000
	s_delay_alu instid0(VALU_DEP_4) | instskip(NEXT) | instid1(VALU_DEP_4)
	v_add_nc_u32_e32 v38, v38, v36
	v_and_b32_e32 v37, v39, v37
	s_delay_alu instid0(VALU_DEP_4) | instskip(NEXT) | instid1(VALU_DEP_2)
	v_bfe_u32 v49, v48, 21, 1
	v_cmp_eq_u32_e64 s13, v37, v50
	s_delay_alu instid0(VALU_DEP_2) | instskip(NEXT) | instid1(VALU_DEP_1)
	v_add_nc_u32_e32 v39, -1, v49
	v_cndmask_b32_e64 v37, 0, v39, s13
	v_lshrrev_b32_e32 v39, 23, v48
	s_mov_b32 s13, exec_lo
	s_delay_alu instid0(VALU_DEP_2) | instskip(NEXT) | instid1(VALU_DEP_2)
	v_add_nc_u32_e32 v37, v37, v48
	v_xor_b32_e32 v39, 1, v39
	s_delay_alu instid0(VALU_DEP_2) | instskip(NEXT) | instid1(VALU_DEP_1)
	v_and_b32_e32 v36, 0x1fffff, v37
	v_add_nc_u32_e32 v37, v36, v48
                                        ; implicit-def: $vgpr36
	s_delay_alu instid0(VALU_DEP_3)
	v_cmpx_ne_u32_e64 v38, v39
	s_xor_b32 s13, exec_lo, s13
; %bb.14199:                            ;   in Loop: Header=BB6_12675 Depth=3
	s_delay_alu instid0(VALU_DEP_2) | instskip(SKIP_2) | instid1(VALU_DEP_2)
	v_cmp_lt_u32_e32 vcc_lo, 0xffffff, v37
	v_sub_nc_u32_e32 v36, v38, v39
	v_cndmask_b32_e64 v38, 0, 1, vcc_lo
	v_add_co_ci_u32_e32 v36, vcc_lo, 0, v36, vcc_lo
	s_delay_alu instid0(VALU_DEP_2)
	v_lshrrev_b32_e32 v37, v38, v37
; %bb.14200:                            ;   in Loop: Header=BB6_12675 Depth=3
	s_and_not1_saveexec_b32 s13, s13
; %bb.14201:                            ;   in Loop: Header=BB6_12675 Depth=3
	s_delay_alu instid0(VALU_DEP_1)
	v_bfe_u32 v36, v37, 23, 1
; %bb.14202:                            ;   in Loop: Header=BB6_12675 Depth=3
	s_or_b32 exec_lo, exec_lo, s13
	v_lshrrev_b32_e32 v37, 21, v37
	s_delay_alu instid0(VALU_DEP_2) | instskip(SKIP_2) | instid1(VALU_DEP_2)
	v_cmp_gt_i32_e32 vcc_lo, 32, v36
	v_min_i32_e32 v38, 31, v36
	v_lshrrev_b32_e32 v27, 24, v27
	v_dual_cndmask_b32 v37, 3, v37 :: v_dual_lshlrev_b32 v38, 2, v38
	s_delay_alu instid0(VALU_DEP_2) | instskip(NEXT) | instid1(VALU_DEP_2)
	v_and_b32_e32 v27, 0x80, v27
	v_or_b32_e32 v36, v36, v37
	v_and_b32_e32 v39, 3, v37
	s_delay_alu instid0(VALU_DEP_2) | instskip(SKIP_1) | instid1(VALU_DEP_1)
	v_cmp_ne_u32_e32 vcc_lo, 0, v36
	v_and_b32_e32 v38, 0xfc, v38
	v_or3_b32 v27, v38, v27, v39
	s_delay_alu instid0(VALU_DEP_1)
	v_cndmask_b32_e32 v103, 0, v27, vcc_lo
.LBB6_14203:                            ;   in Loop: Header=BB6_12675 Depth=3
	s_or_b32 exec_lo, exec_lo, s30
.LBB6_14204:                            ;   in Loop: Header=BB6_12675 Depth=3
	s_delay_alu instid0(SALU_CYCLE_1) | instskip(SKIP_3) | instid1(VALU_DEP_1)
	s_or_b32 exec_lo, exec_lo, s17
	v_lshrrev_b32_e32 v36, 24, v26
	s_mov_b32 s13, 0
	s_mov_b32 s30, exec_lo
                                        ; implicit-def: $sgpr17
	v_cmpx_lt_i16_e32 0x7f, v36
	s_xor_b32 s30, exec_lo, s30
	s_cbranch_execnz .LBB6_15106
; %bb.14205:                            ;   in Loop: Header=BB6_12675 Depth=3
	s_or_saveexec_b32 s30, s30
	v_mov_b32_e32 v27, s17
	s_xor_b32 exec_lo, exec_lo, s30
	s_cbranch_execnz .LBB6_15109
.LBB6_14206:                            ;   in Loop: Header=BB6_12675 Depth=3
	s_or_b32 exec_lo, exec_lo, s30
	s_and_saveexec_b32 s17, s13
	s_cbranch_execz .LBB6_14208
.LBB6_14207:                            ;   in Loop: Header=BB6_12675 Depth=3
	v_bfe_u32 v27, v26, 24, 2
	s_delay_alu instid0(VALU_DEP_1) | instskip(NEXT) | instid1(VALU_DEP_1)
	v_clz_i32_u32_e32 v37, v27
	v_min_u32_e32 v37, 32, v37
	s_delay_alu instid0(VALU_DEP_1) | instskip(SKIP_1) | instid1(VALU_DEP_2)
	v_subrev_nc_u32_e32 v38, 29, v37
	v_sub_nc_u32_e32 v37, 30, v37
	v_lshlrev_b32_e32 v36, v38, v36
	v_bfe_u32 v38, v26, 26, 5
	v_and_b32_e32 v26, 0x80000000, v26
	s_delay_alu instid0(VALU_DEP_2) | instskip(NEXT) | instid1(VALU_DEP_4)
	v_cmp_eq_u32_e32 vcc_lo, 0, v38
	v_dual_cndmask_b32 v37, v38, v37 :: v_dual_and_b32 v36, 3, v36
	s_delay_alu instid0(VALU_DEP_1) | instskip(NEXT) | instid1(VALU_DEP_2)
	v_cndmask_b32_e32 v27, v27, v36, vcc_lo
	v_lshl_add_u32 v36, v37, 23, 0x37800000
	s_delay_alu instid0(VALU_DEP_2) | instskip(NEXT) | instid1(VALU_DEP_1)
	v_lshlrev_b32_e32 v27, 21, v27
	v_or3_b32 v27, v26, v36, v27
.LBB6_14208:                            ;   in Loop: Header=BB6_12675 Depth=3
	s_or_b32 exec_lo, exec_lo, s17
	v_lshrrev_b32_e32 v26, 24, v15
	s_mov_b32 s13, 0
	s_mov_b32 s30, exec_lo
                                        ; implicit-def: $sgpr17
	s_delay_alu instid0(VALU_DEP_1)
	v_cmpx_lt_i16_e32 0x7f, v26
	s_xor_b32 s30, exec_lo, s30
	s_cbranch_execnz .LBB6_15110
; %bb.14209:                            ;   in Loop: Header=BB6_12675 Depth=3
	s_or_saveexec_b32 s30, s30
	v_mov_b32_e32 v36, s17
	s_xor_b32 exec_lo, exec_lo, s30
	s_cbranch_execnz .LBB6_15113
.LBB6_14210:                            ;   in Loop: Header=BB6_12675 Depth=3
	s_or_b32 exec_lo, exec_lo, s30
	s_and_saveexec_b32 s17, s13
	s_cbranch_execz .LBB6_14212
.LBB6_14211:                            ;   in Loop: Header=BB6_12675 Depth=3
	v_bfe_u32 v36, v15, 24, 2
	s_delay_alu instid0(VALU_DEP_1) | instskip(NEXT) | instid1(VALU_DEP_1)
	v_clz_i32_u32_e32 v37, v36
	v_min_u32_e32 v37, 32, v37
	s_delay_alu instid0(VALU_DEP_1) | instskip(SKIP_1) | instid1(VALU_DEP_2)
	v_subrev_nc_u32_e32 v38, 29, v37
	v_sub_nc_u32_e32 v37, 30, v37
	v_lshlrev_b32_e32 v26, v38, v26
	v_bfe_u32 v38, v15, 26, 5
	v_and_b32_e32 v15, 0x80000000, v15
	s_delay_alu instid0(VALU_DEP_2) | instskip(NEXT) | instid1(VALU_DEP_4)
	v_cmp_eq_u32_e32 vcc_lo, 0, v38
	v_dual_cndmask_b32 v37, v38, v37 :: v_dual_and_b32 v26, 3, v26
	s_delay_alu instid0(VALU_DEP_1) | instskip(NEXT) | instid1(VALU_DEP_2)
	v_cndmask_b32_e32 v26, v36, v26, vcc_lo
	v_lshl_add_u32 v36, v37, 23, 0x37800000
	s_delay_alu instid0(VALU_DEP_2) | instskip(NEXT) | instid1(VALU_DEP_1)
	v_lshlrev_b32_e32 v26, 21, v26
	v_or3_b32 v36, v15, v36, v26
.LBB6_14212:                            ;   in Loop: Header=BB6_12675 Depth=3
	s_or_b32 exec_lo, exec_lo, s17
	s_delay_alu instid0(VALU_DEP_1) | instskip(NEXT) | instid1(VALU_DEP_1)
	v_add_f32_e32 v26, v27, v36
	v_and_b32_e32 v15, 0x7f800000, v26
	s_delay_alu instid0(VALU_DEP_1)
	v_cmp_ne_u32_e32 vcc_lo, 0x7f800000, v15
	v_mov_b32_e32 v15, 0x8000
	s_and_saveexec_b32 s17, vcc_lo
	s_cbranch_execz .LBB6_14220
; %bb.14213:                            ;   in Loop: Header=BB6_12675 Depth=3
	v_mov_b32_e32 v15, 0
	s_mov_b32 s30, exec_lo
	v_cmpx_ne_u32_e32 0, v26
	s_cbranch_execz .LBB6_14219
; %bb.14214:                            ;   in Loop: Header=BB6_12675 Depth=3
	v_bfe_u32 v15, v26, 23, 8
	s_delay_alu instid0(VALU_DEP_1) | instskip(SKIP_1) | instid1(VALU_DEP_2)
	v_sub_nc_u32_e32 v36, 0x70, v15
	v_cmp_gt_u32_e32 vcc_lo, 0x71, v15
	v_dual_cndmask_b32 v36, 0, v36 :: v_dual_and_b32 v27, 0x7fffff, v26
	s_delay_alu instid0(VALU_DEP_1) | instskip(SKIP_2) | instid1(VALU_DEP_4)
	v_or_b32_e32 v37, 0x800000, v27
	v_cmp_eq_u32_e32 vcc_lo, 0, v15
	v_add_nc_u32_e32 v15, 0xffffff91, v15
	v_cndmask_b32_e64 v36, v36, 0x6f, vcc_lo
	s_delay_alu instid0(VALU_DEP_4) | instskip(NEXT) | instid1(VALU_DEP_3)
	v_cndmask_b32_e32 v27, v37, v27, vcc_lo
	v_cndmask_b32_e64 v15, v15, 0xffffff92, vcc_lo
	s_delay_alu instid0(VALU_DEP_3) | instskip(NEXT) | instid1(VALU_DEP_3)
	v_lshl_add_u32 v37, 0x200000, v36, -1
	v_lshrrev_b32_e32 v38, v36, v27
	v_lshlrev_b32_e64 v48, v36, 0x100000
	s_delay_alu instid0(VALU_DEP_4) | instskip(NEXT) | instid1(VALU_DEP_4)
	v_add_nc_u32_e32 v36, v36, v15
	v_and_b32_e32 v27, v37, v27
	s_delay_alu instid0(VALU_DEP_4) | instskip(NEXT) | instid1(VALU_DEP_2)
	v_bfe_u32 v39, v38, 21, 1
	v_cmp_eq_u32_e64 s13, v27, v48
	s_delay_alu instid0(VALU_DEP_2) | instskip(NEXT) | instid1(VALU_DEP_1)
	v_add_nc_u32_e32 v37, -1, v39
	v_cndmask_b32_e64 v27, 0, v37, s13
	v_lshrrev_b32_e32 v37, 23, v38
	s_mov_b32 s13, exec_lo
	s_delay_alu instid0(VALU_DEP_2) | instskip(NEXT) | instid1(VALU_DEP_2)
	v_add_nc_u32_e32 v27, v27, v38
	v_xor_b32_e32 v37, 1, v37
	s_delay_alu instid0(VALU_DEP_2) | instskip(NEXT) | instid1(VALU_DEP_1)
	v_and_b32_e32 v15, 0x1fffff, v27
	v_add_nc_u32_e32 v27, v15, v38
                                        ; implicit-def: $vgpr15
	s_delay_alu instid0(VALU_DEP_3)
	v_cmpx_ne_u32_e64 v36, v37
	s_xor_b32 s13, exec_lo, s13
; %bb.14215:                            ;   in Loop: Header=BB6_12675 Depth=3
	s_delay_alu instid0(VALU_DEP_2) | instskip(SKIP_2) | instid1(VALU_DEP_2)
	v_cmp_lt_u32_e32 vcc_lo, 0xffffff, v27
	v_sub_nc_u32_e32 v15, v36, v37
	v_cndmask_b32_e64 v36, 0, 1, vcc_lo
	v_add_co_ci_u32_e32 v15, vcc_lo, 0, v15, vcc_lo
	s_delay_alu instid0(VALU_DEP_2)
	v_lshrrev_b32_e32 v27, v36, v27
; %bb.14216:                            ;   in Loop: Header=BB6_12675 Depth=3
	s_and_not1_saveexec_b32 s13, s13
; %bb.14217:                            ;   in Loop: Header=BB6_12675 Depth=3
	s_delay_alu instid0(VALU_DEP_1)
	v_bfe_u32 v15, v27, 23, 1
; %bb.14218:                            ;   in Loop: Header=BB6_12675 Depth=3
	s_or_b32 exec_lo, exec_lo, s13
	v_lshrrev_b32_e32 v27, 21, v27
	s_delay_alu instid0(VALU_DEP_2) | instskip(SKIP_2) | instid1(VALU_DEP_2)
	v_cmp_gt_i32_e32 vcc_lo, 32, v15
	v_min_i32_e32 v36, 31, v15
	v_lshrrev_b32_e32 v26, 24, v26
	v_dual_cndmask_b32 v27, 3, v27 :: v_dual_lshlrev_b32 v36, 2, v36
	s_delay_alu instid0(VALU_DEP_2) | instskip(NEXT) | instid1(VALU_DEP_2)
	v_and_b32_e32 v26, 0x80, v26
	v_or_b32_e32 v15, v15, v27
	v_and_b32_e32 v37, 3, v27
	s_delay_alu instid0(VALU_DEP_2) | instskip(SKIP_1) | instid1(VALU_DEP_1)
	v_cmp_ne_u32_e32 vcc_lo, 0, v15
	v_and_b32_e32 v36, 0xfc, v36
	v_or3_b32 v26, v26, v36, v37
	s_delay_alu instid0(VALU_DEP_1) | instskip(NEXT) | instid1(VALU_DEP_1)
	v_lshlrev_b32_e32 v26, 8, v26
	v_cndmask_b32_e32 v15, 0, v26, vcc_lo
.LBB6_14219:                            ;   in Loop: Header=BB6_12675 Depth=3
	s_or_b32 exec_lo, exec_lo, s30
.LBB6_14220:                            ;   in Loop: Header=BB6_12675 Depth=3
	s_delay_alu instid0(SALU_CYCLE_1) | instskip(SKIP_3) | instid1(VALU_DEP_1)
	s_or_b32 exec_lo, exec_lo, s17
	v_and_b32_e32 v27, 0xff, v42
	s_mov_b32 s13, 0
	s_mov_b32 s30, exec_lo
                                        ; implicit-def: $sgpr17
	v_cmpx_lt_i16_e32 0x7f, v27
	s_xor_b32 s30, exec_lo, s30
	s_cbranch_execnz .LBB6_15114
; %bb.14221:                            ;   in Loop: Header=BB6_12675 Depth=3
	s_or_saveexec_b32 s30, s30
	v_mov_b32_e32 v26, s17
	s_xor_b32 exec_lo, exec_lo, s30
	s_cbranch_execnz .LBB6_15117
.LBB6_14222:                            ;   in Loop: Header=BB6_12675 Depth=3
	s_or_b32 exec_lo, exec_lo, s30
	s_and_saveexec_b32 s17, s13
	s_cbranch_execz .LBB6_14224
.LBB6_14223:                            ;   in Loop: Header=BB6_12675 Depth=3
	v_bfe_u32 v37, v42, 2, 5
	v_lshlrev_b32_e32 v38, 24, v42
	s_delay_alu instid0(VALU_DEP_2) | instskip(SKIP_1) | instid1(VALU_DEP_1)
	v_cmp_eq_u32_e32 vcc_lo, 0, v37
	v_and_b32_e32 v26, 3, v42
	v_clz_i32_u32_e32 v27, v26
	s_delay_alu instid0(VALU_DEP_1) | instskip(NEXT) | instid1(VALU_DEP_1)
	v_min_u32_e32 v27, 32, v27
	v_subrev_nc_u32_e32 v36, 29, v27
	v_sub_nc_u32_e32 v27, 30, v27
	s_delay_alu instid0(VALU_DEP_1) | instskip(NEXT) | instid1(VALU_DEP_1)
	v_dual_cndmask_b32 v27, v37, v27 :: v_dual_lshlrev_b32 v36, v36, v42
	v_and_b32_e32 v36, 3, v36
	s_delay_alu instid0(VALU_DEP_2) | instskip(NEXT) | instid1(VALU_DEP_2)
	v_lshl_add_u32 v27, v27, 23, 0x37800000
	v_cndmask_b32_e32 v26, v26, v36, vcc_lo
	v_and_b32_e32 v36, 0x80000000, v38
	s_delay_alu instid0(VALU_DEP_2) | instskip(NEXT) | instid1(VALU_DEP_1)
	v_lshlrev_b32_e32 v26, 21, v26
	v_or3_b32 v26, v36, v27, v26
.LBB6_14224:                            ;   in Loop: Header=BB6_12675 Depth=3
	s_or_b32 exec_lo, exec_lo, s17
	s_waitcnt vmcnt(0)
	v_and_b32_e32 v36, 0xff, v8
	s_mov_b32 s13, 0
	s_mov_b32 s30, exec_lo
                                        ; implicit-def: $sgpr17
	s_delay_alu instid0(VALU_DEP_1)
	v_cmpx_lt_i16_e32 0x7f, v36
	s_xor_b32 s30, exec_lo, s30
	s_cbranch_execnz .LBB6_15118
; %bb.14225:                            ;   in Loop: Header=BB6_12675 Depth=3
	s_or_saveexec_b32 s30, s30
	v_mov_b32_e32 v27, s17
	s_xor_b32 exec_lo, exec_lo, s30
	s_cbranch_execnz .LBB6_15121
.LBB6_14226:                            ;   in Loop: Header=BB6_12675 Depth=3
	s_or_b32 exec_lo, exec_lo, s30
	s_and_saveexec_b32 s17, s13
	s_cbranch_execz .LBB6_14228
.LBB6_14227:                            ;   in Loop: Header=BB6_12675 Depth=3
	v_and_b32_e32 v27, 3, v8
	v_bfe_u32 v38, v8, 2, 5
	v_lshlrev_b32_e32 v39, 24, v8
	s_delay_alu instid0(VALU_DEP_3) | instskip(NEXT) | instid1(VALU_DEP_3)
	v_clz_i32_u32_e32 v36, v27
	v_cmp_eq_u32_e32 vcc_lo, 0, v38
	s_delay_alu instid0(VALU_DEP_2) | instskip(NEXT) | instid1(VALU_DEP_1)
	v_min_u32_e32 v36, 32, v36
	v_subrev_nc_u32_e32 v37, 29, v36
	v_sub_nc_u32_e32 v36, 30, v36
	s_delay_alu instid0(VALU_DEP_2) | instskip(NEXT) | instid1(VALU_DEP_1)
	v_lshlrev_b32_e32 v37, v37, v8
	v_dual_cndmask_b32 v36, v38, v36 :: v_dual_and_b32 v37, 3, v37
	s_delay_alu instid0(VALU_DEP_1) | instskip(NEXT) | instid1(VALU_DEP_2)
	v_lshl_add_u32 v36, v36, 23, 0x37800000
	v_cndmask_b32_e32 v27, v27, v37, vcc_lo
	v_and_b32_e32 v37, 0x80000000, v39
	s_delay_alu instid0(VALU_DEP_2) | instskip(NEXT) | instid1(VALU_DEP_1)
	v_lshlrev_b32_e32 v27, 21, v27
	v_or3_b32 v27, v37, v36, v27
.LBB6_14228:                            ;   in Loop: Header=BB6_12675 Depth=3
	s_or_b32 exec_lo, exec_lo, s17
	s_delay_alu instid0(VALU_DEP_1) | instskip(SKIP_2) | instid1(VALU_DEP_2)
	v_add_f32_e32 v26, v26, v27
	v_mov_b32_e32 v144, 0x80
	s_mov_b32 s17, exec_lo
	v_and_b32_e32 v27, 0x7f800000, v26
	s_delay_alu instid0(VALU_DEP_1)
	v_cmpx_ne_u32_e32 0x7f800000, v27
	s_cbranch_execz .LBB6_14236
; %bb.14229:                            ;   in Loop: Header=BB6_12675 Depth=3
	v_mov_b32_e32 v144, 0
	s_mov_b32 s30, exec_lo
	v_cmpx_ne_u32_e32 0, v26
	s_cbranch_execz .LBB6_14235
; %bb.14230:                            ;   in Loop: Header=BB6_12675 Depth=3
	v_bfe_u32 v27, v26, 23, 8
	s_delay_alu instid0(VALU_DEP_1) | instskip(SKIP_1) | instid1(VALU_DEP_2)
	v_sub_nc_u32_e32 v37, 0x70, v27
	v_cmp_gt_u32_e32 vcc_lo, 0x71, v27
	v_dual_cndmask_b32 v37, 0, v37 :: v_dual_and_b32 v36, 0x7fffff, v26
	s_delay_alu instid0(VALU_DEP_1) | instskip(SKIP_2) | instid1(VALU_DEP_4)
	v_or_b32_e32 v38, 0x800000, v36
	v_cmp_eq_u32_e32 vcc_lo, 0, v27
	v_add_nc_u32_e32 v27, 0xffffff91, v27
	v_cndmask_b32_e64 v37, v37, 0x6f, vcc_lo
	s_delay_alu instid0(VALU_DEP_4) | instskip(NEXT) | instid1(VALU_DEP_3)
	v_cndmask_b32_e32 v36, v38, v36, vcc_lo
	v_cndmask_b32_e64 v27, v27, 0xffffff92, vcc_lo
	s_delay_alu instid0(VALU_DEP_3) | instskip(NEXT) | instid1(VALU_DEP_3)
	v_lshl_add_u32 v38, 0x200000, v37, -1
	v_lshrrev_b32_e32 v39, v37, v36
	v_lshlrev_b32_e64 v49, v37, 0x100000
	s_delay_alu instid0(VALU_DEP_4) | instskip(NEXT) | instid1(VALU_DEP_4)
	v_add_nc_u32_e32 v37, v37, v27
	v_and_b32_e32 v36, v38, v36
	s_delay_alu instid0(VALU_DEP_4) | instskip(NEXT) | instid1(VALU_DEP_2)
	v_bfe_u32 v48, v39, 21, 1
	v_cmp_eq_u32_e64 s13, v36, v49
	s_delay_alu instid0(VALU_DEP_2) | instskip(NEXT) | instid1(VALU_DEP_1)
	v_add_nc_u32_e32 v38, -1, v48
	v_cndmask_b32_e64 v36, 0, v38, s13
	v_lshrrev_b32_e32 v38, 23, v39
	s_mov_b32 s13, exec_lo
	s_delay_alu instid0(VALU_DEP_2) | instskip(NEXT) | instid1(VALU_DEP_2)
	v_add_nc_u32_e32 v36, v36, v39
	v_xor_b32_e32 v38, 1, v38
	s_delay_alu instid0(VALU_DEP_2) | instskip(NEXT) | instid1(VALU_DEP_1)
	v_and_b32_e32 v27, 0x1fffff, v36
	v_add_nc_u32_e32 v36, v27, v39
                                        ; implicit-def: $vgpr27
	s_delay_alu instid0(VALU_DEP_3)
	v_cmpx_ne_u32_e64 v37, v38
	s_xor_b32 s13, exec_lo, s13
; %bb.14231:                            ;   in Loop: Header=BB6_12675 Depth=3
	s_delay_alu instid0(VALU_DEP_2) | instskip(SKIP_2) | instid1(VALU_DEP_2)
	v_cmp_lt_u32_e32 vcc_lo, 0xffffff, v36
	v_sub_nc_u32_e32 v27, v37, v38
	v_cndmask_b32_e64 v37, 0, 1, vcc_lo
	v_add_co_ci_u32_e32 v27, vcc_lo, 0, v27, vcc_lo
	s_delay_alu instid0(VALU_DEP_2)
	v_lshrrev_b32_e32 v36, v37, v36
; %bb.14232:                            ;   in Loop: Header=BB6_12675 Depth=3
	s_and_not1_saveexec_b32 s13, s13
; %bb.14233:                            ;   in Loop: Header=BB6_12675 Depth=3
	s_delay_alu instid0(VALU_DEP_1)
	v_bfe_u32 v27, v36, 23, 1
; %bb.14234:                            ;   in Loop: Header=BB6_12675 Depth=3
	s_or_b32 exec_lo, exec_lo, s13
	v_lshrrev_b32_e32 v36, 21, v36
	s_delay_alu instid0(VALU_DEP_2) | instskip(SKIP_2) | instid1(VALU_DEP_4)
	v_cmp_gt_i32_e32 vcc_lo, 32, v27
	v_lshrrev_b32_e32 v26, 24, v26
	v_min_i32_e32 v37, 31, v27
	v_cndmask_b32_e32 v36, 3, v36, vcc_lo
	s_delay_alu instid0(VALU_DEP_3) | instskip(NEXT) | instid1(VALU_DEP_3)
	v_and_b32_e32 v26, 0x80, v26
	v_lshlrev_b32_e32 v37, 2, v37
	s_delay_alu instid0(VALU_DEP_3) | instskip(SKIP_1) | instid1(VALU_DEP_2)
	v_and_b32_e32 v38, 3, v36
	v_or_b32_e32 v27, v27, v36
	v_or3_b32 v26, v37, v26, v38
	s_delay_alu instid0(VALU_DEP_2) | instskip(NEXT) | instid1(VALU_DEP_2)
	v_cmp_ne_u32_e32 vcc_lo, 0, v27
	v_cndmask_b32_e32 v144, 0, v26, vcc_lo
.LBB6_14235:                            ;   in Loop: Header=BB6_12675 Depth=3
	s_or_b32 exec_lo, exec_lo, s30
.LBB6_14236:                            ;   in Loop: Header=BB6_12675 Depth=3
	s_delay_alu instid0(SALU_CYCLE_1) | instskip(SKIP_3) | instid1(VALU_DEP_1)
	s_or_b32 exec_lo, exec_lo, s17
	v_and_b32_e32 v27, 0xff, v40
	s_mov_b32 s13, 0
	s_mov_b32 s30, exec_lo
                                        ; implicit-def: $sgpr17
	v_cmpx_lt_i16_e32 0x7f, v27
	s_xor_b32 s30, exec_lo, s30
	s_cbranch_execnz .LBB6_15122
; %bb.14237:                            ;   in Loop: Header=BB6_12675 Depth=3
	s_or_saveexec_b32 s30, s30
	v_mov_b32_e32 v26, s17
	s_xor_b32 exec_lo, exec_lo, s30
	s_cbranch_execnz .LBB6_15125
.LBB6_14238:                            ;   in Loop: Header=BB6_12675 Depth=3
	s_or_b32 exec_lo, exec_lo, s30
	s_and_saveexec_b32 s17, s13
	s_cbranch_execz .LBB6_14240
.LBB6_14239:                            ;   in Loop: Header=BB6_12675 Depth=3
	v_bfe_u32 v37, v40, 2, 5
	v_lshlrev_b32_e32 v38, 24, v40
	s_delay_alu instid0(VALU_DEP_2) | instskip(SKIP_1) | instid1(VALU_DEP_1)
	v_cmp_eq_u32_e32 vcc_lo, 0, v37
	v_and_b32_e32 v26, 3, v40
	v_clz_i32_u32_e32 v27, v26
	s_delay_alu instid0(VALU_DEP_1) | instskip(NEXT) | instid1(VALU_DEP_1)
	v_min_u32_e32 v27, 32, v27
	v_subrev_nc_u32_e32 v36, 29, v27
	v_sub_nc_u32_e32 v27, 30, v27
	s_delay_alu instid0(VALU_DEP_1) | instskip(NEXT) | instid1(VALU_DEP_1)
	v_dual_cndmask_b32 v27, v37, v27 :: v_dual_lshlrev_b32 v36, v36, v40
	v_and_b32_e32 v36, 3, v36
	s_delay_alu instid0(VALU_DEP_2) | instskip(NEXT) | instid1(VALU_DEP_2)
	v_lshl_add_u32 v27, v27, 23, 0x37800000
	v_cndmask_b32_e32 v26, v26, v36, vcc_lo
	v_and_b32_e32 v36, 0x80000000, v38
	s_delay_alu instid0(VALU_DEP_2) | instskip(NEXT) | instid1(VALU_DEP_1)
	v_lshlrev_b32_e32 v26, 21, v26
	v_or3_b32 v26, v36, v27, v26
.LBB6_14240:                            ;   in Loop: Header=BB6_12675 Depth=3
	s_or_b32 exec_lo, exec_lo, s17
	v_lshrrev_b16 v27, 8, v8
	s_mov_b32 s13, 0
	s_mov_b32 s30, exec_lo
                                        ; implicit-def: $sgpr17
	s_delay_alu instid0(VALU_DEP_1)
	v_cmpx_lt_i16_e32 0x7f, v27
	s_xor_b32 s30, exec_lo, s30
	s_cbranch_execnz .LBB6_15126
; %bb.14241:                            ;   in Loop: Header=BB6_12675 Depth=3
	s_or_saveexec_b32 s30, s30
	v_mov_b32_e32 v36, s17
	s_xor_b32 exec_lo, exec_lo, s30
	s_cbranch_execnz .LBB6_15129
.LBB6_14242:                            ;   in Loop: Header=BB6_12675 Depth=3
	s_or_b32 exec_lo, exec_lo, s30
	s_and_saveexec_b32 s17, s13
	s_cbranch_execz .LBB6_14244
.LBB6_14243:                            ;   in Loop: Header=BB6_12675 Depth=3
	v_and_b32_e32 v36, 0xffff, v27
	v_lshlrev_b32_e32 v27, 24, v27
	s_delay_alu instid0(VALU_DEP_2) | instskip(NEXT) | instid1(VALU_DEP_2)
	v_and_b32_e32 v37, 3, v36
	v_and_b32_e32 v27, 0x80000000, v27
	s_delay_alu instid0(VALU_DEP_2) | instskip(NEXT) | instid1(VALU_DEP_1)
	v_clz_i32_u32_e32 v38, v37
	v_min_u32_e32 v38, 32, v38
	s_delay_alu instid0(VALU_DEP_1) | instskip(SKIP_1) | instid1(VALU_DEP_2)
	v_subrev_nc_u32_e32 v39, 29, v38
	v_sub_nc_u32_e32 v38, 30, v38
	v_lshlrev_b32_e32 v39, v39, v36
	v_bfe_u32 v36, v36, 2, 5
	s_delay_alu instid0(VALU_DEP_2) | instskip(NEXT) | instid1(VALU_DEP_2)
	v_and_b32_e32 v39, 3, v39
	v_cmp_eq_u32_e32 vcc_lo, 0, v36
	s_delay_alu instid0(VALU_DEP_2) | instskip(NEXT) | instid1(VALU_DEP_1)
	v_dual_cndmask_b32 v36, v36, v38 :: v_dual_cndmask_b32 v37, v37, v39
	v_lshl_add_u32 v36, v36, 23, 0x37800000
	s_delay_alu instid0(VALU_DEP_2) | instskip(NEXT) | instid1(VALU_DEP_1)
	v_lshlrev_b32_e32 v37, 21, v37
	v_or3_b32 v36, v27, v36, v37
.LBB6_14244:                            ;   in Loop: Header=BB6_12675 Depth=3
	s_or_b32 exec_lo, exec_lo, s17
	s_delay_alu instid0(VALU_DEP_1) | instskip(SKIP_2) | instid1(VALU_DEP_2)
	v_add_f32_e32 v26, v26, v36
	v_mov_b32_e32 v40, 0x80
	s_mov_b32 s17, exec_lo
	v_and_b32_e32 v27, 0x7f800000, v26
	s_delay_alu instid0(VALU_DEP_1)
	v_cmpx_ne_u32_e32 0x7f800000, v27
	s_cbranch_execz .LBB6_14252
; %bb.14245:                            ;   in Loop: Header=BB6_12675 Depth=3
	v_mov_b32_e32 v40, 0
	s_mov_b32 s30, exec_lo
	v_cmpx_ne_u32_e32 0, v26
	s_cbranch_execz .LBB6_14251
; %bb.14246:                            ;   in Loop: Header=BB6_12675 Depth=3
	v_bfe_u32 v27, v26, 23, 8
	s_delay_alu instid0(VALU_DEP_1) | instskip(SKIP_1) | instid1(VALU_DEP_2)
	v_sub_nc_u32_e32 v37, 0x70, v27
	v_cmp_gt_u32_e32 vcc_lo, 0x71, v27
	v_dual_cndmask_b32 v37, 0, v37 :: v_dual_and_b32 v36, 0x7fffff, v26
	s_delay_alu instid0(VALU_DEP_1) | instskip(SKIP_2) | instid1(VALU_DEP_4)
	v_or_b32_e32 v38, 0x800000, v36
	v_cmp_eq_u32_e32 vcc_lo, 0, v27
	v_add_nc_u32_e32 v27, 0xffffff91, v27
	v_cndmask_b32_e64 v37, v37, 0x6f, vcc_lo
	s_delay_alu instid0(VALU_DEP_4) | instskip(NEXT) | instid1(VALU_DEP_3)
	v_cndmask_b32_e32 v36, v38, v36, vcc_lo
	v_cndmask_b32_e64 v27, v27, 0xffffff92, vcc_lo
	s_delay_alu instid0(VALU_DEP_3) | instskip(NEXT) | instid1(VALU_DEP_3)
	v_lshl_add_u32 v38, 0x200000, v37, -1
	v_lshrrev_b32_e32 v39, v37, v36
	v_lshlrev_b32_e64 v49, v37, 0x100000
	s_delay_alu instid0(VALU_DEP_4) | instskip(NEXT) | instid1(VALU_DEP_4)
	v_add_nc_u32_e32 v37, v37, v27
	v_and_b32_e32 v36, v38, v36
	s_delay_alu instid0(VALU_DEP_4) | instskip(NEXT) | instid1(VALU_DEP_2)
	v_bfe_u32 v48, v39, 21, 1
	v_cmp_eq_u32_e64 s13, v36, v49
	s_delay_alu instid0(VALU_DEP_2) | instskip(NEXT) | instid1(VALU_DEP_1)
	v_add_nc_u32_e32 v38, -1, v48
	v_cndmask_b32_e64 v36, 0, v38, s13
	v_lshrrev_b32_e32 v38, 23, v39
	s_mov_b32 s13, exec_lo
	s_delay_alu instid0(VALU_DEP_2) | instskip(NEXT) | instid1(VALU_DEP_2)
	v_add_nc_u32_e32 v36, v36, v39
	v_xor_b32_e32 v38, 1, v38
	s_delay_alu instid0(VALU_DEP_2) | instskip(NEXT) | instid1(VALU_DEP_1)
	v_and_b32_e32 v27, 0x1fffff, v36
	v_add_nc_u32_e32 v36, v27, v39
                                        ; implicit-def: $vgpr27
	s_delay_alu instid0(VALU_DEP_3)
	v_cmpx_ne_u32_e64 v37, v38
	s_xor_b32 s13, exec_lo, s13
; %bb.14247:                            ;   in Loop: Header=BB6_12675 Depth=3
	s_delay_alu instid0(VALU_DEP_2) | instskip(SKIP_2) | instid1(VALU_DEP_2)
	v_cmp_lt_u32_e32 vcc_lo, 0xffffff, v36
	v_sub_nc_u32_e32 v27, v37, v38
	v_cndmask_b32_e64 v37, 0, 1, vcc_lo
	v_add_co_ci_u32_e32 v27, vcc_lo, 0, v27, vcc_lo
	s_delay_alu instid0(VALU_DEP_2)
	v_lshrrev_b32_e32 v36, v37, v36
; %bb.14248:                            ;   in Loop: Header=BB6_12675 Depth=3
	s_and_not1_saveexec_b32 s13, s13
; %bb.14249:                            ;   in Loop: Header=BB6_12675 Depth=3
	s_delay_alu instid0(VALU_DEP_1)
	v_bfe_u32 v27, v36, 23, 1
; %bb.14250:                            ;   in Loop: Header=BB6_12675 Depth=3
	s_or_b32 exec_lo, exec_lo, s13
	v_lshrrev_b32_e32 v36, 21, v36
	s_delay_alu instid0(VALU_DEP_2) | instskip(SKIP_2) | instid1(VALU_DEP_4)
	v_cmp_gt_i32_e32 vcc_lo, 32, v27
	v_lshrrev_b32_e32 v26, 24, v26
	v_min_i32_e32 v37, 31, v27
	v_cndmask_b32_e32 v36, 3, v36, vcc_lo
	s_delay_alu instid0(VALU_DEP_3) | instskip(NEXT) | instid1(VALU_DEP_3)
	v_and_b32_e32 v26, 0x80, v26
	v_lshlrev_b32_e32 v37, 2, v37
	s_delay_alu instid0(VALU_DEP_3) | instskip(SKIP_1) | instid1(VALU_DEP_2)
	v_and_b32_e32 v38, 3, v36
	v_or_b32_e32 v27, v27, v36
	v_or3_b32 v26, v37, v26, v38
	s_delay_alu instid0(VALU_DEP_2) | instskip(NEXT) | instid1(VALU_DEP_2)
	v_cmp_ne_u32_e32 vcc_lo, 0, v27
	v_cndmask_b32_e32 v40, 0, v26, vcc_lo
.LBB6_14251:                            ;   in Loop: Header=BB6_12675 Depth=3
	s_or_b32 exec_lo, exec_lo, s30
.LBB6_14252:                            ;   in Loop: Header=BB6_12675 Depth=3
	s_delay_alu instid0(SALU_CYCLE_1) | instskip(SKIP_3) | instid1(VALU_DEP_1)
	s_or_b32 exec_lo, exec_lo, s17
	v_and_b32_e32 v27, 0xff, v182
	s_mov_b32 s13, 0
	s_mov_b32 s30, exec_lo
                                        ; implicit-def: $sgpr17
	v_cmpx_lt_i16_e32 0x7f, v27
	s_xor_b32 s30, exec_lo, s30
	s_cbranch_execnz .LBB6_15130
; %bb.14253:                            ;   in Loop: Header=BB6_12675 Depth=3
	s_or_saveexec_b32 s30, s30
	v_mov_b32_e32 v26, s17
	s_xor_b32 exec_lo, exec_lo, s30
	s_cbranch_execnz .LBB6_15133
.LBB6_14254:                            ;   in Loop: Header=BB6_12675 Depth=3
	s_or_b32 exec_lo, exec_lo, s30
	s_and_saveexec_b32 s17, s13
	s_cbranch_execz .LBB6_14256
.LBB6_14255:                            ;   in Loop: Header=BB6_12675 Depth=3
	v_bfe_u32 v37, v182, 2, 5
	v_lshlrev_b32_e32 v38, 24, v182
	s_delay_alu instid0(VALU_DEP_2) | instskip(SKIP_1) | instid1(VALU_DEP_1)
	v_cmp_eq_u32_e32 vcc_lo, 0, v37
	v_and_b32_e32 v26, 3, v182
	v_clz_i32_u32_e32 v27, v26
	s_delay_alu instid0(VALU_DEP_1) | instskip(NEXT) | instid1(VALU_DEP_1)
	v_min_u32_e32 v27, 32, v27
	v_subrev_nc_u32_e32 v36, 29, v27
	v_sub_nc_u32_e32 v27, 30, v27
	s_delay_alu instid0(VALU_DEP_1) | instskip(NEXT) | instid1(VALU_DEP_1)
	v_dual_cndmask_b32 v27, v37, v27 :: v_dual_lshlrev_b32 v36, v36, v182
	v_and_b32_e32 v36, 3, v36
	s_delay_alu instid0(VALU_DEP_2) | instskip(NEXT) | instid1(VALU_DEP_2)
	v_lshl_add_u32 v27, v27, 23, 0x37800000
	v_cndmask_b32_e32 v26, v26, v36, vcc_lo
	v_and_b32_e32 v36, 0x80000000, v38
	s_delay_alu instid0(VALU_DEP_2) | instskip(NEXT) | instid1(VALU_DEP_1)
	v_lshlrev_b32_e32 v26, 21, v26
	v_or3_b32 v26, v36, v27, v26
.LBB6_14256:                            ;   in Loop: Header=BB6_12675 Depth=3
	s_or_b32 exec_lo, exec_lo, s17
	v_lshrrev_b32_e32 v27, 16, v8
	s_mov_b32 s13, 0
	s_mov_b32 s30, exec_lo
                                        ; implicit-def: $sgpr17
	s_delay_alu instid0(VALU_DEP_1) | instskip(NEXT) | instid1(VALU_DEP_1)
	v_and_b32_e32 v37, 0xff, v27
	v_cmpx_lt_i16_e32 0x7f, v37
	s_xor_b32 s30, exec_lo, s30
	s_cbranch_execnz .LBB6_15134
; %bb.14257:                            ;   in Loop: Header=BB6_12675 Depth=3
	s_or_saveexec_b32 s30, s30
	v_mov_b32_e32 v36, s17
	s_xor_b32 exec_lo, exec_lo, s30
	s_cbranch_execnz .LBB6_15137
.LBB6_14258:                            ;   in Loop: Header=BB6_12675 Depth=3
	s_or_b32 exec_lo, exec_lo, s30
	s_and_saveexec_b32 s17, s13
	s_cbranch_execz .LBB6_14260
.LBB6_14259:                            ;   in Loop: Header=BB6_12675 Depth=3
	v_bfe_u32 v36, v8, 16, 2
	v_lshlrev_b32_e32 v39, 8, v8
	s_delay_alu instid0(VALU_DEP_2) | instskip(NEXT) | instid1(VALU_DEP_1)
	v_clz_i32_u32_e32 v37, v36
	v_min_u32_e32 v37, 32, v37
	s_delay_alu instid0(VALU_DEP_1) | instskip(SKIP_1) | instid1(VALU_DEP_2)
	v_subrev_nc_u32_e32 v38, 29, v37
	v_sub_nc_u32_e32 v37, 30, v37
	v_lshlrev_b32_e32 v27, v38, v27
	v_bfe_u32 v38, v8, 18, 5
	s_delay_alu instid0(VALU_DEP_2) | instskip(NEXT) | instid1(VALU_DEP_2)
	v_and_b32_e32 v27, 3, v27
	v_cmp_eq_u32_e32 vcc_lo, 0, v38
	v_cndmask_b32_e32 v37, v38, v37, vcc_lo
	s_delay_alu instid0(VALU_DEP_3) | instskip(SKIP_1) | instid1(VALU_DEP_3)
	v_cndmask_b32_e32 v27, v36, v27, vcc_lo
	v_and_b32_e32 v36, 0x80000000, v39
	v_lshl_add_u32 v37, v37, 23, 0x37800000
	s_delay_alu instid0(VALU_DEP_3) | instskip(NEXT) | instid1(VALU_DEP_1)
	v_lshlrev_b32_e32 v27, 21, v27
	v_or3_b32 v36, v36, v37, v27
.LBB6_14260:                            ;   in Loop: Header=BB6_12675 Depth=3
	s_or_b32 exec_lo, exec_lo, s17
	s_delay_alu instid0(VALU_DEP_1) | instskip(SKIP_2) | instid1(VALU_DEP_2)
	v_add_f32_e32 v26, v26, v36
	v_mov_b32_e32 v182, 0x80
	s_mov_b32 s17, exec_lo
	v_and_b32_e32 v27, 0x7f800000, v26
	s_delay_alu instid0(VALU_DEP_1)
	v_cmpx_ne_u32_e32 0x7f800000, v27
	s_cbranch_execz .LBB6_14268
; %bb.14261:                            ;   in Loop: Header=BB6_12675 Depth=3
	v_mov_b32_e32 v182, 0
	s_mov_b32 s30, exec_lo
	v_cmpx_ne_u32_e32 0, v26
	s_cbranch_execz .LBB6_14267
; %bb.14262:                            ;   in Loop: Header=BB6_12675 Depth=3
	v_bfe_u32 v27, v26, 23, 8
	s_delay_alu instid0(VALU_DEP_1) | instskip(SKIP_1) | instid1(VALU_DEP_2)
	v_sub_nc_u32_e32 v37, 0x70, v27
	v_cmp_gt_u32_e32 vcc_lo, 0x71, v27
	v_dual_cndmask_b32 v37, 0, v37 :: v_dual_and_b32 v36, 0x7fffff, v26
	s_delay_alu instid0(VALU_DEP_1) | instskip(SKIP_2) | instid1(VALU_DEP_4)
	v_or_b32_e32 v38, 0x800000, v36
	v_cmp_eq_u32_e32 vcc_lo, 0, v27
	v_add_nc_u32_e32 v27, 0xffffff91, v27
	v_cndmask_b32_e64 v37, v37, 0x6f, vcc_lo
	s_delay_alu instid0(VALU_DEP_4) | instskip(NEXT) | instid1(VALU_DEP_3)
	v_cndmask_b32_e32 v36, v38, v36, vcc_lo
	v_cndmask_b32_e64 v27, v27, 0xffffff92, vcc_lo
	s_delay_alu instid0(VALU_DEP_3) | instskip(NEXT) | instid1(VALU_DEP_3)
	v_lshl_add_u32 v38, 0x200000, v37, -1
	v_lshrrev_b32_e32 v39, v37, v36
	v_lshlrev_b32_e64 v49, v37, 0x100000
	s_delay_alu instid0(VALU_DEP_4) | instskip(NEXT) | instid1(VALU_DEP_4)
	v_add_nc_u32_e32 v37, v37, v27
	v_and_b32_e32 v36, v38, v36
	s_delay_alu instid0(VALU_DEP_4) | instskip(NEXT) | instid1(VALU_DEP_2)
	v_bfe_u32 v48, v39, 21, 1
	v_cmp_eq_u32_e64 s13, v36, v49
	s_delay_alu instid0(VALU_DEP_2) | instskip(NEXT) | instid1(VALU_DEP_1)
	v_add_nc_u32_e32 v38, -1, v48
	v_cndmask_b32_e64 v36, 0, v38, s13
	v_lshrrev_b32_e32 v38, 23, v39
	s_mov_b32 s13, exec_lo
	s_delay_alu instid0(VALU_DEP_2) | instskip(NEXT) | instid1(VALU_DEP_2)
	v_add_nc_u32_e32 v36, v36, v39
	v_xor_b32_e32 v38, 1, v38
	s_delay_alu instid0(VALU_DEP_2) | instskip(NEXT) | instid1(VALU_DEP_1)
	v_and_b32_e32 v27, 0x1fffff, v36
	v_add_nc_u32_e32 v36, v27, v39
                                        ; implicit-def: $vgpr27
	s_delay_alu instid0(VALU_DEP_3)
	v_cmpx_ne_u32_e64 v37, v38
	s_xor_b32 s13, exec_lo, s13
; %bb.14263:                            ;   in Loop: Header=BB6_12675 Depth=3
	s_delay_alu instid0(VALU_DEP_2) | instskip(SKIP_2) | instid1(VALU_DEP_2)
	v_cmp_lt_u32_e32 vcc_lo, 0xffffff, v36
	v_sub_nc_u32_e32 v27, v37, v38
	v_cndmask_b32_e64 v37, 0, 1, vcc_lo
	v_add_co_ci_u32_e32 v27, vcc_lo, 0, v27, vcc_lo
	s_delay_alu instid0(VALU_DEP_2)
	v_lshrrev_b32_e32 v36, v37, v36
; %bb.14264:                            ;   in Loop: Header=BB6_12675 Depth=3
	s_and_not1_saveexec_b32 s13, s13
; %bb.14265:                            ;   in Loop: Header=BB6_12675 Depth=3
	s_delay_alu instid0(VALU_DEP_1)
	v_bfe_u32 v27, v36, 23, 1
; %bb.14266:                            ;   in Loop: Header=BB6_12675 Depth=3
	s_or_b32 exec_lo, exec_lo, s13
	v_lshrrev_b32_e32 v36, 21, v36
	s_delay_alu instid0(VALU_DEP_2) | instskip(SKIP_2) | instid1(VALU_DEP_4)
	v_cmp_gt_i32_e32 vcc_lo, 32, v27
	v_lshrrev_b32_e32 v26, 24, v26
	v_min_i32_e32 v37, 31, v27
	v_cndmask_b32_e32 v36, 3, v36, vcc_lo
	s_delay_alu instid0(VALU_DEP_3) | instskip(NEXT) | instid1(VALU_DEP_3)
	v_and_b32_e32 v26, 0x80, v26
	v_lshlrev_b32_e32 v37, 2, v37
	s_delay_alu instid0(VALU_DEP_3) | instskip(SKIP_1) | instid1(VALU_DEP_2)
	v_and_b32_e32 v38, 3, v36
	v_or_b32_e32 v27, v27, v36
	v_or3_b32 v26, v37, v26, v38
	s_delay_alu instid0(VALU_DEP_2) | instskip(NEXT) | instid1(VALU_DEP_2)
	v_cmp_ne_u32_e32 vcc_lo, 0, v27
	v_cndmask_b32_e32 v182, 0, v26, vcc_lo
.LBB6_14267:                            ;   in Loop: Header=BB6_12675 Depth=3
	s_or_b32 exec_lo, exec_lo, s30
.LBB6_14268:                            ;   in Loop: Header=BB6_12675 Depth=3
	s_delay_alu instid0(SALU_CYCLE_1) | instskip(SKIP_3) | instid1(VALU_DEP_1)
	s_or_b32 exec_lo, exec_lo, s17
	v_and_b32_e32 v27, 0xff, v51
	s_mov_b32 s13, 0
	s_mov_b32 s30, exec_lo
                                        ; implicit-def: $sgpr17
	v_cmpx_lt_i16_e32 0x7f, v27
	s_xor_b32 s30, exec_lo, s30
	s_cbranch_execnz .LBB6_15138
; %bb.14269:                            ;   in Loop: Header=BB6_12675 Depth=3
	s_or_saveexec_b32 s30, s30
	v_mov_b32_e32 v26, s17
	s_xor_b32 exec_lo, exec_lo, s30
	s_cbranch_execnz .LBB6_15141
.LBB6_14270:                            ;   in Loop: Header=BB6_12675 Depth=3
	s_or_b32 exec_lo, exec_lo, s30
	s_and_saveexec_b32 s17, s13
	s_cbranch_execz .LBB6_14272
.LBB6_14271:                            ;   in Loop: Header=BB6_12675 Depth=3
	v_lshlrev_b32_e32 v26, 8, v51
	s_delay_alu instid0(VALU_DEP_1) | instskip(SKIP_1) | instid1(VALU_DEP_2)
	v_and_b32_e32 v36, 0xff00, v26
	v_bfe_u32 v26, v26, 10, 5
	v_bfe_u32 v37, v36, 8, 2
	s_delay_alu instid0(VALU_DEP_2) | instskip(NEXT) | instid1(VALU_DEP_2)
	v_cmp_eq_u32_e32 vcc_lo, 0, v26
	v_clz_i32_u32_e32 v38, v37
	s_delay_alu instid0(VALU_DEP_1) | instskip(NEXT) | instid1(VALU_DEP_1)
	v_min_u32_e32 v38, 32, v38
	v_subrev_nc_u32_e32 v39, 29, v38
	v_sub_nc_u32_e32 v38, 30, v38
	s_delay_alu instid0(VALU_DEP_1) | instskip(NEXT) | instid1(VALU_DEP_1)
	v_dual_cndmask_b32 v26, v26, v38 :: v_dual_lshlrev_b32 v27, v39, v27
	v_and_b32_e32 v27, 3, v27
	s_delay_alu instid0(VALU_DEP_2) | instskip(NEXT) | instid1(VALU_DEP_2)
	v_lshl_add_u32 v26, v26, 23, 0x37800000
	v_dual_cndmask_b32 v27, v37, v27 :: v_dual_lshlrev_b32 v36, 16, v36
	s_delay_alu instid0(VALU_DEP_1) | instskip(NEXT) | instid1(VALU_DEP_2)
	v_lshlrev_b32_e32 v27, 21, v27
	v_and_b32_e32 v36, 0x80000000, v36
	s_delay_alu instid0(VALU_DEP_1)
	v_or3_b32 v26, v36, v26, v27
.LBB6_14272:                            ;   in Loop: Header=BB6_12675 Depth=3
	s_or_b32 exec_lo, exec_lo, s17
	v_lshrrev_b32_e32 v27, 24, v8
	s_mov_b32 s13, 0
	s_mov_b32 s30, exec_lo
                                        ; implicit-def: $sgpr17
	s_delay_alu instid0(VALU_DEP_1)
	v_cmpx_lt_i16_e32 0x7f, v27
	s_xor_b32 s30, exec_lo, s30
	s_cbranch_execnz .LBB6_15142
; %bb.14273:                            ;   in Loop: Header=BB6_12675 Depth=3
	s_or_saveexec_b32 s30, s30
	v_mov_b32_e32 v36, s17
	s_xor_b32 exec_lo, exec_lo, s30
	s_cbranch_execnz .LBB6_15145
.LBB6_14274:                            ;   in Loop: Header=BB6_12675 Depth=3
	s_or_b32 exec_lo, exec_lo, s30
	s_and_saveexec_b32 s17, s13
	s_cbranch_execz .LBB6_14276
.LBB6_14275:                            ;   in Loop: Header=BB6_12675 Depth=3
	v_bfe_u32 v36, v8, 24, 2
	s_delay_alu instid0(VALU_DEP_1) | instskip(NEXT) | instid1(VALU_DEP_1)
	v_clz_i32_u32_e32 v37, v36
	v_min_u32_e32 v37, 32, v37
	s_delay_alu instid0(VALU_DEP_1) | instskip(SKIP_1) | instid1(VALU_DEP_2)
	v_subrev_nc_u32_e32 v38, 29, v37
	v_sub_nc_u32_e32 v37, 30, v37
	v_lshlrev_b32_e32 v27, v38, v27
	v_bfe_u32 v38, v8, 26, 5
	v_and_b32_e32 v8, 0x80000000, v8
	s_delay_alu instid0(VALU_DEP_3) | instskip(NEXT) | instid1(VALU_DEP_3)
	v_and_b32_e32 v27, 3, v27
	v_cmp_eq_u32_e32 vcc_lo, 0, v38
	v_cndmask_b32_e32 v37, v38, v37, vcc_lo
	s_delay_alu instid0(VALU_DEP_3) | instskip(NEXT) | instid1(VALU_DEP_2)
	v_cndmask_b32_e32 v27, v36, v27, vcc_lo
	v_lshl_add_u32 v36, v37, 23, 0x37800000
	s_delay_alu instid0(VALU_DEP_2) | instskip(NEXT) | instid1(VALU_DEP_1)
	v_lshlrev_b32_e32 v27, 21, v27
	v_or3_b32 v36, v8, v36, v27
.LBB6_14276:                            ;   in Loop: Header=BB6_12675 Depth=3
	s_or_b32 exec_lo, exec_lo, s17
	s_delay_alu instid0(VALU_DEP_1) | instskip(NEXT) | instid1(VALU_DEP_1)
	v_add_f32_e32 v26, v26, v36
	v_and_b32_e32 v8, 0x7f800000, v26
	s_delay_alu instid0(VALU_DEP_1)
	v_cmp_ne_u32_e32 vcc_lo, 0x7f800000, v8
	v_mov_b32_e32 v8, 0x80
	s_and_saveexec_b32 s17, vcc_lo
	s_cbranch_execz .LBB6_14284
; %bb.14277:                            ;   in Loop: Header=BB6_12675 Depth=3
	v_mov_b32_e32 v8, 0
	s_mov_b32 s30, exec_lo
	v_cmpx_ne_u32_e32 0, v26
	s_cbranch_execz .LBB6_14283
; %bb.14278:                            ;   in Loop: Header=BB6_12675 Depth=3
	v_bfe_u32 v8, v26, 23, 8
	s_delay_alu instid0(VALU_DEP_1) | instskip(SKIP_1) | instid1(VALU_DEP_2)
	v_sub_nc_u32_e32 v36, 0x70, v8
	v_cmp_gt_u32_e32 vcc_lo, 0x71, v8
	v_dual_cndmask_b32 v36, 0, v36 :: v_dual_and_b32 v27, 0x7fffff, v26
	s_delay_alu instid0(VALU_DEP_1) | instskip(SKIP_2) | instid1(VALU_DEP_4)
	v_or_b32_e32 v37, 0x800000, v27
	v_cmp_eq_u32_e32 vcc_lo, 0, v8
	v_add_nc_u32_e32 v8, 0xffffff91, v8
	v_cndmask_b32_e64 v36, v36, 0x6f, vcc_lo
	s_delay_alu instid0(VALU_DEP_4) | instskip(NEXT) | instid1(VALU_DEP_3)
	v_cndmask_b32_e32 v27, v37, v27, vcc_lo
	v_cndmask_b32_e64 v8, v8, 0xffffff92, vcc_lo
	s_delay_alu instid0(VALU_DEP_3) | instskip(NEXT) | instid1(VALU_DEP_3)
	v_lshl_add_u32 v37, 0x200000, v36, -1
	v_lshrrev_b32_e32 v38, v36, v27
	v_lshlrev_b32_e64 v48, v36, 0x100000
	s_delay_alu instid0(VALU_DEP_4) | instskip(NEXT) | instid1(VALU_DEP_4)
	v_add_nc_u32_e32 v36, v36, v8
	v_and_b32_e32 v27, v37, v27
	s_delay_alu instid0(VALU_DEP_4) | instskip(NEXT) | instid1(VALU_DEP_2)
	v_bfe_u32 v39, v38, 21, 1
	v_cmp_eq_u32_e64 s13, v27, v48
	s_delay_alu instid0(VALU_DEP_2) | instskip(NEXT) | instid1(VALU_DEP_1)
	v_add_nc_u32_e32 v37, -1, v39
	v_cndmask_b32_e64 v27, 0, v37, s13
	v_lshrrev_b32_e32 v37, 23, v38
	s_mov_b32 s13, exec_lo
	s_delay_alu instid0(VALU_DEP_2) | instskip(NEXT) | instid1(VALU_DEP_2)
	v_add_nc_u32_e32 v27, v27, v38
	v_xor_b32_e32 v37, 1, v37
	s_delay_alu instid0(VALU_DEP_2) | instskip(NEXT) | instid1(VALU_DEP_1)
	v_and_b32_e32 v8, 0x1fffff, v27
	v_add_nc_u32_e32 v27, v8, v38
                                        ; implicit-def: $vgpr8
	s_delay_alu instid0(VALU_DEP_3)
	v_cmpx_ne_u32_e64 v36, v37
	s_xor_b32 s13, exec_lo, s13
; %bb.14279:                            ;   in Loop: Header=BB6_12675 Depth=3
	s_delay_alu instid0(VALU_DEP_2) | instskip(SKIP_2) | instid1(VALU_DEP_2)
	v_cmp_lt_u32_e32 vcc_lo, 0xffffff, v27
	v_sub_nc_u32_e32 v8, v36, v37
	v_cndmask_b32_e64 v36, 0, 1, vcc_lo
	v_add_co_ci_u32_e32 v8, vcc_lo, 0, v8, vcc_lo
	s_delay_alu instid0(VALU_DEP_2)
	v_lshrrev_b32_e32 v27, v36, v27
; %bb.14280:                            ;   in Loop: Header=BB6_12675 Depth=3
	s_and_not1_saveexec_b32 s13, s13
; %bb.14281:                            ;   in Loop: Header=BB6_12675 Depth=3
	s_delay_alu instid0(VALU_DEP_1)
	v_bfe_u32 v8, v27, 23, 1
; %bb.14282:                            ;   in Loop: Header=BB6_12675 Depth=3
	s_or_b32 exec_lo, exec_lo, s13
	v_lshrrev_b32_e32 v27, 21, v27
	s_delay_alu instid0(VALU_DEP_2) | instskip(SKIP_2) | instid1(VALU_DEP_2)
	v_cmp_gt_i32_e32 vcc_lo, 32, v8
	v_lshrrev_b32_e32 v26, 24, v26
	v_min_i32_e32 v36, 31, v8
	v_dual_cndmask_b32 v27, 3, v27 :: v_dual_and_b32 v26, 0x80, v26
	s_delay_alu instid0(VALU_DEP_2) | instskip(NEXT) | instid1(VALU_DEP_2)
	v_lshlrev_b32_e32 v36, 2, v36
	v_or_b32_e32 v8, v8, v27
	s_delay_alu instid0(VALU_DEP_1) | instskip(SKIP_1) | instid1(VALU_DEP_1)
	v_cmp_ne_u32_e32 vcc_lo, 0, v8
	v_and_b32_e32 v37, 3, v27
	v_or3_b32 v26, v36, v26, v37
	s_delay_alu instid0(VALU_DEP_1)
	v_cndmask_b32_e32 v8, 0, v26, vcc_lo
.LBB6_14283:                            ;   in Loop: Header=BB6_12675 Depth=3
	s_or_b32 exec_lo, exec_lo, s30
.LBB6_14284:                            ;   in Loop: Header=BB6_12675 Depth=3
	s_delay_alu instid0(SALU_CYCLE_1) | instskip(SKIP_3) | instid1(VALU_DEP_1)
	s_or_b32 exec_lo, exec_lo, s17
	v_or_b32_e32 v26, v41, v179
	s_mov_b32 s13, 0
	s_mov_b32 s30, exec_lo
                                        ; implicit-def: $sgpr17
	v_and_b32_e32 v36, 0xff, v26
	s_delay_alu instid0(VALU_DEP_1)
	v_cmpx_lt_i16_e32 0x7f, v36
	s_xor_b32 s30, exec_lo, s30
	s_cbranch_execnz .LBB6_15146
; %bb.14285:                            ;   in Loop: Header=BB6_12675 Depth=3
	s_or_saveexec_b32 s30, s30
	v_mov_b32_e32 v27, s17
	s_xor_b32 exec_lo, exec_lo, s30
	s_cbranch_execnz .LBB6_15149
.LBB6_14286:                            ;   in Loop: Header=BB6_12675 Depth=3
	s_or_b32 exec_lo, exec_lo, s30
	s_and_saveexec_b32 s17, s13
	s_cbranch_execz .LBB6_14288
.LBB6_14287:                            ;   in Loop: Header=BB6_12675 Depth=3
	v_bfe_u32 v38, v26, 2, 5
	v_lshlrev_b32_e32 v39, 24, v26
	s_delay_alu instid0(VALU_DEP_2) | instskip(SKIP_1) | instid1(VALU_DEP_1)
	v_cmp_eq_u32_e32 vcc_lo, 0, v38
	v_and_b32_e32 v27, 3, v26
	v_clz_i32_u32_e32 v36, v27
	s_delay_alu instid0(VALU_DEP_1) | instskip(NEXT) | instid1(VALU_DEP_1)
	v_min_u32_e32 v36, 32, v36
	v_subrev_nc_u32_e32 v37, 29, v36
	v_sub_nc_u32_e32 v36, 30, v36
	s_delay_alu instid0(VALU_DEP_1) | instskip(NEXT) | instid1(VALU_DEP_1)
	v_dual_cndmask_b32 v36, v38, v36 :: v_dual_lshlrev_b32 v37, v37, v26
	v_and_b32_e32 v37, 3, v37
	s_delay_alu instid0(VALU_DEP_2) | instskip(NEXT) | instid1(VALU_DEP_2)
	v_lshl_add_u32 v36, v36, 23, 0x37800000
	v_cndmask_b32_e32 v27, v27, v37, vcc_lo
	v_and_b32_e32 v37, 0x80000000, v39
	s_delay_alu instid0(VALU_DEP_2) | instskip(NEXT) | instid1(VALU_DEP_1)
	v_lshlrev_b32_e32 v27, 21, v27
	v_or3_b32 v27, v37, v36, v27
.LBB6_14288:                            ;   in Loop: Header=BB6_12675 Depth=3
	s_or_b32 exec_lo, exec_lo, s17
	v_and_b32_e32 v37, 0xff, v9
	s_mov_b32 s13, 0
	s_mov_b32 s30, exec_lo
                                        ; implicit-def: $sgpr17
	s_delay_alu instid0(VALU_DEP_1)
	v_cmpx_lt_i16_e32 0x7f, v37
	s_xor_b32 s30, exec_lo, s30
	s_cbranch_execnz .LBB6_15150
; %bb.14289:                            ;   in Loop: Header=BB6_12675 Depth=3
	s_or_saveexec_b32 s30, s30
	v_mov_b32_e32 v36, s17
	s_xor_b32 exec_lo, exec_lo, s30
	s_cbranch_execnz .LBB6_15153
.LBB6_14290:                            ;   in Loop: Header=BB6_12675 Depth=3
	s_or_b32 exec_lo, exec_lo, s30
	s_and_saveexec_b32 s17, s13
	s_cbranch_execz .LBB6_14292
.LBB6_14291:                            ;   in Loop: Header=BB6_12675 Depth=3
	v_and_b32_e32 v36, 3, v9
	v_bfe_u32 v39, v9, 2, 5
	v_lshlrev_b32_e32 v48, 24, v9
	s_delay_alu instid0(VALU_DEP_3) | instskip(NEXT) | instid1(VALU_DEP_3)
	v_clz_i32_u32_e32 v37, v36
	v_cmp_eq_u32_e32 vcc_lo, 0, v39
	s_delay_alu instid0(VALU_DEP_2) | instskip(NEXT) | instid1(VALU_DEP_1)
	v_min_u32_e32 v37, 32, v37
	v_subrev_nc_u32_e32 v38, 29, v37
	v_sub_nc_u32_e32 v37, 30, v37
	s_delay_alu instid0(VALU_DEP_2) | instskip(NEXT) | instid1(VALU_DEP_1)
	v_lshlrev_b32_e32 v38, v38, v9
	v_dual_cndmask_b32 v37, v39, v37 :: v_dual_and_b32 v38, 3, v38
	s_delay_alu instid0(VALU_DEP_1) | instskip(NEXT) | instid1(VALU_DEP_2)
	v_lshl_add_u32 v37, v37, 23, 0x37800000
	v_cndmask_b32_e32 v36, v36, v38, vcc_lo
	v_and_b32_e32 v38, 0x80000000, v48
	s_delay_alu instid0(VALU_DEP_2) | instskip(NEXT) | instid1(VALU_DEP_1)
	v_lshlrev_b32_e32 v36, 21, v36
	v_or3_b32 v36, v38, v37, v36
.LBB6_14292:                            ;   in Loop: Header=BB6_12675 Depth=3
	s_or_b32 exec_lo, exec_lo, s17
	s_delay_alu instid0(VALU_DEP_1) | instskip(SKIP_2) | instid1(VALU_DEP_2)
	v_add_f32_e32 v27, v27, v36
	v_mov_b32_e32 v129, 0x80
	s_mov_b32 s17, exec_lo
	v_and_b32_e32 v36, 0x7f800000, v27
	s_delay_alu instid0(VALU_DEP_1)
	v_cmpx_ne_u32_e32 0x7f800000, v36
	s_cbranch_execz .LBB6_14300
; %bb.14293:                            ;   in Loop: Header=BB6_12675 Depth=3
	v_mov_b32_e32 v129, 0
	s_mov_b32 s30, exec_lo
	v_cmpx_ne_u32_e32 0, v27
	s_cbranch_execz .LBB6_14299
; %bb.14294:                            ;   in Loop: Header=BB6_12675 Depth=3
	v_bfe_u32 v36, v27, 23, 8
	s_delay_alu instid0(VALU_DEP_1) | instskip(SKIP_1) | instid1(VALU_DEP_2)
	v_sub_nc_u32_e32 v38, 0x70, v36
	v_cmp_gt_u32_e32 vcc_lo, 0x71, v36
	v_dual_cndmask_b32 v38, 0, v38 :: v_dual_and_b32 v37, 0x7fffff, v27
	s_delay_alu instid0(VALU_DEP_1) | instskip(SKIP_2) | instid1(VALU_DEP_4)
	v_or_b32_e32 v39, 0x800000, v37
	v_cmp_eq_u32_e32 vcc_lo, 0, v36
	v_add_nc_u32_e32 v36, 0xffffff91, v36
	v_cndmask_b32_e64 v38, v38, 0x6f, vcc_lo
	s_delay_alu instid0(VALU_DEP_4) | instskip(NEXT) | instid1(VALU_DEP_3)
	v_cndmask_b32_e32 v37, v39, v37, vcc_lo
	v_cndmask_b32_e64 v36, v36, 0xffffff92, vcc_lo
	s_delay_alu instid0(VALU_DEP_3) | instskip(NEXT) | instid1(VALU_DEP_3)
	v_lshl_add_u32 v39, 0x200000, v38, -1
	v_lshrrev_b32_e32 v48, v38, v37
	v_lshlrev_b32_e64 v50, v38, 0x100000
	s_delay_alu instid0(VALU_DEP_4) | instskip(NEXT) | instid1(VALU_DEP_4)
	v_add_nc_u32_e32 v38, v38, v36
	v_and_b32_e32 v37, v39, v37
	s_delay_alu instid0(VALU_DEP_4) | instskip(NEXT) | instid1(VALU_DEP_2)
	v_bfe_u32 v49, v48, 21, 1
	v_cmp_eq_u32_e64 s13, v37, v50
	s_delay_alu instid0(VALU_DEP_2) | instskip(NEXT) | instid1(VALU_DEP_1)
	v_add_nc_u32_e32 v39, -1, v49
	v_cndmask_b32_e64 v37, 0, v39, s13
	v_lshrrev_b32_e32 v39, 23, v48
	s_mov_b32 s13, exec_lo
	s_delay_alu instid0(VALU_DEP_2) | instskip(NEXT) | instid1(VALU_DEP_2)
	v_add_nc_u32_e32 v37, v37, v48
	v_xor_b32_e32 v39, 1, v39
	s_delay_alu instid0(VALU_DEP_2) | instskip(NEXT) | instid1(VALU_DEP_1)
	v_and_b32_e32 v36, 0x1fffff, v37
	v_add_nc_u32_e32 v37, v36, v48
                                        ; implicit-def: $vgpr36
	s_delay_alu instid0(VALU_DEP_3)
	v_cmpx_ne_u32_e64 v38, v39
	s_xor_b32 s13, exec_lo, s13
; %bb.14295:                            ;   in Loop: Header=BB6_12675 Depth=3
	s_delay_alu instid0(VALU_DEP_2) | instskip(SKIP_2) | instid1(VALU_DEP_2)
	v_cmp_lt_u32_e32 vcc_lo, 0xffffff, v37
	v_sub_nc_u32_e32 v36, v38, v39
	v_cndmask_b32_e64 v38, 0, 1, vcc_lo
	v_add_co_ci_u32_e32 v36, vcc_lo, 0, v36, vcc_lo
	s_delay_alu instid0(VALU_DEP_2)
	v_lshrrev_b32_e32 v37, v38, v37
; %bb.14296:                            ;   in Loop: Header=BB6_12675 Depth=3
	s_and_not1_saveexec_b32 s13, s13
; %bb.14297:                            ;   in Loop: Header=BB6_12675 Depth=3
	s_delay_alu instid0(VALU_DEP_1)
	v_bfe_u32 v36, v37, 23, 1
; %bb.14298:                            ;   in Loop: Header=BB6_12675 Depth=3
	s_or_b32 exec_lo, exec_lo, s13
	v_lshrrev_b32_e32 v37, 21, v37
	s_delay_alu instid0(VALU_DEP_2) | instskip(SKIP_2) | instid1(VALU_DEP_4)
	v_cmp_gt_i32_e32 vcc_lo, 32, v36
	v_lshrrev_b32_e32 v27, 24, v27
	v_min_i32_e32 v38, 31, v36
	v_cndmask_b32_e32 v37, 3, v37, vcc_lo
	s_delay_alu instid0(VALU_DEP_3) | instskip(NEXT) | instid1(VALU_DEP_3)
	v_and_b32_e32 v27, 0x80, v27
	v_lshlrev_b32_e32 v38, 2, v38
	s_delay_alu instid0(VALU_DEP_3) | instskip(SKIP_1) | instid1(VALU_DEP_2)
	v_and_b32_e32 v39, 3, v37
	v_or_b32_e32 v36, v36, v37
	v_or3_b32 v27, v38, v27, v39
	s_delay_alu instid0(VALU_DEP_2) | instskip(NEXT) | instid1(VALU_DEP_2)
	v_cmp_ne_u32_e32 vcc_lo, 0, v36
	v_cndmask_b32_e32 v129, 0, v27, vcc_lo
.LBB6_14299:                            ;   in Loop: Header=BB6_12675 Depth=3
	s_or_b32 exec_lo, exec_lo, s30
.LBB6_14300:                            ;   in Loop: Header=BB6_12675 Depth=3
	s_delay_alu instid0(SALU_CYCLE_1) | instskip(SKIP_3) | instid1(VALU_DEP_1)
	s_or_b32 exec_lo, exec_lo, s17
	v_lshrrev_b16 v36, 8, v26
	s_mov_b32 s13, 0
	s_mov_b32 s30, exec_lo
                                        ; implicit-def: $sgpr17
	v_cmpx_lt_i16_e32 0x7f, v36
	s_xor_b32 s30, exec_lo, s30
	s_cbranch_execnz .LBB6_15154
; %bb.14301:                            ;   in Loop: Header=BB6_12675 Depth=3
	s_or_saveexec_b32 s30, s30
	v_mov_b32_e32 v27, s17
	s_xor_b32 exec_lo, exec_lo, s30
	s_cbranch_execnz .LBB6_15157
.LBB6_14302:                            ;   in Loop: Header=BB6_12675 Depth=3
	s_or_b32 exec_lo, exec_lo, s30
	s_and_saveexec_b32 s17, s13
	s_cbranch_execz .LBB6_14304
.LBB6_14303:                            ;   in Loop: Header=BB6_12675 Depth=3
	v_and_b32_e32 v27, 0xffff, v36
	s_delay_alu instid0(VALU_DEP_1) | instskip(NEXT) | instid1(VALU_DEP_1)
	v_and_b32_e32 v37, 3, v27
	v_clz_i32_u32_e32 v38, v37
	s_delay_alu instid0(VALU_DEP_1) | instskip(NEXT) | instid1(VALU_DEP_1)
	v_min_u32_e32 v38, 32, v38
	v_subrev_nc_u32_e32 v39, 29, v38
	v_sub_nc_u32_e32 v38, 30, v38
	s_delay_alu instid0(VALU_DEP_2) | instskip(SKIP_1) | instid1(VALU_DEP_2)
	v_lshlrev_b32_e32 v39, v39, v27
	v_bfe_u32 v27, v27, 2, 5
	v_and_b32_e32 v39, 3, v39
	s_delay_alu instid0(VALU_DEP_2) | instskip(SKIP_1) | instid1(VALU_DEP_1)
	v_cmp_eq_u32_e32 vcc_lo, 0, v27
	v_dual_cndmask_b32 v27, v27, v38 :: v_dual_lshlrev_b32 v36, 24, v36
	v_dual_cndmask_b32 v37, v37, v39 :: v_dual_and_b32 v36, 0x80000000, v36
	s_delay_alu instid0(VALU_DEP_2) | instskip(NEXT) | instid1(VALU_DEP_2)
	v_lshl_add_u32 v27, v27, 23, 0x37800000
	v_lshlrev_b32_e32 v37, 21, v37
	s_delay_alu instid0(VALU_DEP_1)
	v_or3_b32 v27, v36, v27, v37
.LBB6_14304:                            ;   in Loop: Header=BB6_12675 Depth=3
	s_or_b32 exec_lo, exec_lo, s17
	v_lshrrev_b16 v36, 8, v9
	s_mov_b32 s13, 0
	s_mov_b32 s30, exec_lo
                                        ; implicit-def: $sgpr17
	s_delay_alu instid0(VALU_DEP_1)
	v_cmpx_lt_i16_e32 0x7f, v36
	s_xor_b32 s30, exec_lo, s30
	s_cbranch_execnz .LBB6_15158
; %bb.14305:                            ;   in Loop: Header=BB6_12675 Depth=3
	s_or_saveexec_b32 s30, s30
	v_mov_b32_e32 v37, s17
	s_xor_b32 exec_lo, exec_lo, s30
	s_cbranch_execnz .LBB6_15161
.LBB6_14306:                            ;   in Loop: Header=BB6_12675 Depth=3
	s_or_b32 exec_lo, exec_lo, s30
	s_and_saveexec_b32 s17, s13
	s_cbranch_execz .LBB6_14308
.LBB6_14307:                            ;   in Loop: Header=BB6_12675 Depth=3
	v_and_b32_e32 v37, 0xffff, v36
	v_lshlrev_b32_e32 v36, 24, v36
	s_delay_alu instid0(VALU_DEP_2) | instskip(NEXT) | instid1(VALU_DEP_2)
	v_and_b32_e32 v38, 3, v37
	v_and_b32_e32 v36, 0x80000000, v36
	s_delay_alu instid0(VALU_DEP_2) | instskip(NEXT) | instid1(VALU_DEP_1)
	v_clz_i32_u32_e32 v39, v38
	v_min_u32_e32 v39, 32, v39
	s_delay_alu instid0(VALU_DEP_1) | instskip(SKIP_1) | instid1(VALU_DEP_2)
	v_subrev_nc_u32_e32 v48, 29, v39
	v_sub_nc_u32_e32 v39, 30, v39
	v_lshlrev_b32_e32 v48, v48, v37
	v_bfe_u32 v37, v37, 2, 5
	s_delay_alu instid0(VALU_DEP_2) | instskip(NEXT) | instid1(VALU_DEP_2)
	v_and_b32_e32 v48, 3, v48
	v_cmp_eq_u32_e32 vcc_lo, 0, v37
	s_delay_alu instid0(VALU_DEP_2) | instskip(NEXT) | instid1(VALU_DEP_1)
	v_dual_cndmask_b32 v37, v37, v39 :: v_dual_cndmask_b32 v38, v38, v48
	v_lshl_add_u32 v37, v37, 23, 0x37800000
	s_delay_alu instid0(VALU_DEP_2) | instskip(NEXT) | instid1(VALU_DEP_1)
	v_lshlrev_b32_e32 v38, 21, v38
	v_or3_b32 v37, v36, v37, v38
.LBB6_14308:                            ;   in Loop: Header=BB6_12675 Depth=3
	s_or_b32 exec_lo, exec_lo, s17
	s_delay_alu instid0(VALU_DEP_1) | instskip(SKIP_2) | instid1(VALU_DEP_2)
	v_add_f32_e32 v27, v27, v37
	v_mov_b32_e32 v115, 0x8000
	s_mov_b32 s17, exec_lo
	v_and_b32_e32 v36, 0x7f800000, v27
	s_delay_alu instid0(VALU_DEP_1)
	v_cmpx_ne_u32_e32 0x7f800000, v36
	s_cbranch_execz .LBB6_14316
; %bb.14309:                            ;   in Loop: Header=BB6_12675 Depth=3
	v_mov_b32_e32 v115, 0
	s_mov_b32 s30, exec_lo
	v_cmpx_ne_u32_e32 0, v27
	s_cbranch_execz .LBB6_14315
; %bb.14310:                            ;   in Loop: Header=BB6_12675 Depth=3
	v_bfe_u32 v36, v27, 23, 8
	s_delay_alu instid0(VALU_DEP_1) | instskip(SKIP_1) | instid1(VALU_DEP_2)
	v_sub_nc_u32_e32 v38, 0x70, v36
	v_cmp_gt_u32_e32 vcc_lo, 0x71, v36
	v_dual_cndmask_b32 v38, 0, v38 :: v_dual_and_b32 v37, 0x7fffff, v27
	s_delay_alu instid0(VALU_DEP_1) | instskip(SKIP_2) | instid1(VALU_DEP_4)
	v_or_b32_e32 v39, 0x800000, v37
	v_cmp_eq_u32_e32 vcc_lo, 0, v36
	v_add_nc_u32_e32 v36, 0xffffff91, v36
	v_cndmask_b32_e64 v38, v38, 0x6f, vcc_lo
	s_delay_alu instid0(VALU_DEP_4) | instskip(NEXT) | instid1(VALU_DEP_3)
	v_cndmask_b32_e32 v37, v39, v37, vcc_lo
	v_cndmask_b32_e64 v36, v36, 0xffffff92, vcc_lo
	s_delay_alu instid0(VALU_DEP_3) | instskip(NEXT) | instid1(VALU_DEP_3)
	v_lshl_add_u32 v39, 0x200000, v38, -1
	v_lshrrev_b32_e32 v48, v38, v37
	v_lshlrev_b32_e64 v50, v38, 0x100000
	s_delay_alu instid0(VALU_DEP_4) | instskip(NEXT) | instid1(VALU_DEP_4)
	v_add_nc_u32_e32 v38, v38, v36
	v_and_b32_e32 v37, v39, v37
	s_delay_alu instid0(VALU_DEP_4) | instskip(NEXT) | instid1(VALU_DEP_2)
	v_bfe_u32 v49, v48, 21, 1
	v_cmp_eq_u32_e64 s13, v37, v50
	s_delay_alu instid0(VALU_DEP_2) | instskip(NEXT) | instid1(VALU_DEP_1)
	v_add_nc_u32_e32 v39, -1, v49
	v_cndmask_b32_e64 v37, 0, v39, s13
	v_lshrrev_b32_e32 v39, 23, v48
	s_mov_b32 s13, exec_lo
	s_delay_alu instid0(VALU_DEP_2) | instskip(NEXT) | instid1(VALU_DEP_2)
	v_add_nc_u32_e32 v37, v37, v48
	v_xor_b32_e32 v39, 1, v39
	s_delay_alu instid0(VALU_DEP_2) | instskip(NEXT) | instid1(VALU_DEP_1)
	v_and_b32_e32 v36, 0x1fffff, v37
	v_add_nc_u32_e32 v37, v36, v48
                                        ; implicit-def: $vgpr36
	s_delay_alu instid0(VALU_DEP_3)
	v_cmpx_ne_u32_e64 v38, v39
	s_xor_b32 s13, exec_lo, s13
; %bb.14311:                            ;   in Loop: Header=BB6_12675 Depth=3
	s_delay_alu instid0(VALU_DEP_2) | instskip(SKIP_2) | instid1(VALU_DEP_2)
	v_cmp_lt_u32_e32 vcc_lo, 0xffffff, v37
	v_sub_nc_u32_e32 v36, v38, v39
	v_cndmask_b32_e64 v38, 0, 1, vcc_lo
	v_add_co_ci_u32_e32 v36, vcc_lo, 0, v36, vcc_lo
	s_delay_alu instid0(VALU_DEP_2)
	v_lshrrev_b32_e32 v37, v38, v37
; %bb.14312:                            ;   in Loop: Header=BB6_12675 Depth=3
	s_and_not1_saveexec_b32 s13, s13
; %bb.14313:                            ;   in Loop: Header=BB6_12675 Depth=3
	s_delay_alu instid0(VALU_DEP_1)
	v_bfe_u32 v36, v37, 23, 1
; %bb.14314:                            ;   in Loop: Header=BB6_12675 Depth=3
	s_or_b32 exec_lo, exec_lo, s13
	v_lshrrev_b32_e32 v37, 21, v37
	s_delay_alu instid0(VALU_DEP_2) | instskip(SKIP_2) | instid1(VALU_DEP_2)
	v_cmp_gt_i32_e32 vcc_lo, 32, v36
	v_min_i32_e32 v38, 31, v36
	v_lshrrev_b32_e32 v27, 24, v27
	v_dual_cndmask_b32 v37, 3, v37 :: v_dual_lshlrev_b32 v38, 2, v38
	s_delay_alu instid0(VALU_DEP_2) | instskip(NEXT) | instid1(VALU_DEP_2)
	v_and_b32_e32 v27, 0x80, v27
	v_or_b32_e32 v36, v36, v37
	v_and_b32_e32 v39, 3, v37
	s_delay_alu instid0(VALU_DEP_2) | instskip(SKIP_1) | instid1(VALU_DEP_1)
	v_cmp_ne_u32_e32 vcc_lo, 0, v36
	v_and_b32_e32 v38, 0xfc, v38
	v_or3_b32 v27, v27, v38, v39
	s_delay_alu instid0(VALU_DEP_1) | instskip(NEXT) | instid1(VALU_DEP_1)
	v_lshlrev_b32_e32 v27, 8, v27
	v_cndmask_b32_e32 v115, 0, v27, vcc_lo
.LBB6_14315:                            ;   in Loop: Header=BB6_12675 Depth=3
	s_or_b32 exec_lo, exec_lo, s30
.LBB6_14316:                            ;   in Loop: Header=BB6_12675 Depth=3
	s_delay_alu instid0(SALU_CYCLE_1) | instskip(SKIP_3) | instid1(VALU_DEP_1)
	s_or_b32 exec_lo, exec_lo, s17
	v_or_b32_e32 v36, v52, v178
	s_mov_b32 s13, 0
	s_mov_b32 s30, exec_lo
                                        ; implicit-def: $sgpr17
	v_and_b32_e32 v37, 0xff, v36
	s_delay_alu instid0(VALU_DEP_1)
	v_cmpx_lt_i16_e32 0x7f, v37
	s_xor_b32 s30, exec_lo, s30
	s_cbranch_execnz .LBB6_15162
; %bb.14317:                            ;   in Loop: Header=BB6_12675 Depth=3
	s_or_saveexec_b32 s30, s30
	v_mov_b32_e32 v27, s17
	s_xor_b32 exec_lo, exec_lo, s30
	s_cbranch_execnz .LBB6_15165
.LBB6_14318:                            ;   in Loop: Header=BB6_12675 Depth=3
	s_or_b32 exec_lo, exec_lo, s30
	v_lshl_or_b32 v26, v36, 16, v26
	s_and_saveexec_b32 s17, s13
	s_cbranch_execz .LBB6_14320
.LBB6_14319:                            ;   in Loop: Header=BB6_12675 Depth=3
	s_delay_alu instid0(VALU_DEP_1) | instskip(SKIP_2) | instid1(VALU_DEP_3)
	v_bfe_u32 v27, v26, 16, 2
	v_lshrrev_b32_e32 v37, 16, v26
	v_lshlrev_b32_e32 v39, 8, v26
	v_clz_i32_u32_e32 v36, v27
	s_delay_alu instid0(VALU_DEP_1) | instskip(NEXT) | instid1(VALU_DEP_1)
	v_min_u32_e32 v36, 32, v36
	v_subrev_nc_u32_e32 v38, 29, v36
	v_sub_nc_u32_e32 v36, 30, v36
	s_delay_alu instid0(VALU_DEP_2) | instskip(SKIP_1) | instid1(VALU_DEP_1)
	v_lshlrev_b32_e32 v37, v38, v37
	v_bfe_u32 v38, v26, 18, 5
	v_cmp_eq_u32_e32 vcc_lo, 0, v38
	s_delay_alu instid0(VALU_DEP_3) | instskip(NEXT) | instid1(VALU_DEP_1)
	v_dual_cndmask_b32 v36, v38, v36 :: v_dual_and_b32 v37, 3, v37
	v_cndmask_b32_e32 v27, v27, v37, vcc_lo
	v_and_b32_e32 v37, 0x80000000, v39
	s_delay_alu instid0(VALU_DEP_3) | instskip(NEXT) | instid1(VALU_DEP_3)
	v_lshl_add_u32 v36, v36, 23, 0x37800000
	v_lshlrev_b32_e32 v27, 21, v27
	s_delay_alu instid0(VALU_DEP_1)
	v_or3_b32 v27, v37, v36, v27
.LBB6_14320:                            ;   in Loop: Header=BB6_12675 Depth=3
	s_or_b32 exec_lo, exec_lo, s17
	v_lshrrev_b32_e32 v36, 16, v9
	s_mov_b32 s13, 0
	s_mov_b32 s30, exec_lo
                                        ; implicit-def: $sgpr17
	s_delay_alu instid0(VALU_DEP_1) | instskip(NEXT) | instid1(VALU_DEP_1)
	v_and_b32_e32 v38, 0xff, v36
	v_cmpx_lt_i16_e32 0x7f, v38
	s_xor_b32 s30, exec_lo, s30
	s_cbranch_execnz .LBB6_15166
; %bb.14321:                            ;   in Loop: Header=BB6_12675 Depth=3
	s_or_saveexec_b32 s30, s30
	v_mov_b32_e32 v37, s17
	s_xor_b32 exec_lo, exec_lo, s30
	s_cbranch_execnz .LBB6_15169
.LBB6_14322:                            ;   in Loop: Header=BB6_12675 Depth=3
	s_or_b32 exec_lo, exec_lo, s30
	s_and_saveexec_b32 s17, s13
	s_cbranch_execz .LBB6_14324
.LBB6_14323:                            ;   in Loop: Header=BB6_12675 Depth=3
	v_bfe_u32 v37, v9, 16, 2
	v_lshlrev_b32_e32 v48, 8, v9
	s_delay_alu instid0(VALU_DEP_2) | instskip(NEXT) | instid1(VALU_DEP_1)
	v_clz_i32_u32_e32 v38, v37
	v_min_u32_e32 v38, 32, v38
	s_delay_alu instid0(VALU_DEP_1) | instskip(SKIP_1) | instid1(VALU_DEP_2)
	v_subrev_nc_u32_e32 v39, 29, v38
	v_sub_nc_u32_e32 v38, 30, v38
	v_lshlrev_b32_e32 v36, v39, v36
	v_bfe_u32 v39, v9, 18, 5
	s_delay_alu instid0(VALU_DEP_2) | instskip(NEXT) | instid1(VALU_DEP_2)
	v_and_b32_e32 v36, 3, v36
	v_cmp_eq_u32_e32 vcc_lo, 0, v39
	v_cndmask_b32_e32 v38, v39, v38, vcc_lo
	s_delay_alu instid0(VALU_DEP_3) | instskip(SKIP_1) | instid1(VALU_DEP_3)
	v_cndmask_b32_e32 v36, v37, v36, vcc_lo
	v_and_b32_e32 v37, 0x80000000, v48
	v_lshl_add_u32 v38, v38, 23, 0x37800000
	s_delay_alu instid0(VALU_DEP_3) | instskip(NEXT) | instid1(VALU_DEP_1)
	v_lshlrev_b32_e32 v36, 21, v36
	v_or3_b32 v37, v37, v38, v36
.LBB6_14324:                            ;   in Loop: Header=BB6_12675 Depth=3
	s_or_b32 exec_lo, exec_lo, s17
	s_delay_alu instid0(VALU_DEP_1) | instskip(SKIP_1) | instid1(VALU_DEP_1)
	v_dual_add_f32 v27, v27, v37 :: v_dual_mov_b32 v132, 0x80
	s_mov_b32 s17, exec_lo
	v_and_b32_e32 v36, 0x7f800000, v27
	s_delay_alu instid0(VALU_DEP_1)
	v_cmpx_ne_u32_e32 0x7f800000, v36
	s_cbranch_execz .LBB6_14332
; %bb.14325:                            ;   in Loop: Header=BB6_12675 Depth=3
	v_mov_b32_e32 v132, 0
	s_mov_b32 s30, exec_lo
	v_cmpx_ne_u32_e32 0, v27
	s_cbranch_execz .LBB6_14331
; %bb.14326:                            ;   in Loop: Header=BB6_12675 Depth=3
	v_bfe_u32 v36, v27, 23, 8
	s_delay_alu instid0(VALU_DEP_1) | instskip(SKIP_1) | instid1(VALU_DEP_2)
	v_sub_nc_u32_e32 v38, 0x70, v36
	v_cmp_gt_u32_e32 vcc_lo, 0x71, v36
	v_dual_cndmask_b32 v38, 0, v38 :: v_dual_and_b32 v37, 0x7fffff, v27
	s_delay_alu instid0(VALU_DEP_1) | instskip(SKIP_2) | instid1(VALU_DEP_4)
	v_or_b32_e32 v39, 0x800000, v37
	v_cmp_eq_u32_e32 vcc_lo, 0, v36
	v_add_nc_u32_e32 v36, 0xffffff91, v36
	v_cndmask_b32_e64 v38, v38, 0x6f, vcc_lo
	s_delay_alu instid0(VALU_DEP_4) | instskip(NEXT) | instid1(VALU_DEP_3)
	v_cndmask_b32_e32 v37, v39, v37, vcc_lo
	v_cndmask_b32_e64 v36, v36, 0xffffff92, vcc_lo
	s_delay_alu instid0(VALU_DEP_3) | instskip(NEXT) | instid1(VALU_DEP_3)
	v_lshl_add_u32 v39, 0x200000, v38, -1
	v_lshrrev_b32_e32 v48, v38, v37
	v_lshlrev_b32_e64 v50, v38, 0x100000
	s_delay_alu instid0(VALU_DEP_4) | instskip(NEXT) | instid1(VALU_DEP_4)
	v_add_nc_u32_e32 v38, v38, v36
	v_and_b32_e32 v37, v39, v37
	s_delay_alu instid0(VALU_DEP_4) | instskip(NEXT) | instid1(VALU_DEP_2)
	v_bfe_u32 v49, v48, 21, 1
	v_cmp_eq_u32_e64 s13, v37, v50
	s_delay_alu instid0(VALU_DEP_2) | instskip(NEXT) | instid1(VALU_DEP_1)
	v_add_nc_u32_e32 v39, -1, v49
	v_cndmask_b32_e64 v37, 0, v39, s13
	v_lshrrev_b32_e32 v39, 23, v48
	s_mov_b32 s13, exec_lo
	s_delay_alu instid0(VALU_DEP_2) | instskip(NEXT) | instid1(VALU_DEP_2)
	v_add_nc_u32_e32 v37, v37, v48
	v_xor_b32_e32 v39, 1, v39
	s_delay_alu instid0(VALU_DEP_2) | instskip(NEXT) | instid1(VALU_DEP_1)
	v_and_b32_e32 v36, 0x1fffff, v37
	v_add_nc_u32_e32 v37, v36, v48
                                        ; implicit-def: $vgpr36
	s_delay_alu instid0(VALU_DEP_3)
	v_cmpx_ne_u32_e64 v38, v39
	s_xor_b32 s13, exec_lo, s13
; %bb.14327:                            ;   in Loop: Header=BB6_12675 Depth=3
	s_delay_alu instid0(VALU_DEP_2) | instskip(SKIP_2) | instid1(VALU_DEP_2)
	v_cmp_lt_u32_e32 vcc_lo, 0xffffff, v37
	v_sub_nc_u32_e32 v36, v38, v39
	v_cndmask_b32_e64 v38, 0, 1, vcc_lo
	v_add_co_ci_u32_e32 v36, vcc_lo, 0, v36, vcc_lo
	s_delay_alu instid0(VALU_DEP_2)
	v_lshrrev_b32_e32 v37, v38, v37
; %bb.14328:                            ;   in Loop: Header=BB6_12675 Depth=3
	s_and_not1_saveexec_b32 s13, s13
; %bb.14329:                            ;   in Loop: Header=BB6_12675 Depth=3
	s_delay_alu instid0(VALU_DEP_1)
	v_bfe_u32 v36, v37, 23, 1
; %bb.14330:                            ;   in Loop: Header=BB6_12675 Depth=3
	s_or_b32 exec_lo, exec_lo, s13
	v_lshrrev_b32_e32 v37, 21, v37
	s_delay_alu instid0(VALU_DEP_2) | instskip(SKIP_2) | instid1(VALU_DEP_2)
	v_cmp_gt_i32_e32 vcc_lo, 32, v36
	v_min_i32_e32 v38, 31, v36
	v_lshrrev_b32_e32 v27, 24, v27
	v_dual_cndmask_b32 v37, 3, v37 :: v_dual_lshlrev_b32 v38, 2, v38
	s_delay_alu instid0(VALU_DEP_2) | instskip(NEXT) | instid1(VALU_DEP_2)
	v_and_b32_e32 v27, 0x80, v27
	v_or_b32_e32 v36, v36, v37
	s_delay_alu instid0(VALU_DEP_3) | instskip(NEXT) | instid1(VALU_DEP_2)
	v_and_b32_e32 v38, 0xfc, v38
	v_cmp_ne_u32_e32 vcc_lo, 0, v36
	v_and_b32_e32 v39, 3, v37
	s_delay_alu instid0(VALU_DEP_1) | instskip(NEXT) | instid1(VALU_DEP_1)
	v_or3_b32 v27, v38, v27, v39
	v_cndmask_b32_e32 v132, 0, v27, vcc_lo
.LBB6_14331:                            ;   in Loop: Header=BB6_12675 Depth=3
	s_or_b32 exec_lo, exec_lo, s30
.LBB6_14332:                            ;   in Loop: Header=BB6_12675 Depth=3
	s_delay_alu instid0(SALU_CYCLE_1) | instskip(SKIP_3) | instid1(VALU_DEP_1)
	s_or_b32 exec_lo, exec_lo, s17
	v_lshrrev_b32_e32 v36, 24, v26
	s_mov_b32 s13, 0
	s_mov_b32 s30, exec_lo
                                        ; implicit-def: $sgpr17
	v_cmpx_lt_i16_e32 0x7f, v36
	s_xor_b32 s30, exec_lo, s30
	s_cbranch_execnz .LBB6_15170
; %bb.14333:                            ;   in Loop: Header=BB6_12675 Depth=3
	s_or_saveexec_b32 s30, s30
	v_mov_b32_e32 v27, s17
	s_xor_b32 exec_lo, exec_lo, s30
	s_cbranch_execnz .LBB6_15173
.LBB6_14334:                            ;   in Loop: Header=BB6_12675 Depth=3
	s_or_b32 exec_lo, exec_lo, s30
	s_and_saveexec_b32 s17, s13
	s_cbranch_execz .LBB6_14336
.LBB6_14335:                            ;   in Loop: Header=BB6_12675 Depth=3
	v_bfe_u32 v27, v26, 24, 2
	s_delay_alu instid0(VALU_DEP_1) | instskip(NEXT) | instid1(VALU_DEP_1)
	v_clz_i32_u32_e32 v37, v27
	v_min_u32_e32 v37, 32, v37
	s_delay_alu instid0(VALU_DEP_1) | instskip(SKIP_1) | instid1(VALU_DEP_2)
	v_subrev_nc_u32_e32 v38, 29, v37
	v_sub_nc_u32_e32 v37, 30, v37
	v_lshlrev_b32_e32 v36, v38, v36
	v_bfe_u32 v38, v26, 26, 5
	v_and_b32_e32 v26, 0x80000000, v26
	s_delay_alu instid0(VALU_DEP_2) | instskip(NEXT) | instid1(VALU_DEP_4)
	v_cmp_eq_u32_e32 vcc_lo, 0, v38
	v_dual_cndmask_b32 v37, v38, v37 :: v_dual_and_b32 v36, 3, v36
	s_delay_alu instid0(VALU_DEP_1) | instskip(NEXT) | instid1(VALU_DEP_2)
	v_cndmask_b32_e32 v27, v27, v36, vcc_lo
	v_lshl_add_u32 v36, v37, 23, 0x37800000
	s_delay_alu instid0(VALU_DEP_2) | instskip(NEXT) | instid1(VALU_DEP_1)
	v_lshlrev_b32_e32 v27, 21, v27
	v_or3_b32 v27, v26, v36, v27
.LBB6_14336:                            ;   in Loop: Header=BB6_12675 Depth=3
	s_or_b32 exec_lo, exec_lo, s17
	v_lshrrev_b32_e32 v26, 24, v9
	s_mov_b32 s13, 0
	s_mov_b32 s30, exec_lo
                                        ; implicit-def: $sgpr17
	s_delay_alu instid0(VALU_DEP_1)
	v_cmpx_lt_i16_e32 0x7f, v26
	s_xor_b32 s30, exec_lo, s30
	s_cbranch_execnz .LBB6_15174
; %bb.14337:                            ;   in Loop: Header=BB6_12675 Depth=3
	s_or_saveexec_b32 s30, s30
	v_mov_b32_e32 v36, s17
	s_xor_b32 exec_lo, exec_lo, s30
	s_cbranch_execnz .LBB6_15177
.LBB6_14338:                            ;   in Loop: Header=BB6_12675 Depth=3
	s_or_b32 exec_lo, exec_lo, s30
	s_and_saveexec_b32 s17, s13
	s_cbranch_execz .LBB6_14340
.LBB6_14339:                            ;   in Loop: Header=BB6_12675 Depth=3
	v_bfe_u32 v36, v9, 24, 2
	s_delay_alu instid0(VALU_DEP_1) | instskip(NEXT) | instid1(VALU_DEP_1)
	v_clz_i32_u32_e32 v37, v36
	v_min_u32_e32 v37, 32, v37
	s_delay_alu instid0(VALU_DEP_1) | instskip(SKIP_1) | instid1(VALU_DEP_2)
	v_subrev_nc_u32_e32 v38, 29, v37
	v_sub_nc_u32_e32 v37, 30, v37
	v_lshlrev_b32_e32 v26, v38, v26
	v_bfe_u32 v38, v9, 26, 5
	v_and_b32_e32 v9, 0x80000000, v9
	s_delay_alu instid0(VALU_DEP_2) | instskip(NEXT) | instid1(VALU_DEP_4)
	v_cmp_eq_u32_e32 vcc_lo, 0, v38
	v_dual_cndmask_b32 v37, v38, v37 :: v_dual_and_b32 v26, 3, v26
	s_delay_alu instid0(VALU_DEP_1) | instskip(NEXT) | instid1(VALU_DEP_2)
	v_cndmask_b32_e32 v26, v36, v26, vcc_lo
	v_lshl_add_u32 v36, v37, 23, 0x37800000
	s_delay_alu instid0(VALU_DEP_2) | instskip(NEXT) | instid1(VALU_DEP_1)
	v_lshlrev_b32_e32 v26, 21, v26
	v_or3_b32 v36, v9, v36, v26
.LBB6_14340:                            ;   in Loop: Header=BB6_12675 Depth=3
	s_or_b32 exec_lo, exec_lo, s17
	s_delay_alu instid0(VALU_DEP_1) | instskip(NEXT) | instid1(VALU_DEP_1)
	v_add_f32_e32 v26, v27, v36
	v_and_b32_e32 v9, 0x7f800000, v26
	s_delay_alu instid0(VALU_DEP_1)
	v_cmp_ne_u32_e32 vcc_lo, 0x7f800000, v9
	v_mov_b32_e32 v9, 0x8000
	s_and_saveexec_b32 s17, vcc_lo
	s_cbranch_execz .LBB6_14348
; %bb.14341:                            ;   in Loop: Header=BB6_12675 Depth=3
	v_mov_b32_e32 v9, 0
	s_mov_b32 s30, exec_lo
	v_cmpx_ne_u32_e32 0, v26
	s_cbranch_execz .LBB6_14347
; %bb.14342:                            ;   in Loop: Header=BB6_12675 Depth=3
	v_bfe_u32 v9, v26, 23, 8
	s_delay_alu instid0(VALU_DEP_1) | instskip(SKIP_1) | instid1(VALU_DEP_2)
	v_sub_nc_u32_e32 v36, 0x70, v9
	v_cmp_gt_u32_e32 vcc_lo, 0x71, v9
	v_dual_cndmask_b32 v36, 0, v36 :: v_dual_and_b32 v27, 0x7fffff, v26
	s_delay_alu instid0(VALU_DEP_1) | instskip(SKIP_2) | instid1(VALU_DEP_4)
	v_or_b32_e32 v37, 0x800000, v27
	v_cmp_eq_u32_e32 vcc_lo, 0, v9
	v_add_nc_u32_e32 v9, 0xffffff91, v9
	v_cndmask_b32_e64 v36, v36, 0x6f, vcc_lo
	s_delay_alu instid0(VALU_DEP_2) | instskip(SKIP_1) | instid1(VALU_DEP_3)
	v_cndmask_b32_e64 v9, v9, 0xffffff92, vcc_lo
	v_cndmask_b32_e32 v27, v37, v27, vcc_lo
	v_lshl_add_u32 v37, 0x200000, v36, -1
	v_lshlrev_b32_e64 v48, v36, 0x100000
	s_delay_alu instid0(VALU_DEP_3) | instskip(SKIP_1) | instid1(VALU_DEP_4)
	v_lshrrev_b32_e32 v38, v36, v27
	v_add_nc_u32_e32 v36, v36, v9
	v_and_b32_e32 v27, v37, v27
	s_delay_alu instid0(VALU_DEP_3) | instskip(NEXT) | instid1(VALU_DEP_2)
	v_bfe_u32 v39, v38, 21, 1
	v_cmp_eq_u32_e64 s13, v27, v48
	s_delay_alu instid0(VALU_DEP_2) | instskip(NEXT) | instid1(VALU_DEP_1)
	v_add_nc_u32_e32 v37, -1, v39
	v_cndmask_b32_e64 v27, 0, v37, s13
	v_lshrrev_b32_e32 v37, 23, v38
	s_mov_b32 s13, exec_lo
	s_delay_alu instid0(VALU_DEP_2) | instskip(NEXT) | instid1(VALU_DEP_2)
	v_add_nc_u32_e32 v27, v27, v38
	v_xor_b32_e32 v37, 1, v37
	s_delay_alu instid0(VALU_DEP_2) | instskip(NEXT) | instid1(VALU_DEP_1)
	v_and_b32_e32 v9, 0x1fffff, v27
	v_add_nc_u32_e32 v27, v9, v38
                                        ; implicit-def: $vgpr9
	s_delay_alu instid0(VALU_DEP_3)
	v_cmpx_ne_u32_e64 v36, v37
	s_xor_b32 s13, exec_lo, s13
; %bb.14343:                            ;   in Loop: Header=BB6_12675 Depth=3
	s_delay_alu instid0(VALU_DEP_2) | instskip(SKIP_2) | instid1(VALU_DEP_2)
	v_cmp_lt_u32_e32 vcc_lo, 0xffffff, v27
	v_sub_nc_u32_e32 v9, v36, v37
	v_cndmask_b32_e64 v36, 0, 1, vcc_lo
	v_add_co_ci_u32_e32 v9, vcc_lo, 0, v9, vcc_lo
	s_delay_alu instid0(VALU_DEP_2)
	v_lshrrev_b32_e32 v27, v36, v27
; %bb.14344:                            ;   in Loop: Header=BB6_12675 Depth=3
	s_and_not1_saveexec_b32 s13, s13
; %bb.14345:                            ;   in Loop: Header=BB6_12675 Depth=3
	s_delay_alu instid0(VALU_DEP_1)
	v_bfe_u32 v9, v27, 23, 1
; %bb.14346:                            ;   in Loop: Header=BB6_12675 Depth=3
	s_or_b32 exec_lo, exec_lo, s13
	v_lshrrev_b32_e32 v27, 21, v27
	s_delay_alu instid0(VALU_DEP_2) | instskip(SKIP_2) | instid1(VALU_DEP_2)
	v_cmp_gt_i32_e32 vcc_lo, 32, v9
	v_min_i32_e32 v36, 31, v9
	v_lshrrev_b32_e32 v26, 24, v26
	v_dual_cndmask_b32 v27, 3, v27 :: v_dual_lshlrev_b32 v36, 2, v36
	s_delay_alu instid0(VALU_DEP_2) | instskip(NEXT) | instid1(VALU_DEP_2)
	v_and_b32_e32 v26, 0x80, v26
	v_or_b32_e32 v9, v9, v27
	v_and_b32_e32 v37, 3, v27
	s_delay_alu instid0(VALU_DEP_2) | instskip(SKIP_1) | instid1(VALU_DEP_1)
	v_cmp_ne_u32_e32 vcc_lo, 0, v9
	v_and_b32_e32 v36, 0xfc, v36
	v_or3_b32 v26, v26, v36, v37
	s_delay_alu instid0(VALU_DEP_1) | instskip(NEXT) | instid1(VALU_DEP_1)
	v_lshlrev_b32_e32 v26, 8, v26
	v_cndmask_b32_e32 v9, 0, v26, vcc_lo
.LBB6_14347:                            ;   in Loop: Header=BB6_12675 Depth=3
	s_or_b32 exec_lo, exec_lo, s30
.LBB6_14348:                            ;   in Loop: Header=BB6_12675 Depth=3
	s_delay_alu instid0(SALU_CYCLE_1) | instskip(SKIP_3) | instid1(VALU_DEP_1)
	s_or_b32 exec_lo, exec_lo, s17
	v_and_b32_e32 v27, 0xff, v177
	s_mov_b32 s13, 0
	s_mov_b32 s30, exec_lo
                                        ; implicit-def: $sgpr17
	v_cmpx_lt_i16_e32 0x7f, v27
	s_xor_b32 s30, exec_lo, s30
	s_cbranch_execnz .LBB6_15178
; %bb.14349:                            ;   in Loop: Header=BB6_12675 Depth=3
	s_or_saveexec_b32 s30, s30
	v_mov_b32_e32 v26, s17
	s_xor_b32 exec_lo, exec_lo, s30
	s_cbranch_execnz .LBB6_15181
.LBB6_14350:                            ;   in Loop: Header=BB6_12675 Depth=3
	s_or_b32 exec_lo, exec_lo, s30
	s_and_saveexec_b32 s17, s13
	s_cbranch_execz .LBB6_14352
.LBB6_14351:                            ;   in Loop: Header=BB6_12675 Depth=3
	v_bfe_u32 v37, v177, 2, 5
	v_lshlrev_b32_e32 v38, 24, v177
	s_delay_alu instid0(VALU_DEP_2) | instskip(SKIP_1) | instid1(VALU_DEP_1)
	v_cmp_eq_u32_e32 vcc_lo, 0, v37
	v_and_b32_e32 v26, 3, v177
	v_clz_i32_u32_e32 v27, v26
	s_delay_alu instid0(VALU_DEP_1) | instskip(NEXT) | instid1(VALU_DEP_1)
	v_min_u32_e32 v27, 32, v27
	v_subrev_nc_u32_e32 v36, 29, v27
	v_sub_nc_u32_e32 v27, 30, v27
	s_delay_alu instid0(VALU_DEP_1) | instskip(NEXT) | instid1(VALU_DEP_1)
	v_dual_cndmask_b32 v27, v37, v27 :: v_dual_lshlrev_b32 v36, v36, v177
	v_and_b32_e32 v36, 3, v36
	s_delay_alu instid0(VALU_DEP_2) | instskip(NEXT) | instid1(VALU_DEP_2)
	v_lshl_add_u32 v27, v27, 23, 0x37800000
	v_cndmask_b32_e32 v26, v26, v36, vcc_lo
	v_and_b32_e32 v36, 0x80000000, v38
	s_delay_alu instid0(VALU_DEP_2) | instskip(NEXT) | instid1(VALU_DEP_1)
	v_lshlrev_b32_e32 v26, 21, v26
	v_or3_b32 v26, v36, v27, v26
.LBB6_14352:                            ;   in Loop: Header=BB6_12675 Depth=3
	s_or_b32 exec_lo, exec_lo, s17
	v_and_b32_e32 v36, 0xff, v10
	s_mov_b32 s13, 0
	s_mov_b32 s30, exec_lo
                                        ; implicit-def: $sgpr17
	s_delay_alu instid0(VALU_DEP_1)
	v_cmpx_lt_i16_e32 0x7f, v36
	s_xor_b32 s30, exec_lo, s30
	s_cbranch_execnz .LBB6_15182
; %bb.14353:                            ;   in Loop: Header=BB6_12675 Depth=3
	s_or_saveexec_b32 s30, s30
	v_mov_b32_e32 v27, s17
	s_xor_b32 exec_lo, exec_lo, s30
	s_cbranch_execnz .LBB6_15185
.LBB6_14354:                            ;   in Loop: Header=BB6_12675 Depth=3
	s_or_b32 exec_lo, exec_lo, s30
	s_and_saveexec_b32 s17, s13
	s_cbranch_execz .LBB6_14356
.LBB6_14355:                            ;   in Loop: Header=BB6_12675 Depth=3
	v_bfe_u32 v38, v10, 2, 5
	v_lshlrev_b32_e32 v39, 24, v10
	s_delay_alu instid0(VALU_DEP_2) | instskip(SKIP_1) | instid1(VALU_DEP_1)
	v_cmp_eq_u32_e32 vcc_lo, 0, v38
	v_and_b32_e32 v27, 3, v10
	v_clz_i32_u32_e32 v36, v27
	s_delay_alu instid0(VALU_DEP_1) | instskip(NEXT) | instid1(VALU_DEP_1)
	v_min_u32_e32 v36, 32, v36
	v_subrev_nc_u32_e32 v37, 29, v36
	v_sub_nc_u32_e32 v36, 30, v36
	s_delay_alu instid0(VALU_DEP_1) | instskip(NEXT) | instid1(VALU_DEP_1)
	v_dual_cndmask_b32 v36, v38, v36 :: v_dual_lshlrev_b32 v37, v37, v10
	v_and_b32_e32 v37, 3, v37
	s_delay_alu instid0(VALU_DEP_2) | instskip(NEXT) | instid1(VALU_DEP_2)
	v_lshl_add_u32 v36, v36, 23, 0x37800000
	v_cndmask_b32_e32 v27, v27, v37, vcc_lo
	v_and_b32_e32 v37, 0x80000000, v39
	s_delay_alu instid0(VALU_DEP_2) | instskip(NEXT) | instid1(VALU_DEP_1)
	v_lshlrev_b32_e32 v27, 21, v27
	v_or3_b32 v27, v37, v36, v27
.LBB6_14356:                            ;   in Loop: Header=BB6_12675 Depth=3
	s_or_b32 exec_lo, exec_lo, s17
	s_delay_alu instid0(VALU_DEP_1) | instskip(SKIP_2) | instid1(VALU_DEP_2)
	v_add_f32_e32 v26, v26, v27
	v_mov_b32_e32 v52, 0x80
	s_mov_b32 s17, exec_lo
	v_and_b32_e32 v27, 0x7f800000, v26
	s_delay_alu instid0(VALU_DEP_1)
	v_cmpx_ne_u32_e32 0x7f800000, v27
	s_cbranch_execz .LBB6_14364
; %bb.14357:                            ;   in Loop: Header=BB6_12675 Depth=3
	v_mov_b32_e32 v52, 0
	s_mov_b32 s30, exec_lo
	v_cmpx_ne_u32_e32 0, v26
	s_cbranch_execz .LBB6_14363
; %bb.14358:                            ;   in Loop: Header=BB6_12675 Depth=3
	v_bfe_u32 v27, v26, 23, 8
	s_delay_alu instid0(VALU_DEP_1) | instskip(SKIP_1) | instid1(VALU_DEP_2)
	v_sub_nc_u32_e32 v37, 0x70, v27
	v_cmp_gt_u32_e32 vcc_lo, 0x71, v27
	v_dual_cndmask_b32 v37, 0, v37 :: v_dual_and_b32 v36, 0x7fffff, v26
	s_delay_alu instid0(VALU_DEP_1) | instskip(SKIP_2) | instid1(VALU_DEP_4)
	v_or_b32_e32 v38, 0x800000, v36
	v_cmp_eq_u32_e32 vcc_lo, 0, v27
	v_add_nc_u32_e32 v27, 0xffffff91, v27
	v_cndmask_b32_e64 v37, v37, 0x6f, vcc_lo
	s_delay_alu instid0(VALU_DEP_4) | instskip(NEXT) | instid1(VALU_DEP_3)
	v_cndmask_b32_e32 v36, v38, v36, vcc_lo
	v_cndmask_b32_e64 v27, v27, 0xffffff92, vcc_lo
	s_delay_alu instid0(VALU_DEP_3) | instskip(NEXT) | instid1(VALU_DEP_3)
	v_lshl_add_u32 v38, 0x200000, v37, -1
	v_lshrrev_b32_e32 v39, v37, v36
	v_lshlrev_b32_e64 v49, v37, 0x100000
	s_delay_alu instid0(VALU_DEP_4) | instskip(NEXT) | instid1(VALU_DEP_4)
	v_add_nc_u32_e32 v37, v37, v27
	v_and_b32_e32 v36, v38, v36
	s_delay_alu instid0(VALU_DEP_4) | instskip(NEXT) | instid1(VALU_DEP_2)
	v_bfe_u32 v48, v39, 21, 1
	v_cmp_eq_u32_e64 s13, v36, v49
	s_delay_alu instid0(VALU_DEP_2) | instskip(NEXT) | instid1(VALU_DEP_1)
	v_add_nc_u32_e32 v38, -1, v48
	v_cndmask_b32_e64 v36, 0, v38, s13
	v_lshrrev_b32_e32 v38, 23, v39
	s_mov_b32 s13, exec_lo
	s_delay_alu instid0(VALU_DEP_2) | instskip(NEXT) | instid1(VALU_DEP_2)
	v_add_nc_u32_e32 v36, v36, v39
	v_xor_b32_e32 v38, 1, v38
	s_delay_alu instid0(VALU_DEP_2) | instskip(NEXT) | instid1(VALU_DEP_1)
	v_and_b32_e32 v27, 0x1fffff, v36
	v_add_nc_u32_e32 v36, v27, v39
                                        ; implicit-def: $vgpr27
	s_delay_alu instid0(VALU_DEP_3)
	v_cmpx_ne_u32_e64 v37, v38
	s_xor_b32 s13, exec_lo, s13
; %bb.14359:                            ;   in Loop: Header=BB6_12675 Depth=3
	s_delay_alu instid0(VALU_DEP_2) | instskip(SKIP_2) | instid1(VALU_DEP_2)
	v_cmp_lt_u32_e32 vcc_lo, 0xffffff, v36
	v_sub_nc_u32_e32 v27, v37, v38
	v_cndmask_b32_e64 v37, 0, 1, vcc_lo
	v_add_co_ci_u32_e32 v27, vcc_lo, 0, v27, vcc_lo
	s_delay_alu instid0(VALU_DEP_2)
	v_lshrrev_b32_e32 v36, v37, v36
; %bb.14360:                            ;   in Loop: Header=BB6_12675 Depth=3
	s_and_not1_saveexec_b32 s13, s13
; %bb.14361:                            ;   in Loop: Header=BB6_12675 Depth=3
	s_delay_alu instid0(VALU_DEP_1)
	v_bfe_u32 v27, v36, 23, 1
; %bb.14362:                            ;   in Loop: Header=BB6_12675 Depth=3
	s_or_b32 exec_lo, exec_lo, s13
	v_lshrrev_b32_e32 v36, 21, v36
	s_delay_alu instid0(VALU_DEP_2) | instskip(SKIP_2) | instid1(VALU_DEP_4)
	v_cmp_gt_i32_e32 vcc_lo, 32, v27
	v_lshrrev_b32_e32 v26, 24, v26
	v_min_i32_e32 v37, 31, v27
	v_cndmask_b32_e32 v36, 3, v36, vcc_lo
	s_delay_alu instid0(VALU_DEP_3) | instskip(NEXT) | instid1(VALU_DEP_3)
	v_and_b32_e32 v26, 0x80, v26
	v_lshlrev_b32_e32 v37, 2, v37
	s_delay_alu instid0(VALU_DEP_3) | instskip(SKIP_1) | instid1(VALU_DEP_2)
	v_and_b32_e32 v38, 3, v36
	v_or_b32_e32 v27, v27, v36
	v_or3_b32 v26, v37, v26, v38
	s_delay_alu instid0(VALU_DEP_2) | instskip(NEXT) | instid1(VALU_DEP_2)
	v_cmp_ne_u32_e32 vcc_lo, 0, v27
	v_cndmask_b32_e32 v52, 0, v26, vcc_lo
.LBB6_14363:                            ;   in Loop: Header=BB6_12675 Depth=3
	s_or_b32 exec_lo, exec_lo, s30
.LBB6_14364:                            ;   in Loop: Header=BB6_12675 Depth=3
	s_delay_alu instid0(SALU_CYCLE_1) | instskip(SKIP_3) | instid1(VALU_DEP_1)
	s_or_b32 exec_lo, exec_lo, s17
	v_and_b32_e32 v27, 0xff, v166
	s_mov_b32 s13, 0
	s_mov_b32 s30, exec_lo
                                        ; implicit-def: $sgpr17
	v_cmpx_lt_i16_e32 0x7f, v27
	s_xor_b32 s30, exec_lo, s30
	s_cbranch_execnz .LBB6_15186
; %bb.14365:                            ;   in Loop: Header=BB6_12675 Depth=3
	s_or_saveexec_b32 s30, s30
	v_mov_b32_e32 v26, s17
	s_xor_b32 exec_lo, exec_lo, s30
	s_cbranch_execnz .LBB6_15189
.LBB6_14366:                            ;   in Loop: Header=BB6_12675 Depth=3
	s_or_b32 exec_lo, exec_lo, s30
	s_and_saveexec_b32 s17, s13
	s_cbranch_execz .LBB6_14368
.LBB6_14367:                            ;   in Loop: Header=BB6_12675 Depth=3
	v_bfe_u32 v37, v166, 2, 5
	v_lshlrev_b32_e32 v38, 24, v166
	s_delay_alu instid0(VALU_DEP_2) | instskip(SKIP_1) | instid1(VALU_DEP_1)
	v_cmp_eq_u32_e32 vcc_lo, 0, v37
	v_and_b32_e32 v26, 3, v166
	v_clz_i32_u32_e32 v27, v26
	s_delay_alu instid0(VALU_DEP_1) | instskip(NEXT) | instid1(VALU_DEP_1)
	v_min_u32_e32 v27, 32, v27
	v_subrev_nc_u32_e32 v36, 29, v27
	v_sub_nc_u32_e32 v27, 30, v27
	s_delay_alu instid0(VALU_DEP_1) | instskip(NEXT) | instid1(VALU_DEP_1)
	v_dual_cndmask_b32 v27, v37, v27 :: v_dual_lshlrev_b32 v36, v36, v166
	v_and_b32_e32 v36, 3, v36
	s_delay_alu instid0(VALU_DEP_2) | instskip(NEXT) | instid1(VALU_DEP_2)
	v_lshl_add_u32 v27, v27, 23, 0x37800000
	v_cndmask_b32_e32 v26, v26, v36, vcc_lo
	v_and_b32_e32 v36, 0x80000000, v38
	s_delay_alu instid0(VALU_DEP_2) | instskip(NEXT) | instid1(VALU_DEP_1)
	v_lshlrev_b32_e32 v26, 21, v26
	v_or3_b32 v26, v36, v27, v26
.LBB6_14368:                            ;   in Loop: Header=BB6_12675 Depth=3
	s_or_b32 exec_lo, exec_lo, s17
	v_lshrrev_b16 v27, 8, v10
	s_mov_b32 s13, 0
	s_mov_b32 s30, exec_lo
                                        ; implicit-def: $sgpr17
	s_delay_alu instid0(VALU_DEP_1)
	v_cmpx_lt_i16_e32 0x7f, v27
	s_xor_b32 s30, exec_lo, s30
	s_cbranch_execnz .LBB6_15190
; %bb.14369:                            ;   in Loop: Header=BB6_12675 Depth=3
	s_or_saveexec_b32 s30, s30
	v_mov_b32_e32 v36, s17
	s_xor_b32 exec_lo, exec_lo, s30
	s_cbranch_execnz .LBB6_15193
.LBB6_14370:                            ;   in Loop: Header=BB6_12675 Depth=3
	s_or_b32 exec_lo, exec_lo, s30
	s_and_saveexec_b32 s17, s13
	s_cbranch_execz .LBB6_14372
.LBB6_14371:                            ;   in Loop: Header=BB6_12675 Depth=3
	v_and_b32_e32 v36, 0xffff, v27
	v_lshlrev_b32_e32 v27, 24, v27
	s_delay_alu instid0(VALU_DEP_2) | instskip(NEXT) | instid1(VALU_DEP_2)
	v_and_b32_e32 v37, 3, v36
	v_and_b32_e32 v27, 0x80000000, v27
	s_delay_alu instid0(VALU_DEP_2) | instskip(NEXT) | instid1(VALU_DEP_1)
	v_clz_i32_u32_e32 v38, v37
	v_min_u32_e32 v38, 32, v38
	s_delay_alu instid0(VALU_DEP_1) | instskip(SKIP_1) | instid1(VALU_DEP_2)
	v_subrev_nc_u32_e32 v39, 29, v38
	v_sub_nc_u32_e32 v38, 30, v38
	v_lshlrev_b32_e32 v39, v39, v36
	v_bfe_u32 v36, v36, 2, 5
	s_delay_alu instid0(VALU_DEP_2) | instskip(NEXT) | instid1(VALU_DEP_2)
	v_and_b32_e32 v39, 3, v39
	v_cmp_eq_u32_e32 vcc_lo, 0, v36
	s_delay_alu instid0(VALU_DEP_2) | instskip(NEXT) | instid1(VALU_DEP_1)
	v_dual_cndmask_b32 v36, v36, v38 :: v_dual_cndmask_b32 v37, v37, v39
	v_lshl_add_u32 v36, v36, 23, 0x37800000
	s_delay_alu instid0(VALU_DEP_2) | instskip(NEXT) | instid1(VALU_DEP_1)
	v_lshlrev_b32_e32 v37, 21, v37
	v_or3_b32 v36, v27, v36, v37
.LBB6_14372:                            ;   in Loop: Header=BB6_12675 Depth=3
	s_or_b32 exec_lo, exec_lo, s17
	s_delay_alu instid0(VALU_DEP_1) | instskip(NEXT) | instid1(VALU_DEP_1)
	v_add_f32_e32 v27, v26, v36
	v_and_b32_e32 v26, 0x7f800000, v27
	s_delay_alu instid0(VALU_DEP_1)
	v_cmp_ne_u32_e32 vcc_lo, 0x7f800000, v26
	v_mov_b32_e32 v26, 0x80
	s_and_saveexec_b32 s17, vcc_lo
	s_cbranch_execz .LBB6_14380
; %bb.14373:                            ;   in Loop: Header=BB6_12675 Depth=3
	v_mov_b32_e32 v26, 0
	s_mov_b32 s30, exec_lo
	v_cmpx_ne_u32_e32 0, v27
	s_cbranch_execz .LBB6_14379
; %bb.14374:                            ;   in Loop: Header=BB6_12675 Depth=3
	v_bfe_u32 v26, v27, 23, 8
	s_delay_alu instid0(VALU_DEP_1) | instskip(SKIP_1) | instid1(VALU_DEP_2)
	v_sub_nc_u32_e32 v37, 0x70, v26
	v_cmp_gt_u32_e32 vcc_lo, 0x71, v26
	v_dual_cndmask_b32 v37, 0, v37 :: v_dual_and_b32 v36, 0x7fffff, v27
	s_delay_alu instid0(VALU_DEP_1) | instskip(SKIP_2) | instid1(VALU_DEP_4)
	v_or_b32_e32 v38, 0x800000, v36
	v_cmp_eq_u32_e32 vcc_lo, 0, v26
	v_add_nc_u32_e32 v26, 0xffffff91, v26
	v_cndmask_b32_e64 v37, v37, 0x6f, vcc_lo
	s_delay_alu instid0(VALU_DEP_2) | instskip(SKIP_1) | instid1(VALU_DEP_3)
	v_cndmask_b32_e64 v26, v26, 0xffffff92, vcc_lo
	v_cndmask_b32_e32 v36, v38, v36, vcc_lo
	v_lshl_add_u32 v38, 0x200000, v37, -1
	v_lshlrev_b32_e64 v49, v37, 0x100000
	s_delay_alu instid0(VALU_DEP_3) | instskip(SKIP_1) | instid1(VALU_DEP_4)
	v_lshrrev_b32_e32 v39, v37, v36
	v_add_nc_u32_e32 v37, v37, v26
	v_and_b32_e32 v36, v38, v36
	s_delay_alu instid0(VALU_DEP_3) | instskip(NEXT) | instid1(VALU_DEP_2)
	v_bfe_u32 v48, v39, 21, 1
	v_cmp_eq_u32_e64 s13, v36, v49
	s_delay_alu instid0(VALU_DEP_2) | instskip(NEXT) | instid1(VALU_DEP_1)
	v_add_nc_u32_e32 v38, -1, v48
	v_cndmask_b32_e64 v36, 0, v38, s13
	v_lshrrev_b32_e32 v38, 23, v39
	s_mov_b32 s13, exec_lo
	s_delay_alu instid0(VALU_DEP_2) | instskip(NEXT) | instid1(VALU_DEP_2)
	v_add_nc_u32_e32 v36, v36, v39
	v_xor_b32_e32 v38, 1, v38
	s_delay_alu instid0(VALU_DEP_2) | instskip(NEXT) | instid1(VALU_DEP_1)
	v_and_b32_e32 v26, 0x1fffff, v36
	v_add_nc_u32_e32 v36, v26, v39
                                        ; implicit-def: $vgpr26
	s_delay_alu instid0(VALU_DEP_3)
	v_cmpx_ne_u32_e64 v37, v38
	s_xor_b32 s13, exec_lo, s13
; %bb.14375:                            ;   in Loop: Header=BB6_12675 Depth=3
	s_delay_alu instid0(VALU_DEP_2) | instskip(SKIP_2) | instid1(VALU_DEP_2)
	v_cmp_lt_u32_e32 vcc_lo, 0xffffff, v36
	v_sub_nc_u32_e32 v26, v37, v38
	v_cndmask_b32_e64 v37, 0, 1, vcc_lo
	v_add_co_ci_u32_e32 v26, vcc_lo, 0, v26, vcc_lo
	s_delay_alu instid0(VALU_DEP_2)
	v_lshrrev_b32_e32 v36, v37, v36
; %bb.14376:                            ;   in Loop: Header=BB6_12675 Depth=3
	s_and_not1_saveexec_b32 s13, s13
; %bb.14377:                            ;   in Loop: Header=BB6_12675 Depth=3
	s_delay_alu instid0(VALU_DEP_1)
	v_bfe_u32 v26, v36, 23, 1
; %bb.14378:                            ;   in Loop: Header=BB6_12675 Depth=3
	s_or_b32 exec_lo, exec_lo, s13
	v_lshrrev_b32_e32 v36, 21, v36
	s_delay_alu instid0(VALU_DEP_2) | instskip(SKIP_2) | instid1(VALU_DEP_2)
	v_cmp_gt_i32_e32 vcc_lo, 32, v26
	v_lshrrev_b32_e32 v27, 24, v27
	v_min_i32_e32 v37, 31, v26
	v_dual_cndmask_b32 v36, 3, v36 :: v_dual_and_b32 v27, 0x80, v27
	s_delay_alu instid0(VALU_DEP_1) | instskip(SKIP_1) | instid1(VALU_DEP_2)
	v_or_b32_e32 v26, v26, v36
	v_and_b32_e32 v38, 3, v36
	v_cmp_ne_u32_e32 vcc_lo, 0, v26
	v_lshlrev_b32_e32 v37, 2, v37
	s_delay_alu instid0(VALU_DEP_1) | instskip(NEXT) | instid1(VALU_DEP_1)
	v_or3_b32 v27, v37, v27, v38
	v_cndmask_b32_e32 v26, 0, v27, vcc_lo
.LBB6_14379:                            ;   in Loop: Header=BB6_12675 Depth=3
	s_or_b32 exec_lo, exec_lo, s30
.LBB6_14380:                            ;   in Loop: Header=BB6_12675 Depth=3
	s_delay_alu instid0(SALU_CYCLE_1) | instskip(SKIP_3) | instid1(VALU_DEP_1)
	s_or_b32 exec_lo, exec_lo, s17
	v_and_b32_e32 v36, 0xff, v165
	s_mov_b32 s13, 0
	s_mov_b32 s30, exec_lo
                                        ; implicit-def: $sgpr17
	v_cmpx_lt_i16_e32 0x7f, v36
	s_xor_b32 s30, exec_lo, s30
	s_cbranch_execnz .LBB6_15194
; %bb.14381:                            ;   in Loop: Header=BB6_12675 Depth=3
	s_or_saveexec_b32 s30, s30
	v_mov_b32_e32 v27, s17
	s_xor_b32 exec_lo, exec_lo, s30
	s_cbranch_execnz .LBB6_15197
.LBB6_14382:                            ;   in Loop: Header=BB6_12675 Depth=3
	s_or_b32 exec_lo, exec_lo, s30
	s_and_saveexec_b32 s17, s13
	s_cbranch_execz .LBB6_14384
.LBB6_14383:                            ;   in Loop: Header=BB6_12675 Depth=3
	v_bfe_u32 v38, v165, 2, 5
	v_lshlrev_b32_e32 v39, 24, v165
	s_delay_alu instid0(VALU_DEP_2) | instskip(SKIP_1) | instid1(VALU_DEP_1)
	v_cmp_eq_u32_e32 vcc_lo, 0, v38
	v_and_b32_e32 v27, 3, v165
	v_clz_i32_u32_e32 v36, v27
	s_delay_alu instid0(VALU_DEP_1) | instskip(NEXT) | instid1(VALU_DEP_1)
	v_min_u32_e32 v36, 32, v36
	v_subrev_nc_u32_e32 v37, 29, v36
	v_sub_nc_u32_e32 v36, 30, v36
	s_delay_alu instid0(VALU_DEP_1) | instskip(NEXT) | instid1(VALU_DEP_1)
	v_dual_cndmask_b32 v36, v38, v36 :: v_dual_lshlrev_b32 v37, v37, v165
	v_and_b32_e32 v37, 3, v37
	s_delay_alu instid0(VALU_DEP_2) | instskip(NEXT) | instid1(VALU_DEP_2)
	v_lshl_add_u32 v36, v36, 23, 0x37800000
	v_cndmask_b32_e32 v27, v27, v37, vcc_lo
	v_and_b32_e32 v37, 0x80000000, v39
	s_delay_alu instid0(VALU_DEP_2) | instskip(NEXT) | instid1(VALU_DEP_1)
	v_lshlrev_b32_e32 v27, 21, v27
	v_or3_b32 v27, v37, v36, v27
.LBB6_14384:                            ;   in Loop: Header=BB6_12675 Depth=3
	s_or_b32 exec_lo, exec_lo, s17
	v_lshrrev_b32_e32 v36, 16, v10
	s_mov_b32 s13, 0
	s_mov_b32 s30, exec_lo
                                        ; implicit-def: $sgpr17
	s_delay_alu instid0(VALU_DEP_1) | instskip(NEXT) | instid1(VALU_DEP_1)
	v_and_b32_e32 v38, 0xff, v36
	v_cmpx_lt_i16_e32 0x7f, v38
	s_xor_b32 s30, exec_lo, s30
	s_cbranch_execnz .LBB6_15198
; %bb.14385:                            ;   in Loop: Header=BB6_12675 Depth=3
	s_or_saveexec_b32 s30, s30
	v_mov_b32_e32 v37, s17
	s_xor_b32 exec_lo, exec_lo, s30
	s_cbranch_execnz .LBB6_15201
.LBB6_14386:                            ;   in Loop: Header=BB6_12675 Depth=3
	s_or_b32 exec_lo, exec_lo, s30
	s_and_saveexec_b32 s17, s13
	s_cbranch_execz .LBB6_14388
.LBB6_14387:                            ;   in Loop: Header=BB6_12675 Depth=3
	v_bfe_u32 v37, v10, 16, 2
	v_lshlrev_b32_e32 v48, 8, v10
	s_delay_alu instid0(VALU_DEP_2) | instskip(NEXT) | instid1(VALU_DEP_1)
	v_clz_i32_u32_e32 v38, v37
	v_min_u32_e32 v38, 32, v38
	s_delay_alu instid0(VALU_DEP_1) | instskip(SKIP_1) | instid1(VALU_DEP_2)
	v_subrev_nc_u32_e32 v39, 29, v38
	v_sub_nc_u32_e32 v38, 30, v38
	v_lshlrev_b32_e32 v36, v39, v36
	v_bfe_u32 v39, v10, 18, 5
	s_delay_alu instid0(VALU_DEP_2) | instskip(NEXT) | instid1(VALU_DEP_2)
	v_and_b32_e32 v36, 3, v36
	v_cmp_eq_u32_e32 vcc_lo, 0, v39
	v_cndmask_b32_e32 v38, v39, v38, vcc_lo
	s_delay_alu instid0(VALU_DEP_3) | instskip(SKIP_1) | instid1(VALU_DEP_3)
	v_cndmask_b32_e32 v36, v37, v36, vcc_lo
	v_and_b32_e32 v37, 0x80000000, v48
	v_lshl_add_u32 v38, v38, 23, 0x37800000
	s_delay_alu instid0(VALU_DEP_3) | instskip(NEXT) | instid1(VALU_DEP_1)
	v_lshlrev_b32_e32 v36, 21, v36
	v_or3_b32 v37, v37, v38, v36
.LBB6_14388:                            ;   in Loop: Header=BB6_12675 Depth=3
	s_or_b32 exec_lo, exec_lo, s17
	s_delay_alu instid0(VALU_DEP_1) | instskip(NEXT) | instid1(VALU_DEP_1)
	v_add_f32_e32 v36, v27, v37
	v_and_b32_e32 v27, 0x7f800000, v36
	s_delay_alu instid0(VALU_DEP_1)
	v_cmp_ne_u32_e32 vcc_lo, 0x7f800000, v27
	v_mov_b32_e32 v27, 0x80
	s_and_saveexec_b32 s17, vcc_lo
	s_cbranch_execz .LBB6_14396
; %bb.14389:                            ;   in Loop: Header=BB6_12675 Depth=3
	v_mov_b32_e32 v27, 0
	s_mov_b32 s30, exec_lo
	v_cmpx_ne_u32_e32 0, v36
	s_cbranch_execz .LBB6_14395
; %bb.14390:                            ;   in Loop: Header=BB6_12675 Depth=3
	v_bfe_u32 v27, v36, 23, 8
	s_delay_alu instid0(VALU_DEP_1) | instskip(SKIP_1) | instid1(VALU_DEP_2)
	v_sub_nc_u32_e32 v38, 0x70, v27
	v_cmp_gt_u32_e32 vcc_lo, 0x71, v27
	v_dual_cndmask_b32 v38, 0, v38 :: v_dual_and_b32 v37, 0x7fffff, v36
	s_delay_alu instid0(VALU_DEP_1) | instskip(SKIP_2) | instid1(VALU_DEP_4)
	v_or_b32_e32 v39, 0x800000, v37
	v_cmp_eq_u32_e32 vcc_lo, 0, v27
	v_add_nc_u32_e32 v27, 0xffffff91, v27
	v_cndmask_b32_e64 v38, v38, 0x6f, vcc_lo
	s_delay_alu instid0(VALU_DEP_2) | instskip(SKIP_1) | instid1(VALU_DEP_3)
	v_cndmask_b32_e64 v27, v27, 0xffffff92, vcc_lo
	v_cndmask_b32_e32 v37, v39, v37, vcc_lo
	v_lshl_add_u32 v39, 0x200000, v38, -1
	v_lshlrev_b32_e64 v50, v38, 0x100000
	s_delay_alu instid0(VALU_DEP_3) | instskip(SKIP_1) | instid1(VALU_DEP_4)
	v_lshrrev_b32_e32 v48, v38, v37
	v_add_nc_u32_e32 v38, v38, v27
	v_and_b32_e32 v37, v39, v37
	s_delay_alu instid0(VALU_DEP_3) | instskip(NEXT) | instid1(VALU_DEP_2)
	v_bfe_u32 v49, v48, 21, 1
	v_cmp_eq_u32_e64 s13, v37, v50
	s_delay_alu instid0(VALU_DEP_2) | instskip(NEXT) | instid1(VALU_DEP_1)
	v_add_nc_u32_e32 v39, -1, v49
	v_cndmask_b32_e64 v37, 0, v39, s13
	v_lshrrev_b32_e32 v39, 23, v48
	s_mov_b32 s13, exec_lo
	s_delay_alu instid0(VALU_DEP_2) | instskip(NEXT) | instid1(VALU_DEP_2)
	v_add_nc_u32_e32 v37, v37, v48
	v_xor_b32_e32 v39, 1, v39
	s_delay_alu instid0(VALU_DEP_2) | instskip(NEXT) | instid1(VALU_DEP_1)
	v_and_b32_e32 v27, 0x1fffff, v37
	v_add_nc_u32_e32 v37, v27, v48
                                        ; implicit-def: $vgpr27
	s_delay_alu instid0(VALU_DEP_3)
	v_cmpx_ne_u32_e64 v38, v39
	s_xor_b32 s13, exec_lo, s13
; %bb.14391:                            ;   in Loop: Header=BB6_12675 Depth=3
	s_delay_alu instid0(VALU_DEP_2) | instskip(SKIP_2) | instid1(VALU_DEP_2)
	v_cmp_lt_u32_e32 vcc_lo, 0xffffff, v37
	v_sub_nc_u32_e32 v27, v38, v39
	v_cndmask_b32_e64 v38, 0, 1, vcc_lo
	v_add_co_ci_u32_e32 v27, vcc_lo, 0, v27, vcc_lo
	s_delay_alu instid0(VALU_DEP_2)
	v_lshrrev_b32_e32 v37, v38, v37
; %bb.14392:                            ;   in Loop: Header=BB6_12675 Depth=3
	s_and_not1_saveexec_b32 s13, s13
; %bb.14393:                            ;   in Loop: Header=BB6_12675 Depth=3
	s_delay_alu instid0(VALU_DEP_1)
	v_bfe_u32 v27, v37, 23, 1
; %bb.14394:                            ;   in Loop: Header=BB6_12675 Depth=3
	s_or_b32 exec_lo, exec_lo, s13
	v_lshrrev_b32_e32 v37, 21, v37
	s_delay_alu instid0(VALU_DEP_2) | instskip(SKIP_2) | instid1(VALU_DEP_2)
	v_cmp_gt_i32_e32 vcc_lo, 32, v27
	v_lshrrev_b32_e32 v36, 24, v36
	v_min_i32_e32 v38, 31, v27
	v_dual_cndmask_b32 v37, 3, v37 :: v_dual_and_b32 v36, 0x80, v36
	s_delay_alu instid0(VALU_DEP_1) | instskip(SKIP_1) | instid1(VALU_DEP_2)
	v_or_b32_e32 v27, v27, v37
	v_and_b32_e32 v39, 3, v37
	v_cmp_ne_u32_e32 vcc_lo, 0, v27
	v_lshlrev_b32_e32 v38, 2, v38
	s_delay_alu instid0(VALU_DEP_1) | instskip(NEXT) | instid1(VALU_DEP_1)
	v_or3_b32 v36, v38, v36, v39
	v_cndmask_b32_e32 v27, 0, v36, vcc_lo
.LBB6_14395:                            ;   in Loop: Header=BB6_12675 Depth=3
	s_or_b32 exec_lo, exec_lo, s30
.LBB6_14396:                            ;   in Loop: Header=BB6_12675 Depth=3
	s_delay_alu instid0(SALU_CYCLE_1) | instskip(SKIP_3) | instid1(VALU_DEP_1)
	s_or_b32 exec_lo, exec_lo, s17
	v_and_b32_e32 v37, 0xff, v163
	s_mov_b32 s13, 0
	s_mov_b32 s30, exec_lo
                                        ; implicit-def: $sgpr17
	v_cmpx_lt_i16_e32 0x7f, v37
	s_xor_b32 s30, exec_lo, s30
	s_cbranch_execnz .LBB6_15202
; %bb.14397:                            ;   in Loop: Header=BB6_12675 Depth=3
	s_or_saveexec_b32 s30, s30
	v_mov_b32_e32 v36, s17
	s_xor_b32 exec_lo, exec_lo, s30
	s_cbranch_execnz .LBB6_15205
.LBB6_14398:                            ;   in Loop: Header=BB6_12675 Depth=3
	s_or_b32 exec_lo, exec_lo, s30
	s_and_saveexec_b32 s17, s13
	s_cbranch_execz .LBB6_14400
.LBB6_14399:                            ;   in Loop: Header=BB6_12675 Depth=3
	v_lshlrev_b32_e32 v36, 8, v163
	s_delay_alu instid0(VALU_DEP_1) | instskip(SKIP_1) | instid1(VALU_DEP_2)
	v_and_b32_e32 v38, 0xff00, v36
	v_bfe_u32 v36, v36, 10, 5
	v_bfe_u32 v39, v38, 8, 2
	s_delay_alu instid0(VALU_DEP_2) | instskip(SKIP_1) | instid1(VALU_DEP_3)
	v_cmp_eq_u32_e32 vcc_lo, 0, v36
	v_lshlrev_b32_e32 v38, 16, v38
	v_clz_i32_u32_e32 v48, v39
	s_delay_alu instid0(VALU_DEP_2) | instskip(NEXT) | instid1(VALU_DEP_2)
	v_and_b32_e32 v38, 0x80000000, v38
	v_min_u32_e32 v48, 32, v48
	s_delay_alu instid0(VALU_DEP_1) | instskip(SKIP_1) | instid1(VALU_DEP_1)
	v_subrev_nc_u32_e32 v49, 29, v48
	v_sub_nc_u32_e32 v48, 30, v48
	v_dual_cndmask_b32 v36, v36, v48 :: v_dual_lshlrev_b32 v37, v49, v37
	s_delay_alu instid0(VALU_DEP_1) | instskip(NEXT) | instid1(VALU_DEP_2)
	v_and_b32_e32 v37, 3, v37
	v_lshl_add_u32 v36, v36, 23, 0x37800000
	s_delay_alu instid0(VALU_DEP_2) | instskip(NEXT) | instid1(VALU_DEP_1)
	v_cndmask_b32_e32 v37, v39, v37, vcc_lo
	v_lshlrev_b32_e32 v37, 21, v37
	s_delay_alu instid0(VALU_DEP_1)
	v_or3_b32 v36, v38, v36, v37
.LBB6_14400:                            ;   in Loop: Header=BB6_12675 Depth=3
	s_or_b32 exec_lo, exec_lo, s17
	v_lshrrev_b32_e32 v37, 24, v10
	s_mov_b32 s13, 0
	s_mov_b32 s30, exec_lo
                                        ; implicit-def: $sgpr17
	s_delay_alu instid0(VALU_DEP_1)
	v_cmpx_lt_i16_e32 0x7f, v37
	s_xor_b32 s30, exec_lo, s30
	s_cbranch_execnz .LBB6_15206
; %bb.14401:                            ;   in Loop: Header=BB6_12675 Depth=3
	s_or_saveexec_b32 s30, s30
	v_mov_b32_e32 v38, s17
	s_xor_b32 exec_lo, exec_lo, s30
	s_cbranch_execnz .LBB6_15209
.LBB6_14402:                            ;   in Loop: Header=BB6_12675 Depth=3
	s_or_b32 exec_lo, exec_lo, s30
	s_and_saveexec_b32 s17, s13
	s_cbranch_execz .LBB6_14404
.LBB6_14403:                            ;   in Loop: Header=BB6_12675 Depth=3
	v_bfe_u32 v38, v10, 24, 2
	s_delay_alu instid0(VALU_DEP_1) | instskip(NEXT) | instid1(VALU_DEP_1)
	v_clz_i32_u32_e32 v39, v38
	v_min_u32_e32 v39, 32, v39
	s_delay_alu instid0(VALU_DEP_1) | instskip(SKIP_1) | instid1(VALU_DEP_2)
	v_subrev_nc_u32_e32 v48, 29, v39
	v_sub_nc_u32_e32 v39, 30, v39
	v_lshlrev_b32_e32 v37, v48, v37
	v_bfe_u32 v48, v10, 26, 5
	v_and_b32_e32 v10, 0x80000000, v10
	s_delay_alu instid0(VALU_DEP_3) | instskip(NEXT) | instid1(VALU_DEP_3)
	v_and_b32_e32 v37, 3, v37
	v_cmp_eq_u32_e32 vcc_lo, 0, v48
	v_cndmask_b32_e32 v39, v48, v39, vcc_lo
	s_delay_alu instid0(VALU_DEP_3) | instskip(NEXT) | instid1(VALU_DEP_2)
	v_cndmask_b32_e32 v37, v38, v37, vcc_lo
	v_lshl_add_u32 v38, v39, 23, 0x37800000
	s_delay_alu instid0(VALU_DEP_2) | instskip(NEXT) | instid1(VALU_DEP_1)
	v_lshlrev_b32_e32 v37, 21, v37
	v_or3_b32 v38, v10, v38, v37
.LBB6_14404:                            ;   in Loop: Header=BB6_12675 Depth=3
	s_or_b32 exec_lo, exec_lo, s17
	s_delay_alu instid0(VALU_DEP_1) | instskip(NEXT) | instid1(VALU_DEP_1)
	v_add_f32_e32 v36, v36, v38
	v_and_b32_e32 v10, 0x7f800000, v36
	s_delay_alu instid0(VALU_DEP_1)
	v_cmp_ne_u32_e32 vcc_lo, 0x7f800000, v10
	v_mov_b32_e32 v10, 0x80
	s_and_saveexec_b32 s17, vcc_lo
	s_cbranch_execz .LBB6_14412
; %bb.14405:                            ;   in Loop: Header=BB6_12675 Depth=3
	v_mov_b32_e32 v10, 0
	s_mov_b32 s30, exec_lo
	v_cmpx_ne_u32_e32 0, v36
	s_cbranch_execz .LBB6_14411
; %bb.14406:                            ;   in Loop: Header=BB6_12675 Depth=3
	v_bfe_u32 v10, v36, 23, 8
	s_delay_alu instid0(VALU_DEP_1) | instskip(SKIP_1) | instid1(VALU_DEP_2)
	v_sub_nc_u32_e32 v38, 0x70, v10
	v_cmp_gt_u32_e32 vcc_lo, 0x71, v10
	v_dual_cndmask_b32 v38, 0, v38 :: v_dual_and_b32 v37, 0x7fffff, v36
	s_delay_alu instid0(VALU_DEP_1) | instskip(SKIP_2) | instid1(VALU_DEP_4)
	v_or_b32_e32 v39, 0x800000, v37
	v_cmp_eq_u32_e32 vcc_lo, 0, v10
	v_add_nc_u32_e32 v10, 0xffffff91, v10
	v_cndmask_b32_e64 v38, v38, 0x6f, vcc_lo
	s_delay_alu instid0(VALU_DEP_4) | instskip(NEXT) | instid1(VALU_DEP_3)
	v_cndmask_b32_e32 v37, v39, v37, vcc_lo
	v_cndmask_b32_e64 v10, v10, 0xffffff92, vcc_lo
	s_delay_alu instid0(VALU_DEP_3) | instskip(NEXT) | instid1(VALU_DEP_3)
	v_lshl_add_u32 v39, 0x200000, v38, -1
	v_lshrrev_b32_e32 v48, v38, v37
	v_lshlrev_b32_e64 v50, v38, 0x100000
	s_delay_alu instid0(VALU_DEP_4) | instskip(NEXT) | instid1(VALU_DEP_4)
	v_add_nc_u32_e32 v38, v38, v10
	v_and_b32_e32 v37, v39, v37
	s_delay_alu instid0(VALU_DEP_4) | instskip(NEXT) | instid1(VALU_DEP_2)
	v_bfe_u32 v49, v48, 21, 1
	v_cmp_eq_u32_e64 s13, v37, v50
	s_delay_alu instid0(VALU_DEP_2) | instskip(NEXT) | instid1(VALU_DEP_1)
	v_add_nc_u32_e32 v39, -1, v49
	v_cndmask_b32_e64 v37, 0, v39, s13
	v_lshrrev_b32_e32 v39, 23, v48
	s_mov_b32 s13, exec_lo
	s_delay_alu instid0(VALU_DEP_2) | instskip(NEXT) | instid1(VALU_DEP_2)
	v_add_nc_u32_e32 v37, v37, v48
	v_xor_b32_e32 v39, 1, v39
	s_delay_alu instid0(VALU_DEP_2) | instskip(NEXT) | instid1(VALU_DEP_1)
	v_and_b32_e32 v10, 0x1fffff, v37
	v_add_nc_u32_e32 v37, v10, v48
                                        ; implicit-def: $vgpr10
	s_delay_alu instid0(VALU_DEP_3)
	v_cmpx_ne_u32_e64 v38, v39
	s_xor_b32 s13, exec_lo, s13
; %bb.14407:                            ;   in Loop: Header=BB6_12675 Depth=3
	s_delay_alu instid0(VALU_DEP_2) | instskip(SKIP_2) | instid1(VALU_DEP_2)
	v_cmp_lt_u32_e32 vcc_lo, 0xffffff, v37
	v_sub_nc_u32_e32 v10, v38, v39
	v_cndmask_b32_e64 v38, 0, 1, vcc_lo
	v_add_co_ci_u32_e32 v10, vcc_lo, 0, v10, vcc_lo
	s_delay_alu instid0(VALU_DEP_2)
	v_lshrrev_b32_e32 v37, v38, v37
; %bb.14408:                            ;   in Loop: Header=BB6_12675 Depth=3
	s_and_not1_saveexec_b32 s13, s13
; %bb.14409:                            ;   in Loop: Header=BB6_12675 Depth=3
	s_delay_alu instid0(VALU_DEP_1)
	v_bfe_u32 v10, v37, 23, 1
; %bb.14410:                            ;   in Loop: Header=BB6_12675 Depth=3
	s_or_b32 exec_lo, exec_lo, s13
	v_lshrrev_b32_e32 v37, 21, v37
	s_delay_alu instid0(VALU_DEP_2) | instskip(SKIP_2) | instid1(VALU_DEP_2)
	v_cmp_gt_i32_e32 vcc_lo, 32, v10
	v_lshrrev_b32_e32 v36, 24, v36
	v_min_i32_e32 v38, 31, v10
	v_dual_cndmask_b32 v37, 3, v37 :: v_dual_and_b32 v36, 0x80, v36
	s_delay_alu instid0(VALU_DEP_2) | instskip(NEXT) | instid1(VALU_DEP_2)
	v_lshlrev_b32_e32 v38, 2, v38
	v_or_b32_e32 v10, v10, v37
	s_delay_alu instid0(VALU_DEP_1) | instskip(SKIP_1) | instid1(VALU_DEP_1)
	v_cmp_ne_u32_e32 vcc_lo, 0, v10
	v_and_b32_e32 v39, 3, v37
	v_or3_b32 v36, v38, v36, v39
	s_delay_alu instid0(VALU_DEP_1)
	v_cndmask_b32_e32 v10, 0, v36, vcc_lo
.LBB6_14411:                            ;   in Loop: Header=BB6_12675 Depth=3
	s_or_b32 exec_lo, exec_lo, s30
.LBB6_14412:                            ;   in Loop: Header=BB6_12675 Depth=3
	s_delay_alu instid0(SALU_CYCLE_1) | instskip(SKIP_3) | instid1(VALU_DEP_1)
	s_or_b32 exec_lo, exec_lo, s17
	v_or_b32_e32 v38, v167, v162
	s_mov_b32 s13, 0
	s_mov_b32 s30, exec_lo
                                        ; implicit-def: $sgpr17
	v_and_b32_e32 v37, 0xff, v38
	s_delay_alu instid0(VALU_DEP_1)
	v_cmpx_lt_i16_e32 0x7f, v37
	s_xor_b32 s30, exec_lo, s30
	s_cbranch_execnz .LBB6_15210
; %bb.14413:                            ;   in Loop: Header=BB6_12675 Depth=3
	s_or_saveexec_b32 s30, s30
	v_mov_b32_e32 v36, s17
	s_xor_b32 exec_lo, exec_lo, s30
	s_cbranch_execnz .LBB6_15213
.LBB6_14414:                            ;   in Loop: Header=BB6_12675 Depth=3
	s_or_b32 exec_lo, exec_lo, s30
	s_and_saveexec_b32 s17, s13
	s_cbranch_execz .LBB6_14416
.LBB6_14415:                            ;   in Loop: Header=BB6_12675 Depth=3
	v_bfe_u32 v48, v38, 2, 5
	s_delay_alu instid0(VALU_DEP_1) | instskip(SKIP_1) | instid1(VALU_DEP_1)
	v_cmp_eq_u32_e32 vcc_lo, 0, v48
	v_and_b32_e32 v36, 3, v38
	v_clz_i32_u32_e32 v37, v36
	s_delay_alu instid0(VALU_DEP_1) | instskip(NEXT) | instid1(VALU_DEP_1)
	v_min_u32_e32 v37, 32, v37
	v_subrev_nc_u32_e32 v39, 29, v37
	v_sub_nc_u32_e32 v37, 30, v37
	s_delay_alu instid0(VALU_DEP_2) | instskip(NEXT) | instid1(VALU_DEP_2)
	v_lshlrev_b32_e32 v39, v39, v38
	v_cndmask_b32_e32 v37, v48, v37, vcc_lo
	s_delay_alu instid0(VALU_DEP_2) | instskip(SKIP_1) | instid1(VALU_DEP_3)
	v_and_b32_e32 v39, 3, v39
	v_lshlrev_b32_e32 v49, 24, v38
	v_lshl_add_u32 v37, v37, 23, 0x37800000
	s_delay_alu instid0(VALU_DEP_2) | instskip(NEXT) | instid1(VALU_DEP_1)
	v_dual_cndmask_b32 v36, v36, v39 :: v_dual_and_b32 v39, 0x80000000, v49
	v_lshlrev_b32_e32 v36, 21, v36
	s_delay_alu instid0(VALU_DEP_1)
	v_or3_b32 v36, v39, v37, v36
.LBB6_14416:                            ;   in Loop: Header=BB6_12675 Depth=3
	s_or_b32 exec_lo, exec_lo, s17
	v_and_b32_e32 v39, 0xff, v11
	s_mov_b32 s13, 0
	s_mov_b32 s30, exec_lo
                                        ; implicit-def: $sgpr17
	s_delay_alu instid0(VALU_DEP_1)
	v_cmpx_lt_i16_e32 0x7f, v39
	s_xor_b32 s30, exec_lo, s30
	s_cbranch_execnz .LBB6_15214
; %bb.14417:                            ;   in Loop: Header=BB6_12675 Depth=3
	s_or_saveexec_b32 s30, s30
	v_mov_b32_e32 v37, s17
	s_xor_b32 exec_lo, exec_lo, s30
	s_cbranch_execnz .LBB6_15217
.LBB6_14418:                            ;   in Loop: Header=BB6_12675 Depth=3
	s_or_b32 exec_lo, exec_lo, s30
	s_and_saveexec_b32 s17, s13
	s_cbranch_execz .LBB6_14420
.LBB6_14419:                            ;   in Loop: Header=BB6_12675 Depth=3
	v_and_b32_e32 v37, 3, v11
	v_bfe_u32 v49, v11, 2, 5
	s_delay_alu instid0(VALU_DEP_2) | instskip(NEXT) | instid1(VALU_DEP_2)
	v_clz_i32_u32_e32 v39, v37
	v_cmp_eq_u32_e32 vcc_lo, 0, v49
	s_delay_alu instid0(VALU_DEP_2) | instskip(NEXT) | instid1(VALU_DEP_1)
	v_min_u32_e32 v39, 32, v39
	v_subrev_nc_u32_e32 v48, 29, v39
	v_sub_nc_u32_e32 v39, 30, v39
	s_delay_alu instid0(VALU_DEP_2) | instskip(NEXT) | instid1(VALU_DEP_1)
	v_lshlrev_b32_e32 v48, v48, v11
	v_dual_cndmask_b32 v39, v49, v39 :: v_dual_and_b32 v48, 3, v48
	v_lshlrev_b32_e32 v50, 24, v11
	s_delay_alu instid0(VALU_DEP_2) | instskip(NEXT) | instid1(VALU_DEP_2)
	v_lshl_add_u32 v39, v39, 23, 0x37800000
	v_dual_cndmask_b32 v37, v37, v48 :: v_dual_and_b32 v48, 0x80000000, v50
	s_delay_alu instid0(VALU_DEP_1) | instskip(NEXT) | instid1(VALU_DEP_1)
	v_lshlrev_b32_e32 v37, 21, v37
	v_or3_b32 v37, v48, v39, v37
.LBB6_14420:                            ;   in Loop: Header=BB6_12675 Depth=3
	s_or_b32 exec_lo, exec_lo, s17
	s_delay_alu instid0(VALU_DEP_1) | instskip(NEXT) | instid1(VALU_DEP_1)
	v_add_f32_e32 v37, v36, v37
	v_and_b32_e32 v36, 0x7f800000, v37
	s_delay_alu instid0(VALU_DEP_1)
	v_cmp_ne_u32_e32 vcc_lo, 0x7f800000, v36
	v_mov_b32_e32 v36, 0x80
	s_and_saveexec_b32 s17, vcc_lo
	s_cbranch_execz .LBB6_14428
; %bb.14421:                            ;   in Loop: Header=BB6_12675 Depth=3
	v_mov_b32_e32 v36, 0
	s_mov_b32 s30, exec_lo
	v_cmpx_ne_u32_e32 0, v37
	s_cbranch_execz .LBB6_14427
; %bb.14422:                            ;   in Loop: Header=BB6_12675 Depth=3
	v_bfe_u32 v36, v37, 23, 8
	s_delay_alu instid0(VALU_DEP_1) | instskip(SKIP_1) | instid1(VALU_DEP_2)
	v_sub_nc_u32_e32 v48, 0x70, v36
	v_cmp_gt_u32_e32 vcc_lo, 0x71, v36
	v_dual_cndmask_b32 v48, 0, v48 :: v_dual_and_b32 v39, 0x7fffff, v37
	s_delay_alu instid0(VALU_DEP_1) | instskip(SKIP_2) | instid1(VALU_DEP_4)
	v_or_b32_e32 v49, 0x800000, v39
	v_cmp_eq_u32_e32 vcc_lo, 0, v36
	v_add_nc_u32_e32 v36, 0xffffff91, v36
	v_cndmask_b32_e64 v48, v48, 0x6f, vcc_lo
	s_delay_alu instid0(VALU_DEP_4) | instskip(NEXT) | instid1(VALU_DEP_3)
	v_cndmask_b32_e32 v39, v49, v39, vcc_lo
	v_cndmask_b32_e64 v36, v36, 0xffffff92, vcc_lo
	s_delay_alu instid0(VALU_DEP_3) | instskip(NEXT) | instid1(VALU_DEP_3)
	v_lshl_add_u32 v49, 0x200000, v48, -1
	v_lshrrev_b32_e32 v50, v48, v39
	v_lshlrev_b32_e64 v53, v48, 0x100000
	s_delay_alu instid0(VALU_DEP_4) | instskip(NEXT) | instid1(VALU_DEP_4)
	v_add_nc_u32_e32 v48, v48, v36
	v_and_b32_e32 v39, v49, v39
	s_delay_alu instid0(VALU_DEP_4) | instskip(NEXT) | instid1(VALU_DEP_2)
	v_bfe_u32 v51, v50, 21, 1
	v_cmp_eq_u32_e64 s13, v39, v53
	s_delay_alu instid0(VALU_DEP_2) | instskip(NEXT) | instid1(VALU_DEP_1)
	v_add_nc_u32_e32 v49, -1, v51
	v_cndmask_b32_e64 v39, 0, v49, s13
	v_lshrrev_b32_e32 v49, 23, v50
	s_mov_b32 s13, exec_lo
	s_delay_alu instid0(VALU_DEP_2) | instskip(NEXT) | instid1(VALU_DEP_2)
	v_add_nc_u32_e32 v39, v39, v50
	v_xor_b32_e32 v49, 1, v49
	s_delay_alu instid0(VALU_DEP_2) | instskip(NEXT) | instid1(VALU_DEP_1)
	v_and_b32_e32 v36, 0x1fffff, v39
	v_add_nc_u32_e32 v39, v36, v50
                                        ; implicit-def: $vgpr36
	s_delay_alu instid0(VALU_DEP_3)
	v_cmpx_ne_u32_e64 v48, v49
	s_xor_b32 s13, exec_lo, s13
; %bb.14423:                            ;   in Loop: Header=BB6_12675 Depth=3
	s_delay_alu instid0(VALU_DEP_2) | instskip(SKIP_2) | instid1(VALU_DEP_2)
	v_cmp_lt_u32_e32 vcc_lo, 0xffffff, v39
	v_sub_nc_u32_e32 v36, v48, v49
	v_cndmask_b32_e64 v48, 0, 1, vcc_lo
	v_add_co_ci_u32_e32 v36, vcc_lo, 0, v36, vcc_lo
	s_delay_alu instid0(VALU_DEP_2)
	v_lshrrev_b32_e32 v39, v48, v39
; %bb.14424:                            ;   in Loop: Header=BB6_12675 Depth=3
	s_and_not1_saveexec_b32 s13, s13
; %bb.14425:                            ;   in Loop: Header=BB6_12675 Depth=3
	s_delay_alu instid0(VALU_DEP_1)
	v_bfe_u32 v36, v39, 23, 1
; %bb.14426:                            ;   in Loop: Header=BB6_12675 Depth=3
	s_or_b32 exec_lo, exec_lo, s13
	v_lshrrev_b32_e32 v39, 21, v39
	s_delay_alu instid0(VALU_DEP_2) | instskip(SKIP_2) | instid1(VALU_DEP_2)
	v_cmp_gt_i32_e32 vcc_lo, 32, v36
	v_min_i32_e32 v48, 31, v36
	v_lshrrev_b32_e32 v37, 24, v37
	v_dual_cndmask_b32 v39, 3, v39 :: v_dual_lshlrev_b32 v48, 2, v48
	s_delay_alu instid0(VALU_DEP_2) | instskip(NEXT) | instid1(VALU_DEP_2)
	v_and_b32_e32 v37, 0x80, v37
	v_or_b32_e32 v36, v36, v39
	s_delay_alu instid0(VALU_DEP_1) | instskip(SKIP_1) | instid1(VALU_DEP_1)
	v_cmp_ne_u32_e32 vcc_lo, 0, v36
	v_and_b32_e32 v49, 3, v39
	v_or3_b32 v37, v48, v37, v49
	s_delay_alu instid0(VALU_DEP_1)
	v_cndmask_b32_e32 v36, 0, v37, vcc_lo
.LBB6_14427:                            ;   in Loop: Header=BB6_12675 Depth=3
	s_or_b32 exec_lo, exec_lo, s30
.LBB6_14428:                            ;   in Loop: Header=BB6_12675 Depth=3
	s_delay_alu instid0(SALU_CYCLE_1) | instskip(SKIP_3) | instid1(VALU_DEP_1)
	s_or_b32 exec_lo, exec_lo, s17
	v_lshrrev_b16 v39, 8, v38
	s_mov_b32 s13, 0
	s_mov_b32 s30, exec_lo
                                        ; implicit-def: $sgpr17
	v_cmpx_lt_i16_e32 0x7f, v39
	s_xor_b32 s30, exec_lo, s30
	s_cbranch_execnz .LBB6_15218
; %bb.14429:                            ;   in Loop: Header=BB6_12675 Depth=3
	s_or_saveexec_b32 s30, s30
	v_mov_b32_e32 v37, s17
	s_xor_b32 exec_lo, exec_lo, s30
	s_cbranch_execnz .LBB6_15221
.LBB6_14430:                            ;   in Loop: Header=BB6_12675 Depth=3
	s_or_b32 exec_lo, exec_lo, s30
	s_and_saveexec_b32 s17, s13
	s_cbranch_execz .LBB6_14432
.LBB6_14431:                            ;   in Loop: Header=BB6_12675 Depth=3
	v_and_b32_e32 v37, 0xffff, v39
	v_lshlrev_b32_e32 v39, 24, v39
	s_delay_alu instid0(VALU_DEP_2) | instskip(NEXT) | instid1(VALU_DEP_2)
	v_and_b32_e32 v48, 3, v37
	v_and_b32_e32 v39, 0x80000000, v39
	s_delay_alu instid0(VALU_DEP_2) | instskip(NEXT) | instid1(VALU_DEP_1)
	v_clz_i32_u32_e32 v49, v48
	v_min_u32_e32 v49, 32, v49
	s_delay_alu instid0(VALU_DEP_1) | instskip(SKIP_1) | instid1(VALU_DEP_2)
	v_subrev_nc_u32_e32 v50, 29, v49
	v_sub_nc_u32_e32 v49, 30, v49
	v_lshlrev_b32_e32 v50, v50, v37
	v_bfe_u32 v37, v37, 2, 5
	s_delay_alu instid0(VALU_DEP_1) | instskip(NEXT) | instid1(VALU_DEP_3)
	v_cmp_eq_u32_e32 vcc_lo, 0, v37
	v_dual_cndmask_b32 v37, v37, v49 :: v_dual_and_b32 v50, 3, v50
	s_delay_alu instid0(VALU_DEP_1) | instskip(NEXT) | instid1(VALU_DEP_2)
	v_cndmask_b32_e32 v48, v48, v50, vcc_lo
	v_lshl_add_u32 v37, v37, 23, 0x37800000
	s_delay_alu instid0(VALU_DEP_2) | instskip(NEXT) | instid1(VALU_DEP_1)
	v_lshlrev_b32_e32 v48, 21, v48
	v_or3_b32 v37, v39, v37, v48
.LBB6_14432:                            ;   in Loop: Header=BB6_12675 Depth=3
	s_or_b32 exec_lo, exec_lo, s17
	v_lshrrev_b16 v39, 8, v11
	s_mov_b32 s13, 0
	s_mov_b32 s30, exec_lo
                                        ; implicit-def: $sgpr17
	s_delay_alu instid0(VALU_DEP_1)
	v_cmpx_lt_i16_e32 0x7f, v39
	s_xor_b32 s30, exec_lo, s30
	s_cbranch_execnz .LBB6_15222
; %bb.14433:                            ;   in Loop: Header=BB6_12675 Depth=3
	s_or_saveexec_b32 s30, s30
	v_mov_b32_e32 v48, s17
	s_xor_b32 exec_lo, exec_lo, s30
	s_cbranch_execnz .LBB6_15225
.LBB6_14434:                            ;   in Loop: Header=BB6_12675 Depth=3
	s_or_b32 exec_lo, exec_lo, s30
	s_and_saveexec_b32 s17, s13
	s_cbranch_execz .LBB6_14436
.LBB6_14435:                            ;   in Loop: Header=BB6_12675 Depth=3
	v_and_b32_e32 v48, 0xffff, v39
	v_lshlrev_b32_e32 v39, 24, v39
	s_delay_alu instid0(VALU_DEP_2) | instskip(NEXT) | instid1(VALU_DEP_2)
	v_and_b32_e32 v49, 3, v48
	v_and_b32_e32 v39, 0x80000000, v39
	s_delay_alu instid0(VALU_DEP_2) | instskip(NEXT) | instid1(VALU_DEP_1)
	v_clz_i32_u32_e32 v50, v49
	v_min_u32_e32 v50, 32, v50
	s_delay_alu instid0(VALU_DEP_1) | instskip(SKIP_1) | instid1(VALU_DEP_2)
	v_subrev_nc_u32_e32 v51, 29, v50
	v_sub_nc_u32_e32 v50, 30, v50
	v_lshlrev_b32_e32 v51, v51, v48
	v_bfe_u32 v48, v48, 2, 5
	s_delay_alu instid0(VALU_DEP_2) | instskip(NEXT) | instid1(VALU_DEP_2)
	v_and_b32_e32 v51, 3, v51
	v_cmp_eq_u32_e32 vcc_lo, 0, v48
	s_delay_alu instid0(VALU_DEP_2) | instskip(NEXT) | instid1(VALU_DEP_1)
	v_dual_cndmask_b32 v48, v48, v50 :: v_dual_cndmask_b32 v49, v49, v51
	v_lshl_add_u32 v48, v48, 23, 0x37800000
	s_delay_alu instid0(VALU_DEP_2) | instskip(NEXT) | instid1(VALU_DEP_1)
	v_lshlrev_b32_e32 v49, 21, v49
	v_or3_b32 v48, v39, v48, v49
.LBB6_14436:                            ;   in Loop: Header=BB6_12675 Depth=3
	s_or_b32 exec_lo, exec_lo, s17
	s_delay_alu instid0(VALU_DEP_1) | instskip(NEXT) | instid1(VALU_DEP_1)
	v_add_f32_e32 v39, v37, v48
	v_and_b32_e32 v37, 0x7f800000, v39
	s_delay_alu instid0(VALU_DEP_1)
	v_cmp_ne_u32_e32 vcc_lo, 0x7f800000, v37
	v_mov_b32_e32 v37, 0x8000
	s_and_saveexec_b32 s17, vcc_lo
	s_cbranch_execz .LBB6_14444
; %bb.14437:                            ;   in Loop: Header=BB6_12675 Depth=3
	v_mov_b32_e32 v37, 0
	s_mov_b32 s30, exec_lo
	v_cmpx_ne_u32_e32 0, v39
	s_cbranch_execz .LBB6_14443
; %bb.14438:                            ;   in Loop: Header=BB6_12675 Depth=3
	v_bfe_u32 v37, v39, 23, 8
	s_delay_alu instid0(VALU_DEP_1) | instskip(SKIP_1) | instid1(VALU_DEP_2)
	v_sub_nc_u32_e32 v49, 0x70, v37
	v_cmp_gt_u32_e32 vcc_lo, 0x71, v37
	v_dual_cndmask_b32 v49, 0, v49 :: v_dual_and_b32 v48, 0x7fffff, v39
	s_delay_alu instid0(VALU_DEP_1) | instskip(SKIP_2) | instid1(VALU_DEP_4)
	v_or_b32_e32 v50, 0x800000, v48
	v_cmp_eq_u32_e32 vcc_lo, 0, v37
	v_add_nc_u32_e32 v37, 0xffffff91, v37
	v_cndmask_b32_e64 v49, v49, 0x6f, vcc_lo
	s_delay_alu instid0(VALU_DEP_4) | instskip(NEXT) | instid1(VALU_DEP_3)
	v_cndmask_b32_e32 v48, v50, v48, vcc_lo
	v_cndmask_b32_e64 v37, v37, 0xffffff92, vcc_lo
	s_delay_alu instid0(VALU_DEP_3) | instskip(NEXT) | instid1(VALU_DEP_3)
	v_lshl_add_u32 v51, 0x200000, v49, -1
	v_lshrrev_b32_e32 v50, v49, v48
	v_lshlrev_b32_e64 v54, v49, 0x100000
	s_delay_alu instid0(VALU_DEP_4) | instskip(NEXT) | instid1(VALU_DEP_4)
	v_add_nc_u32_e32 v49, v49, v37
	v_and_b32_e32 v48, v51, v48
	s_delay_alu instid0(VALU_DEP_4) | instskip(NEXT) | instid1(VALU_DEP_2)
	v_bfe_u32 v53, v50, 21, 1
	v_cmp_eq_u32_e64 s13, v48, v54
	s_delay_alu instid0(VALU_DEP_2) | instskip(NEXT) | instid1(VALU_DEP_1)
	v_add_nc_u32_e32 v51, -1, v53
	v_cndmask_b32_e64 v48, 0, v51, s13
	v_lshrrev_b32_e32 v51, 23, v50
	s_mov_b32 s13, exec_lo
	s_delay_alu instid0(VALU_DEP_2) | instskip(NEXT) | instid1(VALU_DEP_2)
	v_add_nc_u32_e32 v48, v48, v50
	v_xor_b32_e32 v53, 1, v51
	s_delay_alu instid0(VALU_DEP_2) | instskip(NEXT) | instid1(VALU_DEP_1)
	v_and_b32_e32 v37, 0x1fffff, v48
	v_add_nc_u32_e32 v48, v37, v50
                                        ; implicit-def: $vgpr37
	s_delay_alu instid0(VALU_DEP_3)
	v_cmpx_ne_u32_e64 v49, v53
	s_xor_b32 s13, exec_lo, s13
; %bb.14439:                            ;   in Loop: Header=BB6_12675 Depth=3
	s_delay_alu instid0(VALU_DEP_2) | instskip(SKIP_2) | instid1(VALU_DEP_2)
	v_cmp_lt_u32_e32 vcc_lo, 0xffffff, v48
	v_sub_nc_u32_e32 v37, v49, v53
	v_cndmask_b32_e64 v49, 0, 1, vcc_lo
	v_add_co_ci_u32_e32 v37, vcc_lo, 0, v37, vcc_lo
	s_delay_alu instid0(VALU_DEP_2)
	v_lshrrev_b32_e32 v48, v49, v48
; %bb.14440:                            ;   in Loop: Header=BB6_12675 Depth=3
	s_and_not1_saveexec_b32 s13, s13
; %bb.14441:                            ;   in Loop: Header=BB6_12675 Depth=3
	s_delay_alu instid0(VALU_DEP_1)
	v_bfe_u32 v37, v48, 23, 1
; %bb.14442:                            ;   in Loop: Header=BB6_12675 Depth=3
	s_or_b32 exec_lo, exec_lo, s13
	v_lshrrev_b32_e32 v48, 21, v48
	s_delay_alu instid0(VALU_DEP_2) | instskip(SKIP_2) | instid1(VALU_DEP_2)
	v_cmp_gt_i32_e32 vcc_lo, 32, v37
	v_min_i32_e32 v49, 31, v37
	v_lshrrev_b32_e32 v39, 24, v39
	v_dual_cndmask_b32 v48, 3, v48 :: v_dual_lshlrev_b32 v49, 2, v49
	s_delay_alu instid0(VALU_DEP_2) | instskip(NEXT) | instid1(VALU_DEP_2)
	v_and_b32_e32 v39, 0x80, v39
	v_or_b32_e32 v37, v37, v48
	s_delay_alu instid0(VALU_DEP_3) | instskip(NEXT) | instid1(VALU_DEP_2)
	v_and_b32_e32 v49, 0xfc, v49
	v_cmp_ne_u32_e32 vcc_lo, 0, v37
	v_and_b32_e32 v50, 3, v48
	s_delay_alu instid0(VALU_DEP_1) | instskip(NEXT) | instid1(VALU_DEP_1)
	v_or3_b32 v39, v39, v49, v50
	v_lshlrev_b32_e32 v39, 8, v39
	s_delay_alu instid0(VALU_DEP_1)
	v_cndmask_b32_e32 v37, 0, v39, vcc_lo
.LBB6_14443:                            ;   in Loop: Header=BB6_12675 Depth=3
	s_or_b32 exec_lo, exec_lo, s30
.LBB6_14444:                            ;   in Loop: Header=BB6_12675 Depth=3
	s_delay_alu instid0(SALU_CYCLE_1) | instskip(SKIP_3) | instid1(VALU_DEP_1)
	s_or_b32 exec_lo, exec_lo, s17
	v_or_b32_e32 v39, v164, v160
	s_mov_b32 s13, 0
	s_mov_b32 s30, exec_lo
                                        ; implicit-def: $sgpr17
	v_and_b32_e32 v49, 0xff, v39
	s_delay_alu instid0(VALU_DEP_1)
	v_cmpx_lt_i16_e32 0x7f, v49
	s_xor_b32 s30, exec_lo, s30
	s_cbranch_execnz .LBB6_15226
; %bb.14445:                            ;   in Loop: Header=BB6_12675 Depth=3
	s_or_saveexec_b32 s30, s30
	v_mov_b32_e32 v48, s17
	s_xor_b32 exec_lo, exec_lo, s30
	s_cbranch_execnz .LBB6_15229
.LBB6_14446:                            ;   in Loop: Header=BB6_12675 Depth=3
	s_or_b32 exec_lo, exec_lo, s30
	v_lshl_or_b32 v39, v39, 16, v38
	s_and_saveexec_b32 s17, s13
	s_cbranch_execz .LBB6_14448
.LBB6_14447:                            ;   in Loop: Header=BB6_12675 Depth=3
	s_delay_alu instid0(VALU_DEP_1) | instskip(SKIP_1) | instid1(VALU_DEP_2)
	v_bfe_u32 v38, v39, 16, 2
	v_lshrrev_b32_e32 v49, 16, v39
	v_clz_i32_u32_e32 v48, v38
	s_delay_alu instid0(VALU_DEP_1) | instskip(NEXT) | instid1(VALU_DEP_1)
	v_min_u32_e32 v48, 32, v48
	v_subrev_nc_u32_e32 v50, 29, v48
	v_sub_nc_u32_e32 v48, 30, v48
	s_delay_alu instid0(VALU_DEP_2) | instskip(SKIP_1) | instid1(VALU_DEP_1)
	v_lshlrev_b32_e32 v49, v50, v49
	v_bfe_u32 v50, v39, 18, 5
	v_cmp_eq_u32_e32 vcc_lo, 0, v50
	s_delay_alu instid0(VALU_DEP_3) | instskip(NEXT) | instid1(VALU_DEP_1)
	v_dual_cndmask_b32 v48, v50, v48 :: v_dual_and_b32 v49, 3, v49
	v_dual_cndmask_b32 v38, v38, v49 :: v_dual_lshlrev_b32 v51, 8, v39
	s_delay_alu instid0(VALU_DEP_2) | instskip(NEXT) | instid1(VALU_DEP_2)
	v_lshl_add_u32 v48, v48, 23, 0x37800000
	v_and_b32_e32 v49, 0x80000000, v51
	s_delay_alu instid0(VALU_DEP_3) | instskip(NEXT) | instid1(VALU_DEP_1)
	v_lshlrev_b32_e32 v38, 21, v38
	v_or3_b32 v48, v49, v48, v38
.LBB6_14448:                            ;   in Loop: Header=BB6_12675 Depth=3
	s_or_b32 exec_lo, exec_lo, s17
	v_lshrrev_b32_e32 v38, 16, v11
	s_mov_b32 s13, 0
	s_mov_b32 s30, exec_lo
                                        ; implicit-def: $sgpr17
	s_delay_alu instid0(VALU_DEP_1) | instskip(NEXT) | instid1(VALU_DEP_1)
	v_and_b32_e32 v53, 0xff, v38
	v_cmpx_lt_i16_e32 0x7f, v53
	s_xor_b32 s30, exec_lo, s30
	s_cbranch_execnz .LBB6_15230
; %bb.14449:                            ;   in Loop: Header=BB6_12675 Depth=3
	s_or_saveexec_b32 s30, s30
	v_mov_b32_e32 v49, s17
	s_xor_b32 exec_lo, exec_lo, s30
	s_cbranch_execnz .LBB6_15233
.LBB6_14450:                            ;   in Loop: Header=BB6_12675 Depth=3
	s_or_b32 exec_lo, exec_lo, s30
	s_and_saveexec_b32 s17, s13
	s_cbranch_execz .LBB6_14452
.LBB6_14451:                            ;   in Loop: Header=BB6_12675 Depth=3
	v_bfe_u32 v49, v11, 16, 2
	s_delay_alu instid0(VALU_DEP_1) | instskip(NEXT) | instid1(VALU_DEP_1)
	v_clz_i32_u32_e32 v50, v49
	v_min_u32_e32 v50, 32, v50
	s_delay_alu instid0(VALU_DEP_1) | instskip(SKIP_1) | instid1(VALU_DEP_2)
	v_subrev_nc_u32_e32 v51, 29, v50
	v_sub_nc_u32_e32 v50, 30, v50
	v_lshlrev_b32_e32 v38, v51, v38
	v_bfe_u32 v51, v11, 18, 5
	s_delay_alu instid0(VALU_DEP_2) | instskip(NEXT) | instid1(VALU_DEP_2)
	v_and_b32_e32 v38, 3, v38
	v_cmp_eq_u32_e32 vcc_lo, 0, v51
	v_dual_cndmask_b32 v50, v51, v50 :: v_dual_lshlrev_b32 v53, 8, v11
	s_delay_alu instid0(VALU_DEP_1) | instskip(NEXT) | instid1(VALU_DEP_2)
	v_dual_cndmask_b32 v38, v49, v38 :: v_dual_and_b32 v49, 0x80000000, v53
	v_lshl_add_u32 v50, v50, 23, 0x37800000
	s_delay_alu instid0(VALU_DEP_2) | instskip(NEXT) | instid1(VALU_DEP_1)
	v_lshlrev_b32_e32 v38, 21, v38
	v_or3_b32 v49, v49, v50, v38
.LBB6_14452:                            ;   in Loop: Header=BB6_12675 Depth=3
	s_or_b32 exec_lo, exec_lo, s17
	s_delay_alu instid0(VALU_DEP_1) | instskip(NEXT) | instid1(VALU_DEP_1)
	v_add_f32_e32 v48, v48, v49
	v_and_b32_e32 v38, 0x7f800000, v48
	s_delay_alu instid0(VALU_DEP_1)
	v_cmp_ne_u32_e32 vcc_lo, 0x7f800000, v38
	v_mov_b32_e32 v38, 0x80
	s_and_saveexec_b32 s17, vcc_lo
	s_cbranch_execz .LBB6_14460
; %bb.14453:                            ;   in Loop: Header=BB6_12675 Depth=3
	v_mov_b32_e32 v38, 0
	s_mov_b32 s30, exec_lo
	v_cmpx_ne_u32_e32 0, v48
	s_cbranch_execz .LBB6_14459
; %bb.14454:                            ;   in Loop: Header=BB6_12675 Depth=3
	v_bfe_u32 v38, v48, 23, 8
	s_delay_alu instid0(VALU_DEP_1) | instskip(SKIP_1) | instid1(VALU_DEP_2)
	v_sub_nc_u32_e32 v50, 0x70, v38
	v_cmp_gt_u32_e32 vcc_lo, 0x71, v38
	v_dual_cndmask_b32 v50, 0, v50 :: v_dual_and_b32 v49, 0x7fffff, v48
	s_delay_alu instid0(VALU_DEP_1) | instskip(SKIP_2) | instid1(VALU_DEP_4)
	v_or_b32_e32 v51, 0x800000, v49
	v_cmp_eq_u32_e32 vcc_lo, 0, v38
	v_add_nc_u32_e32 v38, 0xffffff91, v38
	v_cndmask_b32_e64 v50, v50, 0x6f, vcc_lo
	s_delay_alu instid0(VALU_DEP_4) | instskip(NEXT) | instid1(VALU_DEP_3)
	v_cndmask_b32_e32 v49, v51, v49, vcc_lo
	v_cndmask_b32_e64 v38, v38, 0xffffff92, vcc_lo
	s_delay_alu instid0(VALU_DEP_3) | instskip(NEXT) | instid1(VALU_DEP_3)
	v_lshl_add_u32 v53, 0x200000, v50, -1
	v_lshrrev_b32_e32 v51, v50, v49
	v_lshlrev_b32_e64 v55, v50, 0x100000
	s_delay_alu instid0(VALU_DEP_3) | instskip(NEXT) | instid1(VALU_DEP_3)
	v_and_b32_e32 v49, v53, v49
	v_bfe_u32 v54, v51, 21, 1
	s_delay_alu instid0(VALU_DEP_2) | instskip(NEXT) | instid1(VALU_DEP_2)
	v_cmp_eq_u32_e64 s13, v49, v55
	v_add_nc_u32_e32 v53, -1, v54
	v_lshrrev_b32_e32 v54, 23, v51
	s_delay_alu instid0(VALU_DEP_2) | instskip(SKIP_1) | instid1(VALU_DEP_3)
	v_cndmask_b32_e64 v49, 0, v53, s13
	v_add_nc_u32_e32 v53, v50, v38
	v_xor_b32_e32 v54, 1, v54
	s_mov_b32 s13, exec_lo
	s_delay_alu instid0(VALU_DEP_3) | instskip(NEXT) | instid1(VALU_DEP_1)
	v_add_nc_u32_e32 v49, v49, v51
	v_and_b32_e32 v38, 0x1fffff, v49
	s_delay_alu instid0(VALU_DEP_1)
	v_add_nc_u32_e32 v49, v38, v51
                                        ; implicit-def: $vgpr38
	v_cmpx_ne_u32_e64 v53, v54
	s_xor_b32 s13, exec_lo, s13
; %bb.14455:                            ;   in Loop: Header=BB6_12675 Depth=3
	s_delay_alu instid0(VALU_DEP_2) | instskip(SKIP_2) | instid1(VALU_DEP_2)
	v_cmp_lt_u32_e32 vcc_lo, 0xffffff, v49
	v_sub_nc_u32_e32 v38, v53, v54
	v_cndmask_b32_e64 v50, 0, 1, vcc_lo
	v_add_co_ci_u32_e32 v38, vcc_lo, 0, v38, vcc_lo
	s_delay_alu instid0(VALU_DEP_2)
	v_lshrrev_b32_e32 v49, v50, v49
; %bb.14456:                            ;   in Loop: Header=BB6_12675 Depth=3
	s_and_not1_saveexec_b32 s13, s13
; %bb.14457:                            ;   in Loop: Header=BB6_12675 Depth=3
	s_delay_alu instid0(VALU_DEP_1)
	v_bfe_u32 v38, v49, 23, 1
; %bb.14458:                            ;   in Loop: Header=BB6_12675 Depth=3
	s_or_b32 exec_lo, exec_lo, s13
	v_lshrrev_b32_e32 v49, 21, v49
	s_delay_alu instid0(VALU_DEP_2) | instskip(SKIP_2) | instid1(VALU_DEP_2)
	v_cmp_gt_i32_e32 vcc_lo, 32, v38
	v_min_i32_e32 v50, 31, v38
	v_lshrrev_b32_e32 v48, 24, v48
	v_dual_cndmask_b32 v49, 3, v49 :: v_dual_lshlrev_b32 v50, 2, v50
	s_delay_alu instid0(VALU_DEP_2) | instskip(NEXT) | instid1(VALU_DEP_2)
	v_and_b32_e32 v48, 0x80, v48
	v_or_b32_e32 v38, v38, v49
	s_delay_alu instid0(VALU_DEP_3) | instskip(NEXT) | instid1(VALU_DEP_2)
	v_and_b32_e32 v50, 0xfc, v50
	v_cmp_ne_u32_e32 vcc_lo, 0, v38
	v_and_b32_e32 v51, 3, v49
	s_delay_alu instid0(VALU_DEP_1) | instskip(NEXT) | instid1(VALU_DEP_1)
	v_or3_b32 v48, v50, v48, v51
	v_cndmask_b32_e32 v38, 0, v48, vcc_lo
.LBB6_14459:                            ;   in Loop: Header=BB6_12675 Depth=3
	s_or_b32 exec_lo, exec_lo, s30
.LBB6_14460:                            ;   in Loop: Header=BB6_12675 Depth=3
	s_delay_alu instid0(SALU_CYCLE_1) | instskip(SKIP_3) | instid1(VALU_DEP_1)
	s_or_b32 exec_lo, exec_lo, s17
	v_lshrrev_b32_e32 v49, 24, v39
	s_mov_b32 s13, 0
	s_mov_b32 s30, exec_lo
                                        ; implicit-def: $sgpr17
	v_cmpx_lt_i16_e32 0x7f, v49
	s_xor_b32 s30, exec_lo, s30
	s_cbranch_execnz .LBB6_15234
; %bb.14461:                            ;   in Loop: Header=BB6_12675 Depth=3
	s_or_saveexec_b32 s30, s30
	v_mov_b32_e32 v48, s17
	s_xor_b32 exec_lo, exec_lo, s30
	s_cbranch_execnz .LBB6_15237
.LBB6_14462:                            ;   in Loop: Header=BB6_12675 Depth=3
	s_or_b32 exec_lo, exec_lo, s30
	s_and_saveexec_b32 s17, s13
	s_cbranch_execz .LBB6_14464
.LBB6_14463:                            ;   in Loop: Header=BB6_12675 Depth=3
	v_bfe_u32 v48, v39, 24, 2
	s_delay_alu instid0(VALU_DEP_1) | instskip(NEXT) | instid1(VALU_DEP_1)
	v_clz_i32_u32_e32 v50, v48
	v_min_u32_e32 v50, 32, v50
	s_delay_alu instid0(VALU_DEP_1) | instskip(SKIP_1) | instid1(VALU_DEP_2)
	v_subrev_nc_u32_e32 v51, 29, v50
	v_sub_nc_u32_e32 v50, 30, v50
	v_lshlrev_b32_e32 v49, v51, v49
	v_bfe_u32 v51, v39, 26, 5
	v_and_b32_e32 v39, 0x80000000, v39
	s_delay_alu instid0(VALU_DEP_2) | instskip(NEXT) | instid1(VALU_DEP_4)
	v_cmp_eq_u32_e32 vcc_lo, 0, v51
	v_dual_cndmask_b32 v50, v51, v50 :: v_dual_and_b32 v49, 3, v49
	s_delay_alu instid0(VALU_DEP_1) | instskip(NEXT) | instid1(VALU_DEP_2)
	v_cndmask_b32_e32 v48, v48, v49, vcc_lo
	v_lshl_add_u32 v49, v50, 23, 0x37800000
	s_delay_alu instid0(VALU_DEP_2) | instskip(NEXT) | instid1(VALU_DEP_1)
	v_lshlrev_b32_e32 v48, 21, v48
	v_or3_b32 v48, v39, v49, v48
.LBB6_14464:                            ;   in Loop: Header=BB6_12675 Depth=3
	s_or_b32 exec_lo, exec_lo, s17
	v_lshrrev_b32_e32 v39, 24, v11
	s_mov_b32 s13, 0
	s_mov_b32 s30, exec_lo
                                        ; implicit-def: $sgpr17
	s_delay_alu instid0(VALU_DEP_1)
	v_cmpx_lt_i16_e32 0x7f, v39
	s_xor_b32 s30, exec_lo, s30
	s_cbranch_execnz .LBB6_15238
; %bb.14465:                            ;   in Loop: Header=BB6_12675 Depth=3
	s_or_saveexec_b32 s30, s30
	v_mov_b32_e32 v49, s17
	s_xor_b32 exec_lo, exec_lo, s30
	s_cbranch_execnz .LBB6_15241
.LBB6_14466:                            ;   in Loop: Header=BB6_12675 Depth=3
	s_or_b32 exec_lo, exec_lo, s30
	s_and_saveexec_b32 s17, s13
	s_cbranch_execz .LBB6_14468
.LBB6_14467:                            ;   in Loop: Header=BB6_12675 Depth=3
	v_bfe_u32 v49, v11, 24, 2
	s_delay_alu instid0(VALU_DEP_1) | instskip(NEXT) | instid1(VALU_DEP_1)
	v_clz_i32_u32_e32 v50, v49
	v_min_u32_e32 v50, 32, v50
	s_delay_alu instid0(VALU_DEP_1) | instskip(SKIP_1) | instid1(VALU_DEP_2)
	v_subrev_nc_u32_e32 v51, 29, v50
	v_sub_nc_u32_e32 v50, 30, v50
	v_lshlrev_b32_e32 v39, v51, v39
	v_bfe_u32 v51, v11, 26, 5
	v_and_b32_e32 v11, 0x80000000, v11
	s_delay_alu instid0(VALU_DEP_2) | instskip(NEXT) | instid1(VALU_DEP_4)
	v_cmp_eq_u32_e32 vcc_lo, 0, v51
	v_dual_cndmask_b32 v50, v51, v50 :: v_dual_and_b32 v39, 3, v39
	s_delay_alu instid0(VALU_DEP_1) | instskip(NEXT) | instid1(VALU_DEP_2)
	v_cndmask_b32_e32 v39, v49, v39, vcc_lo
	v_lshl_add_u32 v49, v50, 23, 0x37800000
	s_delay_alu instid0(VALU_DEP_2) | instskip(NEXT) | instid1(VALU_DEP_1)
	v_lshlrev_b32_e32 v39, 21, v39
	v_or3_b32 v49, v11, v49, v39
.LBB6_14468:                            ;   in Loop: Header=BB6_12675 Depth=3
	s_or_b32 exec_lo, exec_lo, s17
	s_delay_alu instid0(VALU_DEP_1) | instskip(NEXT) | instid1(VALU_DEP_1)
	v_add_f32_e32 v39, v48, v49
	v_and_b32_e32 v11, 0x7f800000, v39
	s_delay_alu instid0(VALU_DEP_1)
	v_cmp_ne_u32_e32 vcc_lo, 0x7f800000, v11
	v_mov_b32_e32 v11, 0x8000
	s_and_saveexec_b32 s17, vcc_lo
	s_cbranch_execz .LBB6_12674
; %bb.14469:                            ;   in Loop: Header=BB6_12675 Depth=3
	v_mov_b32_e32 v11, 0
	s_mov_b32 s30, exec_lo
	v_cmpx_ne_u32_e32 0, v39
	s_cbranch_execz .LBB6_12673
; %bb.14470:                            ;   in Loop: Header=BB6_12675 Depth=3
	v_bfe_u32 v11, v39, 23, 8
	s_delay_alu instid0(VALU_DEP_1) | instskip(SKIP_1) | instid1(VALU_DEP_2)
	v_sub_nc_u32_e32 v49, 0x70, v11
	v_cmp_gt_u32_e32 vcc_lo, 0x71, v11
	v_dual_cndmask_b32 v49, 0, v49 :: v_dual_and_b32 v48, 0x7fffff, v39
	s_delay_alu instid0(VALU_DEP_1) | instskip(SKIP_2) | instid1(VALU_DEP_4)
	v_or_b32_e32 v50, 0x800000, v48
	v_cmp_eq_u32_e32 vcc_lo, 0, v11
	v_add_nc_u32_e32 v11, 0xffffff91, v11
	v_cndmask_b32_e64 v49, v49, 0x6f, vcc_lo
	s_delay_alu instid0(VALU_DEP_4) | instskip(NEXT) | instid1(VALU_DEP_3)
	v_cndmask_b32_e32 v48, v50, v48, vcc_lo
	v_cndmask_b32_e64 v11, v11, 0xffffff92, vcc_lo
	s_delay_alu instid0(VALU_DEP_3) | instskip(NEXT) | instid1(VALU_DEP_3)
	v_lshl_add_u32 v51, 0x200000, v49, -1
	v_lshrrev_b32_e32 v50, v49, v48
	v_lshlrev_b32_e64 v54, v49, 0x100000
	s_delay_alu instid0(VALU_DEP_4) | instskip(NEXT) | instid1(VALU_DEP_4)
	v_add_nc_u32_e32 v49, v49, v11
	v_and_b32_e32 v48, v51, v48
	s_delay_alu instid0(VALU_DEP_4) | instskip(NEXT) | instid1(VALU_DEP_2)
	v_bfe_u32 v53, v50, 21, 1
	v_cmp_eq_u32_e64 s13, v48, v54
	s_delay_alu instid0(VALU_DEP_2) | instskip(NEXT) | instid1(VALU_DEP_1)
	v_add_nc_u32_e32 v51, -1, v53
	v_cndmask_b32_e64 v48, 0, v51, s13
	v_lshrrev_b32_e32 v51, 23, v50
	s_mov_b32 s13, exec_lo
	s_delay_alu instid0(VALU_DEP_2) | instskip(NEXT) | instid1(VALU_DEP_2)
	v_add_nc_u32_e32 v48, v48, v50
	v_xor_b32_e32 v53, 1, v51
	s_delay_alu instid0(VALU_DEP_2) | instskip(NEXT) | instid1(VALU_DEP_1)
	v_and_b32_e32 v11, 0x1fffff, v48
	v_add_nc_u32_e32 v48, v11, v50
                                        ; implicit-def: $vgpr11
	s_delay_alu instid0(VALU_DEP_3)
	v_cmpx_ne_u32_e64 v49, v53
	s_xor_b32 s13, exec_lo, s13
; %bb.14471:                            ;   in Loop: Header=BB6_12675 Depth=3
	s_delay_alu instid0(VALU_DEP_2) | instskip(SKIP_2) | instid1(VALU_DEP_2)
	v_cmp_lt_u32_e32 vcc_lo, 0xffffff, v48
	v_sub_nc_u32_e32 v11, v49, v53
	v_cndmask_b32_e64 v49, 0, 1, vcc_lo
	v_add_co_ci_u32_e32 v11, vcc_lo, 0, v11, vcc_lo
	s_delay_alu instid0(VALU_DEP_2)
	v_lshrrev_b32_e32 v48, v49, v48
; %bb.14472:                            ;   in Loop: Header=BB6_12675 Depth=3
	s_and_not1_saveexec_b32 s13, s13
	s_cbranch_execz .LBB6_12672
; %bb.14473:                            ;   in Loop: Header=BB6_12675 Depth=3
	s_delay_alu instid0(VALU_DEP_1)
	v_bfe_u32 v11, v48, 23, 1
	s_branch .LBB6_12672
.LBB6_14474:                            ;   in Loop: Header=BB6_12675 Depth=3
	s_mov_b32 s13, -1
	s_mov_b32 s34, exec_lo
                                        ; implicit-def: $sgpr30
	v_cmpx_eq_u16_e32 0x80, v13
; %bb.14475:                            ;   in Loop: Header=BB6_12675 Depth=3
	s_mov_b32 s30, 0x7f800001
	s_xor_b32 s13, exec_lo, -1
; %bb.14476:                            ;   in Loop: Header=BB6_12675 Depth=3
	s_or_b32 exec_lo, exec_lo, s34
	s_delay_alu instid0(SALU_CYCLE_1)
	s_and_b32 s13, s13, exec_lo
                                        ; implicit-def: $vgpr13
	s_or_saveexec_b32 s31, s31
	v_mov_b32_e32 v12, s30
	s_xor_b32 exec_lo, exec_lo, s31
	s_cbranch_execz .LBB6_12686
.LBB6_14477:                            ;   in Loop: Header=BB6_12675 Depth=3
	v_cmp_ne_u16_e32 vcc_lo, 0, v13
	v_mov_b32_e32 v12, 0
	s_and_not1_b32 s13, s13, exec_lo
	s_and_b32 vcc_lo, vcc_lo, exec_lo
	s_delay_alu instid0(SALU_CYCLE_1)
	s_or_b32 s13, s13, vcc_lo
	s_or_b32 exec_lo, exec_lo, s31
	s_and_saveexec_b32 s30, s13
	s_cbranch_execnz .LBB6_12687
	s_branch .LBB6_12688
.LBB6_14478:                            ;   in Loop: Header=BB6_12675 Depth=3
	s_mov_b32 s13, -1
	s_mov_b32 s34, exec_lo
                                        ; implicit-def: $sgpr30
	v_cmpx_eq_u16_e32 0x80, v12
; %bb.14479:                            ;   in Loop: Header=BB6_12675 Depth=3
	s_mov_b32 s30, 0x7f800001
	s_xor_b32 s13, exec_lo, -1
; %bb.14480:                            ;   in Loop: Header=BB6_12675 Depth=3
	s_or_b32 exec_lo, exec_lo, s34
	s_delay_alu instid0(SALU_CYCLE_1)
	s_and_b32 s13, s13, exec_lo
	s_or_saveexec_b32 s31, s31
	v_mov_b32_e32 v13, s30
	s_xor_b32 exec_lo, exec_lo, s31
	s_cbranch_execz .LBB6_12698
.LBB6_14481:                            ;   in Loop: Header=BB6_12675 Depth=3
	v_cmp_ne_u16_e32 vcc_lo, 0, v12
	v_mov_b32_e32 v13, 0
	s_and_not1_b32 s13, s13, exec_lo
	s_and_b32 vcc_lo, vcc_lo, exec_lo
	s_delay_alu instid0(SALU_CYCLE_1)
	s_or_b32 s13, s13, vcc_lo
	s_or_b32 exec_lo, exec_lo, s31
	s_and_saveexec_b32 s30, s13
	s_cbranch_execnz .LBB6_12699
	s_branch .LBB6_12700
.LBB6_14482:                            ;   in Loop: Header=BB6_12675 Depth=3
	s_mov_b32 s13, -1
	s_mov_b32 s34, exec_lo
                                        ; implicit-def: $sgpr30
	v_cmpx_eq_u16_e32 0x80, v14
; %bb.14483:                            ;   in Loop: Header=BB6_12675 Depth=3
	s_mov_b32 s30, 0x7f800001
	s_xor_b32 s13, exec_lo, -1
; %bb.14484:                            ;   in Loop: Header=BB6_12675 Depth=3
	s_or_b32 exec_lo, exec_lo, s34
	s_delay_alu instid0(SALU_CYCLE_1)
	s_and_b32 s13, s13, exec_lo
                                        ; implicit-def: $vgpr14
	s_or_saveexec_b32 s31, s31
	v_mov_b32_e32 v13, s30
	s_xor_b32 exec_lo, exec_lo, s31
	s_cbranch_execz .LBB6_12710
.LBB6_14485:                            ;   in Loop: Header=BB6_12675 Depth=3
	v_cmp_ne_u16_e32 vcc_lo, 0, v14
	v_mov_b32_e32 v13, 0
	s_and_not1_b32 s13, s13, exec_lo
	s_and_b32 vcc_lo, vcc_lo, exec_lo
	s_delay_alu instid0(SALU_CYCLE_1)
	s_or_b32 s13, s13, vcc_lo
	s_or_b32 exec_lo, exec_lo, s31
	s_and_saveexec_b32 s30, s13
	s_cbranch_execnz .LBB6_12711
	s_branch .LBB6_12712
.LBB6_14486:                            ;   in Loop: Header=BB6_12675 Depth=3
	s_mov_b32 s13, -1
	s_mov_b32 s34, exec_lo
                                        ; implicit-def: $sgpr30
	v_cmpx_eq_u16_e32 0x80, v12
; %bb.14487:                            ;   in Loop: Header=BB6_12675 Depth=3
	s_mov_b32 s30, 0x7f800001
	s_xor_b32 s13, exec_lo, -1
; %bb.14488:                            ;   in Loop: Header=BB6_12675 Depth=3
	s_or_b32 exec_lo, exec_lo, s34
	s_delay_alu instid0(SALU_CYCLE_1)
	s_and_b32 s13, s13, exec_lo
	s_or_saveexec_b32 s31, s31
	v_mov_b32_e32 v13, s30
	s_xor_b32 exec_lo, exec_lo, s31
	s_cbranch_execz .LBB6_12722
.LBB6_14489:                            ;   in Loop: Header=BB6_12675 Depth=3
	v_cmp_ne_u16_e32 vcc_lo, 0, v12
	v_mov_b32_e32 v13, 0
	s_and_not1_b32 s13, s13, exec_lo
	s_and_b32 vcc_lo, vcc_lo, exec_lo
	s_delay_alu instid0(SALU_CYCLE_1)
	s_or_b32 s13, s13, vcc_lo
	s_or_b32 exec_lo, exec_lo, s31
	s_and_saveexec_b32 s30, s13
	s_cbranch_execnz .LBB6_12723
	s_branch .LBB6_12724
.LBB6_14490:                            ;   in Loop: Header=BB6_12675 Depth=3
	s_mov_b32 s13, -1
	s_mov_b32 s34, exec_lo
                                        ; implicit-def: $sgpr30
	v_cmpx_eq_u16_e32 0x80, v12
; %bb.14491:                            ;   in Loop: Header=BB6_12675 Depth=3
	s_mov_b32 s30, 0x7f800001
	s_xor_b32 s13, exec_lo, -1
; %bb.14492:                            ;   in Loop: Header=BB6_12675 Depth=3
	s_or_b32 exec_lo, exec_lo, s34
	s_delay_alu instid0(SALU_CYCLE_1)
	s_and_b32 s13, s13, exec_lo
                                        ; implicit-def: $vgpr12
	s_or_saveexec_b32 s31, s31
	v_mov_b32_e32 v8, s30
	s_xor_b32 exec_lo, exec_lo, s31
	s_cbranch_execz .LBB6_12734
.LBB6_14493:                            ;   in Loop: Header=BB6_12675 Depth=3
	v_cmp_ne_u16_e32 vcc_lo, 0, v12
	v_mov_b32_e32 v8, 0
	s_and_not1_b32 s13, s13, exec_lo
	s_and_b32 vcc_lo, vcc_lo, exec_lo
	s_delay_alu instid0(SALU_CYCLE_1)
	s_or_b32 s13, s13, vcc_lo
	s_or_b32 exec_lo, exec_lo, s31
	s_and_saveexec_b32 s30, s13
	s_cbranch_execnz .LBB6_12735
	s_branch .LBB6_12736
.LBB6_14494:                            ;   in Loop: Header=BB6_12675 Depth=3
	s_mov_b32 s13, -1
	s_mov_b32 s34, exec_lo
                                        ; implicit-def: $sgpr30
	v_cmpx_eq_u16_e32 0x80, v8
; %bb.14495:                            ;   in Loop: Header=BB6_12675 Depth=3
	s_mov_b32 s30, 0x7f800001
	s_xor_b32 s13, exec_lo, -1
; %bb.14496:                            ;   in Loop: Header=BB6_12675 Depth=3
	s_or_b32 exec_lo, exec_lo, s34
	s_delay_alu instid0(SALU_CYCLE_1)
	s_and_b32 s13, s13, exec_lo
	s_or_saveexec_b32 s31, s31
	v_mov_b32_e32 v12, s30
	s_xor_b32 exec_lo, exec_lo, s31
	s_cbranch_execz .LBB6_12746
.LBB6_14497:                            ;   in Loop: Header=BB6_12675 Depth=3
	v_cmp_ne_u16_e32 vcc_lo, 0, v8
	v_mov_b32_e32 v12, 0
	s_and_not1_b32 s13, s13, exec_lo
	s_and_b32 vcc_lo, vcc_lo, exec_lo
	s_delay_alu instid0(SALU_CYCLE_1)
	s_or_b32 s13, s13, vcc_lo
	s_or_b32 exec_lo, exec_lo, s31
	s_and_saveexec_b32 s30, s13
	s_cbranch_execnz .LBB6_12747
	s_branch .LBB6_12748
.LBB6_14498:                            ;   in Loop: Header=BB6_12675 Depth=3
	s_mov_b32 s13, -1
	s_mov_b32 s34, exec_lo
                                        ; implicit-def: $sgpr30
	v_cmpx_eq_u16_e32 0x80, v13
; %bb.14499:                            ;   in Loop: Header=BB6_12675 Depth=3
	s_mov_b32 s30, 0x7f800001
	s_xor_b32 s13, exec_lo, -1
; %bb.14500:                            ;   in Loop: Header=BB6_12675 Depth=3
	s_or_b32 exec_lo, exec_lo, s34
	s_delay_alu instid0(SALU_CYCLE_1)
	s_and_b32 s13, s13, exec_lo
                                        ; implicit-def: $vgpr13
	s_or_saveexec_b32 s31, s31
	v_mov_b32_e32 v12, s30
	s_xor_b32 exec_lo, exec_lo, s31
	s_cbranch_execz .LBB6_12758
.LBB6_14501:                            ;   in Loop: Header=BB6_12675 Depth=3
	v_cmp_ne_u16_e32 vcc_lo, 0, v13
	v_mov_b32_e32 v12, 0
	s_and_not1_b32 s13, s13, exec_lo
	s_and_b32 vcc_lo, vcc_lo, exec_lo
	s_delay_alu instid0(SALU_CYCLE_1)
	s_or_b32 s13, s13, vcc_lo
	s_or_b32 exec_lo, exec_lo, s31
	s_and_saveexec_b32 s30, s13
	s_cbranch_execnz .LBB6_12759
	s_branch .LBB6_12760
.LBB6_14502:                            ;   in Loop: Header=BB6_12675 Depth=3
	s_mov_b32 s13, -1
	s_mov_b32 s34, exec_lo
                                        ; implicit-def: $sgpr30
	v_cmpx_eq_u16_e32 0x80, v8
; %bb.14503:                            ;   in Loop: Header=BB6_12675 Depth=3
	s_mov_b32 s30, 0x7f800001
	s_xor_b32 s13, exec_lo, -1
; %bb.14504:                            ;   in Loop: Header=BB6_12675 Depth=3
	s_or_b32 exec_lo, exec_lo, s34
	s_delay_alu instid0(SALU_CYCLE_1)
	s_and_b32 s13, s13, exec_lo
	s_or_saveexec_b32 s31, s31
	v_mov_b32_e32 v12, s30
	s_xor_b32 exec_lo, exec_lo, s31
	s_cbranch_execz .LBB6_12770
.LBB6_14505:                            ;   in Loop: Header=BB6_12675 Depth=3
	v_cmp_ne_u16_e32 vcc_lo, 0, v8
	v_mov_b32_e32 v12, 0
	s_and_not1_b32 s13, s13, exec_lo
	s_and_b32 vcc_lo, vcc_lo, exec_lo
	s_delay_alu instid0(SALU_CYCLE_1)
	s_or_b32 s13, s13, vcc_lo
	s_or_b32 exec_lo, exec_lo, s31
	s_and_saveexec_b32 s30, s13
	s_cbranch_execnz .LBB6_12771
	s_branch .LBB6_12772
.LBB6_14506:                            ;   in Loop: Header=BB6_12675 Depth=3
	s_mov_b32 s13, -1
	s_mov_b32 s34, exec_lo
                                        ; implicit-def: $sgpr30
	v_cmpx_eq_u16_e32 0x80, v9
; %bb.14507:                            ;   in Loop: Header=BB6_12675 Depth=3
	s_mov_b32 s30, 0x7f800001
	s_xor_b32 s13, exec_lo, -1
; %bb.14508:                            ;   in Loop: Header=BB6_12675 Depth=3
	s_or_b32 exec_lo, exec_lo, s34
	s_delay_alu instid0(SALU_CYCLE_1)
	s_and_b32 s13, s13, exec_lo
                                        ; implicit-def: $vgpr9
	s_or_saveexec_b32 s31, s31
	v_mov_b32_e32 v8, s30
	s_xor_b32 exec_lo, exec_lo, s31
	s_cbranch_execz .LBB6_12782
.LBB6_14509:                            ;   in Loop: Header=BB6_12675 Depth=3
	v_cmp_ne_u16_e32 vcc_lo, 0, v9
	v_mov_b32_e32 v8, 0
	s_and_not1_b32 s13, s13, exec_lo
	s_and_b32 vcc_lo, vcc_lo, exec_lo
	s_delay_alu instid0(SALU_CYCLE_1)
	s_or_b32 s13, s13, vcc_lo
	s_or_b32 exec_lo, exec_lo, s31
	s_and_saveexec_b32 s30, s13
	s_cbranch_execnz .LBB6_12783
	s_branch .LBB6_12784
.LBB6_14510:                            ;   in Loop: Header=BB6_12675 Depth=3
	s_mov_b32 s13, -1
	s_mov_b32 s34, exec_lo
                                        ; implicit-def: $sgpr30
	v_cmpx_eq_u16_e32 0x80, v8
; %bb.14511:                            ;   in Loop: Header=BB6_12675 Depth=3
	s_mov_b32 s30, 0x7f800001
	s_xor_b32 s13, exec_lo, -1
; %bb.14512:                            ;   in Loop: Header=BB6_12675 Depth=3
	s_or_b32 exec_lo, exec_lo, s34
	s_delay_alu instid0(SALU_CYCLE_1)
	s_and_b32 s13, s13, exec_lo
	s_or_saveexec_b32 s31, s31
	v_mov_b32_e32 v9, s30
	s_xor_b32 exec_lo, exec_lo, s31
	s_cbranch_execz .LBB6_12794
.LBB6_14513:                            ;   in Loop: Header=BB6_12675 Depth=3
	v_cmp_ne_u16_e32 vcc_lo, 0, v8
	v_mov_b32_e32 v9, 0
	s_and_not1_b32 s13, s13, exec_lo
	s_and_b32 vcc_lo, vcc_lo, exec_lo
	s_delay_alu instid0(SALU_CYCLE_1)
	s_or_b32 s13, s13, vcc_lo
	s_or_b32 exec_lo, exec_lo, s31
	s_and_saveexec_b32 s30, s13
	s_cbranch_execnz .LBB6_12795
	s_branch .LBB6_12796
.LBB6_14514:                            ;   in Loop: Header=BB6_12675 Depth=3
	s_mov_b32 s13, -1
	s_mov_b32 s34, exec_lo
                                        ; implicit-def: $sgpr30
	v_cmpx_eq_u16_e32 0x80, v12
; %bb.14515:                            ;   in Loop: Header=BB6_12675 Depth=3
	s_mov_b32 s30, 0x7f800001
	s_xor_b32 s13, exec_lo, -1
; %bb.14516:                            ;   in Loop: Header=BB6_12675 Depth=3
	s_or_b32 exec_lo, exec_lo, s34
	s_delay_alu instid0(SALU_CYCLE_1)
	s_and_b32 s13, s13, exec_lo
                                        ; implicit-def: $vgpr12
	s_or_saveexec_b32 s31, s31
	v_mov_b32_e32 v9, s30
	s_xor_b32 exec_lo, exec_lo, s31
	s_cbranch_execz .LBB6_12806
.LBB6_14517:                            ;   in Loop: Header=BB6_12675 Depth=3
	v_cmp_ne_u16_e32 vcc_lo, 0, v12
	v_mov_b32_e32 v9, 0
	s_and_not1_b32 s13, s13, exec_lo
	s_and_b32 vcc_lo, vcc_lo, exec_lo
	s_delay_alu instid0(SALU_CYCLE_1)
	s_or_b32 s13, s13, vcc_lo
	s_or_b32 exec_lo, exec_lo, s31
	s_and_saveexec_b32 s30, s13
	s_cbranch_execnz .LBB6_12807
	s_branch .LBB6_12808
.LBB6_14518:                            ;   in Loop: Header=BB6_12675 Depth=3
	s_mov_b32 s13, -1
	s_mov_b32 s34, exec_lo
                                        ; implicit-def: $sgpr30
	v_cmpx_eq_u16_e32 0x80, v8
; %bb.14519:                            ;   in Loop: Header=BB6_12675 Depth=3
	s_mov_b32 s30, 0x7f800001
	s_xor_b32 s13, exec_lo, -1
; %bb.14520:                            ;   in Loop: Header=BB6_12675 Depth=3
	s_or_b32 exec_lo, exec_lo, s34
	s_delay_alu instid0(SALU_CYCLE_1)
	s_and_b32 s13, s13, exec_lo
	s_or_saveexec_b32 s31, s31
	v_mov_b32_e32 v9, s30
	s_xor_b32 exec_lo, exec_lo, s31
	s_cbranch_execz .LBB6_12818
.LBB6_14521:                            ;   in Loop: Header=BB6_12675 Depth=3
	v_cmp_ne_u16_e32 vcc_lo, 0, v8
	v_mov_b32_e32 v9, 0
	s_and_not1_b32 s13, s13, exec_lo
	s_and_b32 vcc_lo, vcc_lo, exec_lo
	s_delay_alu instid0(SALU_CYCLE_1)
	s_or_b32 s13, s13, vcc_lo
	s_or_b32 exec_lo, exec_lo, s31
	s_and_saveexec_b32 s30, s13
	s_cbranch_execnz .LBB6_12819
	s_branch .LBB6_12820
.LBB6_14522:                            ;   in Loop: Header=BB6_12675 Depth=3
	s_mov_b32 s13, -1
	s_mov_b32 s34, exec_lo
                                        ; implicit-def: $sgpr30
	v_cmpx_eq_u16_e32 0x80, v9
; %bb.14523:                            ;   in Loop: Header=BB6_12675 Depth=3
	s_mov_b32 s30, 0x7f800001
	s_xor_b32 s13, exec_lo, -1
; %bb.14524:                            ;   in Loop: Header=BB6_12675 Depth=3
	s_or_b32 exec_lo, exec_lo, s34
	s_delay_alu instid0(SALU_CYCLE_1)
	s_and_b32 s13, s13, exec_lo
                                        ; implicit-def: $vgpr9
	s_or_saveexec_b32 s31, s31
	v_mov_b32_e32 v8, s30
	s_xor_b32 exec_lo, exec_lo, s31
	s_cbranch_execz .LBB6_12830
.LBB6_14525:                            ;   in Loop: Header=BB6_12675 Depth=3
	v_cmp_ne_u16_e32 vcc_lo, 0, v9
	v_mov_b32_e32 v8, 0
	s_and_not1_b32 s13, s13, exec_lo
	s_and_b32 vcc_lo, vcc_lo, exec_lo
	s_delay_alu instid0(SALU_CYCLE_1)
	s_or_b32 s13, s13, vcc_lo
	s_or_b32 exec_lo, exec_lo, s31
	s_and_saveexec_b32 s30, s13
	s_cbranch_execnz .LBB6_12831
	s_branch .LBB6_12832
.LBB6_14526:                            ;   in Loop: Header=BB6_12675 Depth=3
	s_mov_b32 s13, -1
	s_mov_b32 s34, exec_lo
                                        ; implicit-def: $sgpr30
	v_cmpx_eq_u16_e32 0x80, v8
; %bb.14527:                            ;   in Loop: Header=BB6_12675 Depth=3
	s_mov_b32 s30, 0x7f800001
	s_xor_b32 s13, exec_lo, -1
; %bb.14528:                            ;   in Loop: Header=BB6_12675 Depth=3
	s_or_b32 exec_lo, exec_lo, s34
	s_delay_alu instid0(SALU_CYCLE_1)
	s_and_b32 s13, s13, exec_lo
	s_or_saveexec_b32 s31, s31
	v_mov_b32_e32 v9, s30
	s_xor_b32 exec_lo, exec_lo, s31
	s_cbranch_execz .LBB6_12842
.LBB6_14529:                            ;   in Loop: Header=BB6_12675 Depth=3
	v_cmp_ne_u16_e32 vcc_lo, 0, v8
	v_mov_b32_e32 v9, 0
	s_and_not1_b32 s13, s13, exec_lo
	s_and_b32 vcc_lo, vcc_lo, exec_lo
	s_delay_alu instid0(SALU_CYCLE_1)
	s_or_b32 s13, s13, vcc_lo
	s_or_b32 exec_lo, exec_lo, s31
	s_and_saveexec_b32 s30, s13
	s_cbranch_execnz .LBB6_12843
	s_branch .LBB6_12844
.LBB6_14530:                            ;   in Loop: Header=BB6_12675 Depth=3
	s_mov_b32 s13, -1
	s_mov_b32 s34, exec_lo
                                        ; implicit-def: $sgpr30
	v_cmpx_eq_u16_e32 0x80, v10
; %bb.14531:                            ;   in Loop: Header=BB6_12675 Depth=3
	s_mov_b32 s30, 0x7f800001
	s_xor_b32 s13, exec_lo, -1
; %bb.14532:                            ;   in Loop: Header=BB6_12675 Depth=3
	s_or_b32 exec_lo, exec_lo, s34
	s_delay_alu instid0(SALU_CYCLE_1)
	s_and_b32 s13, s13, exec_lo
                                        ; implicit-def: $vgpr10
	s_or_saveexec_b32 s31, s31
	v_mov_b32_e32 v9, s30
	s_xor_b32 exec_lo, exec_lo, s31
	s_cbranch_execz .LBB6_12854
.LBB6_14533:                            ;   in Loop: Header=BB6_12675 Depth=3
	v_cmp_ne_u16_e32 vcc_lo, 0, v10
	v_mov_b32_e32 v9, 0
	s_and_not1_b32 s13, s13, exec_lo
	s_and_b32 vcc_lo, vcc_lo, exec_lo
	s_delay_alu instid0(SALU_CYCLE_1)
	s_or_b32 s13, s13, vcc_lo
	s_or_b32 exec_lo, exec_lo, s31
	s_and_saveexec_b32 s30, s13
	s_cbranch_execnz .LBB6_12855
	s_branch .LBB6_12856
.LBB6_14534:                            ;   in Loop: Header=BB6_12675 Depth=3
	s_mov_b32 s13, -1
	s_mov_b32 s34, exec_lo
                                        ; implicit-def: $sgpr30
	v_cmpx_eq_u16_e32 0x80, v8
; %bb.14535:                            ;   in Loop: Header=BB6_12675 Depth=3
	s_mov_b32 s30, 0x7f800001
	s_xor_b32 s13, exec_lo, -1
; %bb.14536:                            ;   in Loop: Header=BB6_12675 Depth=3
	s_or_b32 exec_lo, exec_lo, s34
	s_delay_alu instid0(SALU_CYCLE_1)
	s_and_b32 s13, s13, exec_lo
	s_or_saveexec_b32 s31, s31
	v_mov_b32_e32 v9, s30
	s_xor_b32 exec_lo, exec_lo, s31
	s_cbranch_execz .LBB6_12866
.LBB6_14537:                            ;   in Loop: Header=BB6_12675 Depth=3
	v_cmp_ne_u16_e32 vcc_lo, 0, v8
	v_mov_b32_e32 v9, 0
	s_and_not1_b32 s13, s13, exec_lo
	s_and_b32 vcc_lo, vcc_lo, exec_lo
	s_delay_alu instid0(SALU_CYCLE_1)
	s_or_b32 s13, s13, vcc_lo
	s_or_b32 exec_lo, exec_lo, s31
	s_and_saveexec_b32 s30, s13
	s_cbranch_execnz .LBB6_12867
	s_branch .LBB6_12868
.LBB6_14538:                            ;   in Loop: Header=BB6_12675 Depth=3
	s_mov_b32 s13, -1
	s_mov_b32 s34, exec_lo
                                        ; implicit-def: $sgpr30
	v_cmpx_eq_u16_e32 0x80, v13
; %bb.14539:                            ;   in Loop: Header=BB6_12675 Depth=3
	s_mov_b32 s30, 0x7f800001
	s_xor_b32 s13, exec_lo, -1
; %bb.14540:                            ;   in Loop: Header=BB6_12675 Depth=3
	s_or_b32 exec_lo, exec_lo, s34
	s_delay_alu instid0(SALU_CYCLE_1)
	s_and_b32 s13, s13, exec_lo
                                        ; implicit-def: $vgpr13
	s_or_saveexec_b32 s31, s31
	v_mov_b32_e32 v12, s30
	s_xor_b32 exec_lo, exec_lo, s31
	s_cbranch_execz .LBB6_12878
.LBB6_14541:                            ;   in Loop: Header=BB6_12675 Depth=3
	v_cmp_ne_u16_e32 vcc_lo, 0, v13
	v_mov_b32_e32 v12, 0
	s_and_not1_b32 s13, s13, exec_lo
	s_and_b32 vcc_lo, vcc_lo, exec_lo
	s_delay_alu instid0(SALU_CYCLE_1)
	s_or_b32 s13, s13, vcc_lo
	s_or_b32 exec_lo, exec_lo, s31
	s_and_saveexec_b32 s30, s13
	s_cbranch_execnz .LBB6_12879
	s_branch .LBB6_12880
.LBB6_14542:                            ;   in Loop: Header=BB6_12675 Depth=3
	s_mov_b32 s13, -1
	s_mov_b32 s34, exec_lo
                                        ; implicit-def: $sgpr30
	v_cmpx_eq_u16_e32 0x80, v12
; %bb.14543:                            ;   in Loop: Header=BB6_12675 Depth=3
	s_mov_b32 s30, 0x7f800001
	s_xor_b32 s13, exec_lo, -1
; %bb.14544:                            ;   in Loop: Header=BB6_12675 Depth=3
	s_or_b32 exec_lo, exec_lo, s34
	s_delay_alu instid0(SALU_CYCLE_1)
	s_and_b32 s13, s13, exec_lo
	s_or_saveexec_b32 s31, s31
	v_mov_b32_e32 v13, s30
	s_xor_b32 exec_lo, exec_lo, s31
	s_cbranch_execz .LBB6_12890
.LBB6_14545:                            ;   in Loop: Header=BB6_12675 Depth=3
	v_cmp_ne_u16_e32 vcc_lo, 0, v12
	v_mov_b32_e32 v13, 0
	s_and_not1_b32 s13, s13, exec_lo
	s_and_b32 vcc_lo, vcc_lo, exec_lo
	s_delay_alu instid0(SALU_CYCLE_1)
	s_or_b32 s13, s13, vcc_lo
	s_or_b32 exec_lo, exec_lo, s31
	s_and_saveexec_b32 s30, s13
	s_cbranch_execnz .LBB6_12891
	s_branch .LBB6_12892
.LBB6_14546:                            ;   in Loop: Header=BB6_12675 Depth=3
	s_mov_b32 s13, -1
	s_mov_b32 s34, exec_lo
                                        ; implicit-def: $sgpr30
	v_cmpx_eq_u16_e32 0x80, v14
; %bb.14547:                            ;   in Loop: Header=BB6_12675 Depth=3
	s_mov_b32 s30, 0x7f800001
	s_xor_b32 s13, exec_lo, -1
; %bb.14548:                            ;   in Loop: Header=BB6_12675 Depth=3
	s_or_b32 exec_lo, exec_lo, s34
	s_delay_alu instid0(SALU_CYCLE_1)
	s_and_b32 s13, s13, exec_lo
                                        ; implicit-def: $vgpr14
	s_or_saveexec_b32 s31, s31
	v_mov_b32_e32 v13, s30
	s_xor_b32 exec_lo, exec_lo, s31
	s_cbranch_execz .LBB6_12902
.LBB6_14549:                            ;   in Loop: Header=BB6_12675 Depth=3
	v_cmp_ne_u16_e32 vcc_lo, 0, v14
	v_mov_b32_e32 v13, 0
	s_and_not1_b32 s13, s13, exec_lo
	s_and_b32 vcc_lo, vcc_lo, exec_lo
	s_delay_alu instid0(SALU_CYCLE_1)
	s_or_b32 s13, s13, vcc_lo
	s_or_b32 exec_lo, exec_lo, s31
	s_and_saveexec_b32 s30, s13
	s_cbranch_execnz .LBB6_12903
	s_branch .LBB6_12904
.LBB6_14550:                            ;   in Loop: Header=BB6_12675 Depth=3
	s_mov_b32 s13, -1
	s_mov_b32 s34, exec_lo
                                        ; implicit-def: $sgpr30
	v_cmpx_eq_u16_e32 0x80, v12
; %bb.14551:                            ;   in Loop: Header=BB6_12675 Depth=3
	s_mov_b32 s30, 0x7f800001
	s_xor_b32 s13, exec_lo, -1
; %bb.14552:                            ;   in Loop: Header=BB6_12675 Depth=3
	s_or_b32 exec_lo, exec_lo, s34
	s_delay_alu instid0(SALU_CYCLE_1)
	s_and_b32 s13, s13, exec_lo
	s_or_saveexec_b32 s31, s31
	v_mov_b32_e32 v13, s30
	s_xor_b32 exec_lo, exec_lo, s31
	s_cbranch_execz .LBB6_12914
.LBB6_14553:                            ;   in Loop: Header=BB6_12675 Depth=3
	v_cmp_ne_u16_e32 vcc_lo, 0, v12
	v_mov_b32_e32 v13, 0
	s_and_not1_b32 s13, s13, exec_lo
	s_and_b32 vcc_lo, vcc_lo, exec_lo
	s_delay_alu instid0(SALU_CYCLE_1)
	s_or_b32 s13, s13, vcc_lo
	s_or_b32 exec_lo, exec_lo, s31
	s_and_saveexec_b32 s30, s13
	s_cbranch_execnz .LBB6_12915
	s_branch .LBB6_12916
.LBB6_14554:                            ;   in Loop: Header=BB6_12675 Depth=3
	s_mov_b32 s13, -1
	s_mov_b32 s34, exec_lo
                                        ; implicit-def: $sgpr30
	v_cmpx_eq_u16_e32 0x80, v12
; %bb.14555:                            ;   in Loop: Header=BB6_12675 Depth=3
	s_mov_b32 s30, 0x7f800001
	s_xor_b32 s13, exec_lo, -1
; %bb.14556:                            ;   in Loop: Header=BB6_12675 Depth=3
	s_or_b32 exec_lo, exec_lo, s34
	s_delay_alu instid0(SALU_CYCLE_1)
	s_and_b32 s13, s13, exec_lo
                                        ; implicit-def: $vgpr12
	s_or_saveexec_b32 s31, s31
	v_mov_b32_e32 v8, s30
	s_xor_b32 exec_lo, exec_lo, s31
	s_cbranch_execz .LBB6_12926
.LBB6_14557:                            ;   in Loop: Header=BB6_12675 Depth=3
	v_cmp_ne_u16_e32 vcc_lo, 0, v12
	v_mov_b32_e32 v8, 0
	s_and_not1_b32 s13, s13, exec_lo
	s_and_b32 vcc_lo, vcc_lo, exec_lo
	s_delay_alu instid0(SALU_CYCLE_1)
	s_or_b32 s13, s13, vcc_lo
	s_or_b32 exec_lo, exec_lo, s31
	s_and_saveexec_b32 s30, s13
	s_cbranch_execnz .LBB6_12927
	s_branch .LBB6_12928
.LBB6_14558:                            ;   in Loop: Header=BB6_12675 Depth=3
	s_mov_b32 s13, -1
	s_mov_b32 s34, exec_lo
                                        ; implicit-def: $sgpr30
	v_cmpx_eq_u16_e32 0x80, v8
; %bb.14559:                            ;   in Loop: Header=BB6_12675 Depth=3
	s_mov_b32 s30, 0x7f800001
	s_xor_b32 s13, exec_lo, -1
; %bb.14560:                            ;   in Loop: Header=BB6_12675 Depth=3
	s_or_b32 exec_lo, exec_lo, s34
	s_delay_alu instid0(SALU_CYCLE_1)
	s_and_b32 s13, s13, exec_lo
	s_or_saveexec_b32 s31, s31
	v_mov_b32_e32 v12, s30
	s_xor_b32 exec_lo, exec_lo, s31
	s_cbranch_execz .LBB6_12938
.LBB6_14561:                            ;   in Loop: Header=BB6_12675 Depth=3
	v_cmp_ne_u16_e32 vcc_lo, 0, v8
	v_mov_b32_e32 v12, 0
	s_and_not1_b32 s13, s13, exec_lo
	s_and_b32 vcc_lo, vcc_lo, exec_lo
	s_delay_alu instid0(SALU_CYCLE_1)
	s_or_b32 s13, s13, vcc_lo
	s_or_b32 exec_lo, exec_lo, s31
	s_and_saveexec_b32 s30, s13
	s_cbranch_execnz .LBB6_12939
	s_branch .LBB6_12940
.LBB6_14562:                            ;   in Loop: Header=BB6_12675 Depth=3
	s_mov_b32 s13, -1
	s_mov_b32 s34, exec_lo
                                        ; implicit-def: $sgpr30
	v_cmpx_eq_u16_e32 0x80, v13
; %bb.14563:                            ;   in Loop: Header=BB6_12675 Depth=3
	s_mov_b32 s30, 0x7f800001
	s_xor_b32 s13, exec_lo, -1
; %bb.14564:                            ;   in Loop: Header=BB6_12675 Depth=3
	s_or_b32 exec_lo, exec_lo, s34
	s_delay_alu instid0(SALU_CYCLE_1)
	s_and_b32 s13, s13, exec_lo
                                        ; implicit-def: $vgpr13
	s_or_saveexec_b32 s31, s31
	v_mov_b32_e32 v12, s30
	s_xor_b32 exec_lo, exec_lo, s31
	s_cbranch_execz .LBB6_12950
.LBB6_14565:                            ;   in Loop: Header=BB6_12675 Depth=3
	v_cmp_ne_u16_e32 vcc_lo, 0, v13
	v_mov_b32_e32 v12, 0
	s_and_not1_b32 s13, s13, exec_lo
	s_and_b32 vcc_lo, vcc_lo, exec_lo
	s_delay_alu instid0(SALU_CYCLE_1)
	s_or_b32 s13, s13, vcc_lo
	s_or_b32 exec_lo, exec_lo, s31
	s_and_saveexec_b32 s30, s13
	s_cbranch_execnz .LBB6_12951
	s_branch .LBB6_12952
.LBB6_14566:                            ;   in Loop: Header=BB6_12675 Depth=3
	s_mov_b32 s13, -1
	s_mov_b32 s34, exec_lo
                                        ; implicit-def: $sgpr30
	v_cmpx_eq_u16_e32 0x80, v8
; %bb.14567:                            ;   in Loop: Header=BB6_12675 Depth=3
	s_mov_b32 s30, 0x7f800001
	s_xor_b32 s13, exec_lo, -1
; %bb.14568:                            ;   in Loop: Header=BB6_12675 Depth=3
	s_or_b32 exec_lo, exec_lo, s34
	s_delay_alu instid0(SALU_CYCLE_1)
	s_and_b32 s13, s13, exec_lo
	s_or_saveexec_b32 s31, s31
	v_mov_b32_e32 v12, s30
	s_xor_b32 exec_lo, exec_lo, s31
	s_cbranch_execz .LBB6_12962
.LBB6_14569:                            ;   in Loop: Header=BB6_12675 Depth=3
	v_cmp_ne_u16_e32 vcc_lo, 0, v8
	v_mov_b32_e32 v12, 0
	s_and_not1_b32 s13, s13, exec_lo
	s_and_b32 vcc_lo, vcc_lo, exec_lo
	s_delay_alu instid0(SALU_CYCLE_1)
	s_or_b32 s13, s13, vcc_lo
	s_or_b32 exec_lo, exec_lo, s31
	s_and_saveexec_b32 s30, s13
	s_cbranch_execnz .LBB6_12963
	s_branch .LBB6_12964
.LBB6_14570:                            ;   in Loop: Header=BB6_12675 Depth=3
	s_mov_b32 s13, -1
	s_mov_b32 s34, exec_lo
                                        ; implicit-def: $sgpr30
	v_cmpx_eq_u16_e32 0x80, v9
; %bb.14571:                            ;   in Loop: Header=BB6_12675 Depth=3
	s_mov_b32 s30, 0x7f800001
	s_xor_b32 s13, exec_lo, -1
; %bb.14572:                            ;   in Loop: Header=BB6_12675 Depth=3
	s_or_b32 exec_lo, exec_lo, s34
	s_delay_alu instid0(SALU_CYCLE_1)
	s_and_b32 s13, s13, exec_lo
                                        ; implicit-def: $vgpr9
	s_or_saveexec_b32 s31, s31
	v_mov_b32_e32 v8, s30
	s_xor_b32 exec_lo, exec_lo, s31
	s_cbranch_execz .LBB6_12974
.LBB6_14573:                            ;   in Loop: Header=BB6_12675 Depth=3
	v_cmp_ne_u16_e32 vcc_lo, 0, v9
	v_mov_b32_e32 v8, 0
	s_and_not1_b32 s13, s13, exec_lo
	s_and_b32 vcc_lo, vcc_lo, exec_lo
	s_delay_alu instid0(SALU_CYCLE_1)
	s_or_b32 s13, s13, vcc_lo
	s_or_b32 exec_lo, exec_lo, s31
	s_and_saveexec_b32 s30, s13
	s_cbranch_execnz .LBB6_12975
	s_branch .LBB6_12976
.LBB6_14574:                            ;   in Loop: Header=BB6_12675 Depth=3
	s_mov_b32 s13, -1
	s_mov_b32 s34, exec_lo
                                        ; implicit-def: $sgpr30
	v_cmpx_eq_u16_e32 0x80, v8
; %bb.14575:                            ;   in Loop: Header=BB6_12675 Depth=3
	s_mov_b32 s30, 0x7f800001
	s_xor_b32 s13, exec_lo, -1
; %bb.14576:                            ;   in Loop: Header=BB6_12675 Depth=3
	s_or_b32 exec_lo, exec_lo, s34
	s_delay_alu instid0(SALU_CYCLE_1)
	s_and_b32 s13, s13, exec_lo
	s_or_saveexec_b32 s31, s31
	v_mov_b32_e32 v9, s30
	s_xor_b32 exec_lo, exec_lo, s31
	s_cbranch_execz .LBB6_12986
.LBB6_14577:                            ;   in Loop: Header=BB6_12675 Depth=3
	v_cmp_ne_u16_e32 vcc_lo, 0, v8
	v_mov_b32_e32 v9, 0
	s_and_not1_b32 s13, s13, exec_lo
	s_and_b32 vcc_lo, vcc_lo, exec_lo
	s_delay_alu instid0(SALU_CYCLE_1)
	s_or_b32 s13, s13, vcc_lo
	s_or_b32 exec_lo, exec_lo, s31
	s_and_saveexec_b32 s30, s13
	s_cbranch_execnz .LBB6_12987
	s_branch .LBB6_12988
.LBB6_14578:                            ;   in Loop: Header=BB6_12675 Depth=3
	s_mov_b32 s13, -1
	s_mov_b32 s34, exec_lo
                                        ; implicit-def: $sgpr30
	v_cmpx_eq_u16_e32 0x80, v12
; %bb.14579:                            ;   in Loop: Header=BB6_12675 Depth=3
	s_mov_b32 s30, 0x7f800001
	s_xor_b32 s13, exec_lo, -1
; %bb.14580:                            ;   in Loop: Header=BB6_12675 Depth=3
	s_or_b32 exec_lo, exec_lo, s34
	s_delay_alu instid0(SALU_CYCLE_1)
	s_and_b32 s13, s13, exec_lo
                                        ; implicit-def: $vgpr12
	s_or_saveexec_b32 s31, s31
	v_mov_b32_e32 v9, s30
	s_xor_b32 exec_lo, exec_lo, s31
	s_cbranch_execz .LBB6_12998
.LBB6_14581:                            ;   in Loop: Header=BB6_12675 Depth=3
	v_cmp_ne_u16_e32 vcc_lo, 0, v12
	v_mov_b32_e32 v9, 0
	s_and_not1_b32 s13, s13, exec_lo
	s_and_b32 vcc_lo, vcc_lo, exec_lo
	s_delay_alu instid0(SALU_CYCLE_1)
	s_or_b32 s13, s13, vcc_lo
	s_or_b32 exec_lo, exec_lo, s31
	s_and_saveexec_b32 s30, s13
	s_cbranch_execnz .LBB6_12999
	s_branch .LBB6_13000
.LBB6_14582:                            ;   in Loop: Header=BB6_12675 Depth=3
	s_mov_b32 s13, -1
	s_mov_b32 s34, exec_lo
                                        ; implicit-def: $sgpr30
	v_cmpx_eq_u16_e32 0x80, v8
; %bb.14583:                            ;   in Loop: Header=BB6_12675 Depth=3
	s_mov_b32 s30, 0x7f800001
	s_xor_b32 s13, exec_lo, -1
; %bb.14584:                            ;   in Loop: Header=BB6_12675 Depth=3
	s_or_b32 exec_lo, exec_lo, s34
	s_delay_alu instid0(SALU_CYCLE_1)
	s_and_b32 s13, s13, exec_lo
	s_or_saveexec_b32 s31, s31
	v_mov_b32_e32 v9, s30
	s_xor_b32 exec_lo, exec_lo, s31
	s_cbranch_execz .LBB6_13010
.LBB6_14585:                            ;   in Loop: Header=BB6_12675 Depth=3
	v_cmp_ne_u16_e32 vcc_lo, 0, v8
	v_mov_b32_e32 v9, 0
	s_and_not1_b32 s13, s13, exec_lo
	s_and_b32 vcc_lo, vcc_lo, exec_lo
	s_delay_alu instid0(SALU_CYCLE_1)
	s_or_b32 s13, s13, vcc_lo
	s_or_b32 exec_lo, exec_lo, s31
	s_and_saveexec_b32 s30, s13
	s_cbranch_execnz .LBB6_13011
	s_branch .LBB6_13012
.LBB6_14586:                            ;   in Loop: Header=BB6_12675 Depth=3
	s_mov_b32 s13, -1
	s_mov_b32 s34, exec_lo
                                        ; implicit-def: $sgpr30
	v_cmpx_eq_u16_e32 0x80, v9
; %bb.14587:                            ;   in Loop: Header=BB6_12675 Depth=3
	s_mov_b32 s30, 0x7f800001
	s_xor_b32 s13, exec_lo, -1
; %bb.14588:                            ;   in Loop: Header=BB6_12675 Depth=3
	s_or_b32 exec_lo, exec_lo, s34
	s_delay_alu instid0(SALU_CYCLE_1)
	s_and_b32 s13, s13, exec_lo
                                        ; implicit-def: $vgpr9
	s_or_saveexec_b32 s31, s31
	v_mov_b32_e32 v8, s30
	s_xor_b32 exec_lo, exec_lo, s31
	s_cbranch_execz .LBB6_13022
.LBB6_14589:                            ;   in Loop: Header=BB6_12675 Depth=3
	v_cmp_ne_u16_e32 vcc_lo, 0, v9
	v_mov_b32_e32 v8, 0
	s_and_not1_b32 s13, s13, exec_lo
	s_and_b32 vcc_lo, vcc_lo, exec_lo
	s_delay_alu instid0(SALU_CYCLE_1)
	s_or_b32 s13, s13, vcc_lo
	s_or_b32 exec_lo, exec_lo, s31
	s_and_saveexec_b32 s30, s13
	s_cbranch_execnz .LBB6_13023
	s_branch .LBB6_13024
.LBB6_14590:                            ;   in Loop: Header=BB6_12675 Depth=3
	s_mov_b32 s13, -1
	s_mov_b32 s34, exec_lo
                                        ; implicit-def: $sgpr30
	v_cmpx_eq_u16_e32 0x80, v8
; %bb.14591:                            ;   in Loop: Header=BB6_12675 Depth=3
	s_mov_b32 s30, 0x7f800001
	s_xor_b32 s13, exec_lo, -1
; %bb.14592:                            ;   in Loop: Header=BB6_12675 Depth=3
	s_or_b32 exec_lo, exec_lo, s34
	s_delay_alu instid0(SALU_CYCLE_1)
	s_and_b32 s13, s13, exec_lo
	s_or_saveexec_b32 s31, s31
	v_mov_b32_e32 v9, s30
	s_xor_b32 exec_lo, exec_lo, s31
	s_cbranch_execz .LBB6_13034
.LBB6_14593:                            ;   in Loop: Header=BB6_12675 Depth=3
	v_cmp_ne_u16_e32 vcc_lo, 0, v8
	v_mov_b32_e32 v9, 0
	s_and_not1_b32 s13, s13, exec_lo
	s_and_b32 vcc_lo, vcc_lo, exec_lo
	s_delay_alu instid0(SALU_CYCLE_1)
	s_or_b32 s13, s13, vcc_lo
	s_or_b32 exec_lo, exec_lo, s31
	s_and_saveexec_b32 s30, s13
	s_cbranch_execnz .LBB6_13035
	s_branch .LBB6_13036
.LBB6_14594:                            ;   in Loop: Header=BB6_12675 Depth=3
	s_mov_b32 s13, -1
	s_mov_b32 s34, exec_lo
                                        ; implicit-def: $sgpr30
	v_cmpx_eq_u16_e32 0x80, v10
; %bb.14595:                            ;   in Loop: Header=BB6_12675 Depth=3
	s_mov_b32 s30, 0x7f800001
	s_xor_b32 s13, exec_lo, -1
; %bb.14596:                            ;   in Loop: Header=BB6_12675 Depth=3
	s_or_b32 exec_lo, exec_lo, s34
	s_delay_alu instid0(SALU_CYCLE_1)
	s_and_b32 s13, s13, exec_lo
                                        ; implicit-def: $vgpr10
	s_or_saveexec_b32 s31, s31
	v_mov_b32_e32 v9, s30
	s_xor_b32 exec_lo, exec_lo, s31
	s_cbranch_execz .LBB6_13046
.LBB6_14597:                            ;   in Loop: Header=BB6_12675 Depth=3
	v_cmp_ne_u16_e32 vcc_lo, 0, v10
	v_mov_b32_e32 v9, 0
	s_and_not1_b32 s13, s13, exec_lo
	s_and_b32 vcc_lo, vcc_lo, exec_lo
	s_delay_alu instid0(SALU_CYCLE_1)
	s_or_b32 s13, s13, vcc_lo
	s_or_b32 exec_lo, exec_lo, s31
	s_and_saveexec_b32 s30, s13
	s_cbranch_execnz .LBB6_13047
	s_branch .LBB6_13048
.LBB6_14598:                            ;   in Loop: Header=BB6_12675 Depth=3
	s_mov_b32 s13, -1
	s_mov_b32 s34, exec_lo
                                        ; implicit-def: $sgpr30
	v_cmpx_eq_u16_e32 0x80, v8
; %bb.14599:                            ;   in Loop: Header=BB6_12675 Depth=3
	s_mov_b32 s30, 0x7f800001
	s_xor_b32 s13, exec_lo, -1
; %bb.14600:                            ;   in Loop: Header=BB6_12675 Depth=3
	s_or_b32 exec_lo, exec_lo, s34
	s_delay_alu instid0(SALU_CYCLE_1)
	s_and_b32 s13, s13, exec_lo
	s_or_saveexec_b32 s31, s31
	v_mov_b32_e32 v9, s30
	s_xor_b32 exec_lo, exec_lo, s31
	s_cbranch_execz .LBB6_13058
.LBB6_14601:                            ;   in Loop: Header=BB6_12675 Depth=3
	v_cmp_ne_u16_e32 vcc_lo, 0, v8
	v_mov_b32_e32 v9, 0
	s_and_not1_b32 s13, s13, exec_lo
	s_and_b32 vcc_lo, vcc_lo, exec_lo
	s_delay_alu instid0(SALU_CYCLE_1)
	s_or_b32 s13, s13, vcc_lo
	s_or_b32 exec_lo, exec_lo, s31
	s_and_saveexec_b32 s30, s13
	s_cbranch_execnz .LBB6_13059
	s_branch .LBB6_13060
.LBB6_14602:                            ;   in Loop: Header=BB6_12675 Depth=3
	s_mov_b32 s13, -1
	s_mov_b32 s34, exec_lo
                                        ; implicit-def: $sgpr30
	v_cmpx_eq_u16_e32 0x80, v13
; %bb.14603:                            ;   in Loop: Header=BB6_12675 Depth=3
	s_mov_b32 s30, 0x7f800001
	s_xor_b32 s13, exec_lo, -1
; %bb.14604:                            ;   in Loop: Header=BB6_12675 Depth=3
	s_or_b32 exec_lo, exec_lo, s34
	s_delay_alu instid0(SALU_CYCLE_1)
	s_and_b32 s13, s13, exec_lo
                                        ; implicit-def: $vgpr13
	s_or_saveexec_b32 s31, s31
	v_mov_b32_e32 v12, s30
	s_xor_b32 exec_lo, exec_lo, s31
	s_cbranch_execz .LBB6_13070
.LBB6_14605:                            ;   in Loop: Header=BB6_12675 Depth=3
	v_cmp_ne_u16_e32 vcc_lo, 0, v13
	v_mov_b32_e32 v12, 0
	s_and_not1_b32 s13, s13, exec_lo
	s_and_b32 vcc_lo, vcc_lo, exec_lo
	s_delay_alu instid0(SALU_CYCLE_1)
	s_or_b32 s13, s13, vcc_lo
	s_or_b32 exec_lo, exec_lo, s31
	s_and_saveexec_b32 s30, s13
	s_cbranch_execnz .LBB6_13071
	s_branch .LBB6_13072
.LBB6_14606:                            ;   in Loop: Header=BB6_12675 Depth=3
	s_mov_b32 s13, -1
	s_mov_b32 s34, exec_lo
                                        ; implicit-def: $sgpr30
	v_cmpx_eq_u16_e32 0x80, v12
; %bb.14607:                            ;   in Loop: Header=BB6_12675 Depth=3
	s_mov_b32 s30, 0x7f800001
	s_xor_b32 s13, exec_lo, -1
; %bb.14608:                            ;   in Loop: Header=BB6_12675 Depth=3
	s_or_b32 exec_lo, exec_lo, s34
	s_delay_alu instid0(SALU_CYCLE_1)
	s_and_b32 s13, s13, exec_lo
	s_or_saveexec_b32 s31, s31
	v_mov_b32_e32 v13, s30
	s_xor_b32 exec_lo, exec_lo, s31
	s_cbranch_execz .LBB6_13082
.LBB6_14609:                            ;   in Loop: Header=BB6_12675 Depth=3
	v_cmp_ne_u16_e32 vcc_lo, 0, v12
	v_mov_b32_e32 v13, 0
	s_and_not1_b32 s13, s13, exec_lo
	s_and_b32 vcc_lo, vcc_lo, exec_lo
	s_delay_alu instid0(SALU_CYCLE_1)
	s_or_b32 s13, s13, vcc_lo
	s_or_b32 exec_lo, exec_lo, s31
	s_and_saveexec_b32 s30, s13
	s_cbranch_execnz .LBB6_13083
	s_branch .LBB6_13084
.LBB6_14610:                            ;   in Loop: Header=BB6_12675 Depth=3
	s_mov_b32 s13, -1
	s_mov_b32 s34, exec_lo
                                        ; implicit-def: $sgpr30
	v_cmpx_eq_u16_e32 0x80, v14
; %bb.14611:                            ;   in Loop: Header=BB6_12675 Depth=3
	s_mov_b32 s30, 0x7f800001
	s_xor_b32 s13, exec_lo, -1
; %bb.14612:                            ;   in Loop: Header=BB6_12675 Depth=3
	s_or_b32 exec_lo, exec_lo, s34
	s_delay_alu instid0(SALU_CYCLE_1)
	s_and_b32 s13, s13, exec_lo
                                        ; implicit-def: $vgpr14
	s_or_saveexec_b32 s31, s31
	v_mov_b32_e32 v13, s30
	s_xor_b32 exec_lo, exec_lo, s31
	s_cbranch_execz .LBB6_13094
.LBB6_14613:                            ;   in Loop: Header=BB6_12675 Depth=3
	v_cmp_ne_u16_e32 vcc_lo, 0, v14
	v_mov_b32_e32 v13, 0
	s_and_not1_b32 s13, s13, exec_lo
	s_and_b32 vcc_lo, vcc_lo, exec_lo
	s_delay_alu instid0(SALU_CYCLE_1)
	s_or_b32 s13, s13, vcc_lo
	s_or_b32 exec_lo, exec_lo, s31
	s_and_saveexec_b32 s30, s13
	s_cbranch_execnz .LBB6_13095
	s_branch .LBB6_13096
.LBB6_14614:                            ;   in Loop: Header=BB6_12675 Depth=3
	s_mov_b32 s13, -1
	s_mov_b32 s34, exec_lo
                                        ; implicit-def: $sgpr30
	v_cmpx_eq_u16_e32 0x80, v12
; %bb.14615:                            ;   in Loop: Header=BB6_12675 Depth=3
	s_mov_b32 s30, 0x7f800001
	s_xor_b32 s13, exec_lo, -1
; %bb.14616:                            ;   in Loop: Header=BB6_12675 Depth=3
	s_or_b32 exec_lo, exec_lo, s34
	s_delay_alu instid0(SALU_CYCLE_1)
	s_and_b32 s13, s13, exec_lo
	s_or_saveexec_b32 s31, s31
	v_mov_b32_e32 v13, s30
	s_xor_b32 exec_lo, exec_lo, s31
	s_cbranch_execz .LBB6_13106
.LBB6_14617:                            ;   in Loop: Header=BB6_12675 Depth=3
	v_cmp_ne_u16_e32 vcc_lo, 0, v12
	v_mov_b32_e32 v13, 0
	s_and_not1_b32 s13, s13, exec_lo
	s_and_b32 vcc_lo, vcc_lo, exec_lo
	s_delay_alu instid0(SALU_CYCLE_1)
	s_or_b32 s13, s13, vcc_lo
	s_or_b32 exec_lo, exec_lo, s31
	s_and_saveexec_b32 s30, s13
	s_cbranch_execnz .LBB6_13107
	s_branch .LBB6_13108
.LBB6_14618:                            ;   in Loop: Header=BB6_12675 Depth=3
	s_mov_b32 s13, -1
	s_mov_b32 s34, exec_lo
                                        ; implicit-def: $sgpr30
	v_cmpx_eq_u16_e32 0x80, v12
; %bb.14619:                            ;   in Loop: Header=BB6_12675 Depth=3
	s_mov_b32 s30, 0x7f800001
	s_xor_b32 s13, exec_lo, -1
; %bb.14620:                            ;   in Loop: Header=BB6_12675 Depth=3
	s_or_b32 exec_lo, exec_lo, s34
	s_delay_alu instid0(SALU_CYCLE_1)
	s_and_b32 s13, s13, exec_lo
                                        ; implicit-def: $vgpr12
	s_or_saveexec_b32 s31, s31
	v_mov_b32_e32 v8, s30
	s_xor_b32 exec_lo, exec_lo, s31
	s_cbranch_execz .LBB6_13118
.LBB6_14621:                            ;   in Loop: Header=BB6_12675 Depth=3
	v_cmp_ne_u16_e32 vcc_lo, 0, v12
	v_mov_b32_e32 v8, 0
	s_and_not1_b32 s13, s13, exec_lo
	s_and_b32 vcc_lo, vcc_lo, exec_lo
	s_delay_alu instid0(SALU_CYCLE_1)
	s_or_b32 s13, s13, vcc_lo
	s_or_b32 exec_lo, exec_lo, s31
	s_and_saveexec_b32 s30, s13
	s_cbranch_execnz .LBB6_13119
	s_branch .LBB6_13120
.LBB6_14622:                            ;   in Loop: Header=BB6_12675 Depth=3
	s_mov_b32 s13, -1
	s_mov_b32 s34, exec_lo
                                        ; implicit-def: $sgpr30
	v_cmpx_eq_u16_e32 0x80, v8
; %bb.14623:                            ;   in Loop: Header=BB6_12675 Depth=3
	s_mov_b32 s30, 0x7f800001
	s_xor_b32 s13, exec_lo, -1
; %bb.14624:                            ;   in Loop: Header=BB6_12675 Depth=3
	s_or_b32 exec_lo, exec_lo, s34
	s_delay_alu instid0(SALU_CYCLE_1)
	s_and_b32 s13, s13, exec_lo
	s_or_saveexec_b32 s31, s31
	v_mov_b32_e32 v12, s30
	s_xor_b32 exec_lo, exec_lo, s31
	s_cbranch_execz .LBB6_13130
.LBB6_14625:                            ;   in Loop: Header=BB6_12675 Depth=3
	v_cmp_ne_u16_e32 vcc_lo, 0, v8
	v_mov_b32_e32 v12, 0
	s_and_not1_b32 s13, s13, exec_lo
	s_and_b32 vcc_lo, vcc_lo, exec_lo
	s_delay_alu instid0(SALU_CYCLE_1)
	s_or_b32 s13, s13, vcc_lo
	s_or_b32 exec_lo, exec_lo, s31
	s_and_saveexec_b32 s30, s13
	s_cbranch_execnz .LBB6_13131
	s_branch .LBB6_13132
.LBB6_14626:                            ;   in Loop: Header=BB6_12675 Depth=3
	s_mov_b32 s13, -1
	s_mov_b32 s34, exec_lo
                                        ; implicit-def: $sgpr30
	v_cmpx_eq_u16_e32 0x80, v13
; %bb.14627:                            ;   in Loop: Header=BB6_12675 Depth=3
	s_mov_b32 s30, 0x7f800001
	s_xor_b32 s13, exec_lo, -1
; %bb.14628:                            ;   in Loop: Header=BB6_12675 Depth=3
	s_or_b32 exec_lo, exec_lo, s34
	s_delay_alu instid0(SALU_CYCLE_1)
	s_and_b32 s13, s13, exec_lo
                                        ; implicit-def: $vgpr13
	s_or_saveexec_b32 s31, s31
	v_mov_b32_e32 v12, s30
	s_xor_b32 exec_lo, exec_lo, s31
	s_cbranch_execz .LBB6_13142
.LBB6_14629:                            ;   in Loop: Header=BB6_12675 Depth=3
	v_cmp_ne_u16_e32 vcc_lo, 0, v13
	v_mov_b32_e32 v12, 0
	s_and_not1_b32 s13, s13, exec_lo
	s_and_b32 vcc_lo, vcc_lo, exec_lo
	s_delay_alu instid0(SALU_CYCLE_1)
	s_or_b32 s13, s13, vcc_lo
	s_or_b32 exec_lo, exec_lo, s31
	s_and_saveexec_b32 s30, s13
	s_cbranch_execnz .LBB6_13143
	s_branch .LBB6_13144
.LBB6_14630:                            ;   in Loop: Header=BB6_12675 Depth=3
	s_mov_b32 s13, -1
	s_mov_b32 s34, exec_lo
                                        ; implicit-def: $sgpr30
	v_cmpx_eq_u16_e32 0x80, v8
; %bb.14631:                            ;   in Loop: Header=BB6_12675 Depth=3
	s_mov_b32 s30, 0x7f800001
	s_xor_b32 s13, exec_lo, -1
; %bb.14632:                            ;   in Loop: Header=BB6_12675 Depth=3
	s_or_b32 exec_lo, exec_lo, s34
	s_delay_alu instid0(SALU_CYCLE_1)
	s_and_b32 s13, s13, exec_lo
	s_or_saveexec_b32 s31, s31
	v_mov_b32_e32 v12, s30
	s_xor_b32 exec_lo, exec_lo, s31
	s_cbranch_execz .LBB6_13154
.LBB6_14633:                            ;   in Loop: Header=BB6_12675 Depth=3
	v_cmp_ne_u16_e32 vcc_lo, 0, v8
	v_mov_b32_e32 v12, 0
	s_and_not1_b32 s13, s13, exec_lo
	s_and_b32 vcc_lo, vcc_lo, exec_lo
	s_delay_alu instid0(SALU_CYCLE_1)
	s_or_b32 s13, s13, vcc_lo
	s_or_b32 exec_lo, exec_lo, s31
	s_and_saveexec_b32 s30, s13
	s_cbranch_execnz .LBB6_13155
	s_branch .LBB6_13156
.LBB6_14634:                            ;   in Loop: Header=BB6_12675 Depth=3
	s_mov_b32 s13, -1
	s_mov_b32 s34, exec_lo
                                        ; implicit-def: $sgpr30
	v_cmpx_eq_u16_e32 0x80, v9
; %bb.14635:                            ;   in Loop: Header=BB6_12675 Depth=3
	s_mov_b32 s30, 0x7f800001
	s_xor_b32 s13, exec_lo, -1
; %bb.14636:                            ;   in Loop: Header=BB6_12675 Depth=3
	s_or_b32 exec_lo, exec_lo, s34
	s_delay_alu instid0(SALU_CYCLE_1)
	s_and_b32 s13, s13, exec_lo
                                        ; implicit-def: $vgpr9
	s_or_saveexec_b32 s31, s31
	v_mov_b32_e32 v8, s30
	s_xor_b32 exec_lo, exec_lo, s31
	s_cbranch_execz .LBB6_13166
.LBB6_14637:                            ;   in Loop: Header=BB6_12675 Depth=3
	v_cmp_ne_u16_e32 vcc_lo, 0, v9
	v_mov_b32_e32 v8, 0
	s_and_not1_b32 s13, s13, exec_lo
	s_and_b32 vcc_lo, vcc_lo, exec_lo
	s_delay_alu instid0(SALU_CYCLE_1)
	s_or_b32 s13, s13, vcc_lo
	s_or_b32 exec_lo, exec_lo, s31
	s_and_saveexec_b32 s30, s13
	s_cbranch_execnz .LBB6_13167
	s_branch .LBB6_13168
.LBB6_14638:                            ;   in Loop: Header=BB6_12675 Depth=3
	s_mov_b32 s13, -1
	s_mov_b32 s34, exec_lo
                                        ; implicit-def: $sgpr30
	v_cmpx_eq_u16_e32 0x80, v8
; %bb.14639:                            ;   in Loop: Header=BB6_12675 Depth=3
	s_mov_b32 s30, 0x7f800001
	s_xor_b32 s13, exec_lo, -1
; %bb.14640:                            ;   in Loop: Header=BB6_12675 Depth=3
	s_or_b32 exec_lo, exec_lo, s34
	s_delay_alu instid0(SALU_CYCLE_1)
	s_and_b32 s13, s13, exec_lo
	s_or_saveexec_b32 s31, s31
	v_mov_b32_e32 v9, s30
	s_xor_b32 exec_lo, exec_lo, s31
	s_cbranch_execz .LBB6_13178
.LBB6_14641:                            ;   in Loop: Header=BB6_12675 Depth=3
	v_cmp_ne_u16_e32 vcc_lo, 0, v8
	v_mov_b32_e32 v9, 0
	s_and_not1_b32 s13, s13, exec_lo
	s_and_b32 vcc_lo, vcc_lo, exec_lo
	s_delay_alu instid0(SALU_CYCLE_1)
	s_or_b32 s13, s13, vcc_lo
	s_or_b32 exec_lo, exec_lo, s31
	s_and_saveexec_b32 s30, s13
	s_cbranch_execnz .LBB6_13179
	s_branch .LBB6_13180
.LBB6_14642:                            ;   in Loop: Header=BB6_12675 Depth=3
	s_mov_b32 s13, -1
	s_mov_b32 s34, exec_lo
                                        ; implicit-def: $sgpr30
	v_cmpx_eq_u16_e32 0x80, v12
; %bb.14643:                            ;   in Loop: Header=BB6_12675 Depth=3
	s_mov_b32 s30, 0x7f800001
	s_xor_b32 s13, exec_lo, -1
; %bb.14644:                            ;   in Loop: Header=BB6_12675 Depth=3
	s_or_b32 exec_lo, exec_lo, s34
	s_delay_alu instid0(SALU_CYCLE_1)
	s_and_b32 s13, s13, exec_lo
                                        ; implicit-def: $vgpr12
	s_or_saveexec_b32 s31, s31
	v_mov_b32_e32 v9, s30
	s_xor_b32 exec_lo, exec_lo, s31
	s_cbranch_execz .LBB6_13190
.LBB6_14645:                            ;   in Loop: Header=BB6_12675 Depth=3
	v_cmp_ne_u16_e32 vcc_lo, 0, v12
	v_mov_b32_e32 v9, 0
	s_and_not1_b32 s13, s13, exec_lo
	s_and_b32 vcc_lo, vcc_lo, exec_lo
	s_delay_alu instid0(SALU_CYCLE_1)
	s_or_b32 s13, s13, vcc_lo
	s_or_b32 exec_lo, exec_lo, s31
	s_and_saveexec_b32 s30, s13
	s_cbranch_execnz .LBB6_13191
	s_branch .LBB6_13192
.LBB6_14646:                            ;   in Loop: Header=BB6_12675 Depth=3
	s_mov_b32 s13, -1
	s_mov_b32 s34, exec_lo
                                        ; implicit-def: $sgpr30
	v_cmpx_eq_u16_e32 0x80, v8
; %bb.14647:                            ;   in Loop: Header=BB6_12675 Depth=3
	s_mov_b32 s30, 0x7f800001
	s_xor_b32 s13, exec_lo, -1
; %bb.14648:                            ;   in Loop: Header=BB6_12675 Depth=3
	s_or_b32 exec_lo, exec_lo, s34
	s_delay_alu instid0(SALU_CYCLE_1)
	s_and_b32 s13, s13, exec_lo
	s_or_saveexec_b32 s31, s31
	v_mov_b32_e32 v9, s30
	s_xor_b32 exec_lo, exec_lo, s31
	s_cbranch_execz .LBB6_13202
.LBB6_14649:                            ;   in Loop: Header=BB6_12675 Depth=3
	v_cmp_ne_u16_e32 vcc_lo, 0, v8
	v_mov_b32_e32 v9, 0
	s_and_not1_b32 s13, s13, exec_lo
	s_and_b32 vcc_lo, vcc_lo, exec_lo
	s_delay_alu instid0(SALU_CYCLE_1)
	s_or_b32 s13, s13, vcc_lo
	s_or_b32 exec_lo, exec_lo, s31
	s_and_saveexec_b32 s30, s13
	s_cbranch_execnz .LBB6_13203
	s_branch .LBB6_13204
.LBB6_14650:                            ;   in Loop: Header=BB6_12675 Depth=3
	s_mov_b32 s13, -1
	s_mov_b32 s34, exec_lo
                                        ; implicit-def: $sgpr30
	v_cmpx_eq_u16_e32 0x80, v9
; %bb.14651:                            ;   in Loop: Header=BB6_12675 Depth=3
	s_mov_b32 s30, 0x7f800001
	s_xor_b32 s13, exec_lo, -1
; %bb.14652:                            ;   in Loop: Header=BB6_12675 Depth=3
	s_or_b32 exec_lo, exec_lo, s34
	s_delay_alu instid0(SALU_CYCLE_1)
	s_and_b32 s13, s13, exec_lo
                                        ; implicit-def: $vgpr9
	s_or_saveexec_b32 s31, s31
	v_mov_b32_e32 v8, s30
	s_xor_b32 exec_lo, exec_lo, s31
	s_cbranch_execz .LBB6_13214
.LBB6_14653:                            ;   in Loop: Header=BB6_12675 Depth=3
	v_cmp_ne_u16_e32 vcc_lo, 0, v9
	v_mov_b32_e32 v8, 0
	s_and_not1_b32 s13, s13, exec_lo
	s_and_b32 vcc_lo, vcc_lo, exec_lo
	s_delay_alu instid0(SALU_CYCLE_1)
	s_or_b32 s13, s13, vcc_lo
	s_or_b32 exec_lo, exec_lo, s31
	s_and_saveexec_b32 s30, s13
	s_cbranch_execnz .LBB6_13215
	s_branch .LBB6_13216
.LBB6_14654:                            ;   in Loop: Header=BB6_12675 Depth=3
	s_mov_b32 s13, -1
	s_mov_b32 s34, exec_lo
                                        ; implicit-def: $sgpr30
	v_cmpx_eq_u16_e32 0x80, v8
; %bb.14655:                            ;   in Loop: Header=BB6_12675 Depth=3
	s_mov_b32 s30, 0x7f800001
	s_xor_b32 s13, exec_lo, -1
; %bb.14656:                            ;   in Loop: Header=BB6_12675 Depth=3
	s_or_b32 exec_lo, exec_lo, s34
	s_delay_alu instid0(SALU_CYCLE_1)
	s_and_b32 s13, s13, exec_lo
	s_or_saveexec_b32 s31, s31
	v_mov_b32_e32 v9, s30
	s_xor_b32 exec_lo, exec_lo, s31
	s_cbranch_execz .LBB6_13226
.LBB6_14657:                            ;   in Loop: Header=BB6_12675 Depth=3
	v_cmp_ne_u16_e32 vcc_lo, 0, v8
	v_mov_b32_e32 v9, 0
	s_and_not1_b32 s13, s13, exec_lo
	s_and_b32 vcc_lo, vcc_lo, exec_lo
	s_delay_alu instid0(SALU_CYCLE_1)
	s_or_b32 s13, s13, vcc_lo
	s_or_b32 exec_lo, exec_lo, s31
	s_and_saveexec_b32 s30, s13
	s_cbranch_execnz .LBB6_13227
	s_branch .LBB6_13228
.LBB6_14658:                            ;   in Loop: Header=BB6_12675 Depth=3
	s_mov_b32 s13, -1
	s_mov_b32 s34, exec_lo
                                        ; implicit-def: $sgpr30
	v_cmpx_eq_u16_e32 0x80, v10
; %bb.14659:                            ;   in Loop: Header=BB6_12675 Depth=3
	s_mov_b32 s30, 0x7f800001
	s_xor_b32 s13, exec_lo, -1
; %bb.14660:                            ;   in Loop: Header=BB6_12675 Depth=3
	s_or_b32 exec_lo, exec_lo, s34
	s_delay_alu instid0(SALU_CYCLE_1)
	s_and_b32 s13, s13, exec_lo
                                        ; implicit-def: $vgpr10
	s_or_saveexec_b32 s31, s31
	v_mov_b32_e32 v9, s30
	s_xor_b32 exec_lo, exec_lo, s31
	s_cbranch_execz .LBB6_13238
.LBB6_14661:                            ;   in Loop: Header=BB6_12675 Depth=3
	v_cmp_ne_u16_e32 vcc_lo, 0, v10
	v_mov_b32_e32 v9, 0
	s_and_not1_b32 s13, s13, exec_lo
	s_and_b32 vcc_lo, vcc_lo, exec_lo
	s_delay_alu instid0(SALU_CYCLE_1)
	s_or_b32 s13, s13, vcc_lo
	s_or_b32 exec_lo, exec_lo, s31
	s_and_saveexec_b32 s30, s13
	s_cbranch_execnz .LBB6_13239
	s_branch .LBB6_13240
.LBB6_14662:                            ;   in Loop: Header=BB6_12675 Depth=3
	s_mov_b32 s13, -1
	s_mov_b32 s34, exec_lo
                                        ; implicit-def: $sgpr30
	v_cmpx_eq_u16_e32 0x80, v8
; %bb.14663:                            ;   in Loop: Header=BB6_12675 Depth=3
	s_mov_b32 s30, 0x7f800001
	s_xor_b32 s13, exec_lo, -1
; %bb.14664:                            ;   in Loop: Header=BB6_12675 Depth=3
	s_or_b32 exec_lo, exec_lo, s34
	s_delay_alu instid0(SALU_CYCLE_1)
	s_and_b32 s13, s13, exec_lo
	s_or_saveexec_b32 s31, s31
	v_mov_b32_e32 v9, s30
	s_xor_b32 exec_lo, exec_lo, s31
	s_cbranch_execz .LBB6_13250
.LBB6_14665:                            ;   in Loop: Header=BB6_12675 Depth=3
	v_cmp_ne_u16_e32 vcc_lo, 0, v8
	v_mov_b32_e32 v9, 0
	s_and_not1_b32 s13, s13, exec_lo
	s_and_b32 vcc_lo, vcc_lo, exec_lo
	s_delay_alu instid0(SALU_CYCLE_1)
	s_or_b32 s13, s13, vcc_lo
	s_or_b32 exec_lo, exec_lo, s31
	s_and_saveexec_b32 s30, s13
	s_cbranch_execnz .LBB6_13251
	s_branch .LBB6_13252
.LBB6_14666:                            ;   in Loop: Header=BB6_12675 Depth=3
	s_mov_b32 s13, -1
	s_mov_b32 s34, exec_lo
                                        ; implicit-def: $sgpr30
	v_cmpx_eq_u16_e32 0x80, v13
; %bb.14667:                            ;   in Loop: Header=BB6_12675 Depth=3
	s_mov_b32 s30, 0x7f800001
	s_xor_b32 s13, exec_lo, -1
; %bb.14668:                            ;   in Loop: Header=BB6_12675 Depth=3
	s_or_b32 exec_lo, exec_lo, s34
	s_delay_alu instid0(SALU_CYCLE_1)
	s_and_b32 s13, s13, exec_lo
                                        ; implicit-def: $vgpr13
	s_or_saveexec_b32 s31, s31
	v_mov_b32_e32 v12, s30
	s_xor_b32 exec_lo, exec_lo, s31
	s_cbranch_execz .LBB6_13262
.LBB6_14669:                            ;   in Loop: Header=BB6_12675 Depth=3
	v_cmp_ne_u16_e32 vcc_lo, 0, v13
	v_mov_b32_e32 v12, 0
	s_and_not1_b32 s13, s13, exec_lo
	s_and_b32 vcc_lo, vcc_lo, exec_lo
	s_delay_alu instid0(SALU_CYCLE_1)
	s_or_b32 s13, s13, vcc_lo
	s_or_b32 exec_lo, exec_lo, s31
	s_and_saveexec_b32 s30, s13
	s_cbranch_execnz .LBB6_13263
	s_branch .LBB6_13264
.LBB6_14670:                            ;   in Loop: Header=BB6_12675 Depth=3
	s_mov_b32 s13, -1
	s_mov_b32 s34, exec_lo
                                        ; implicit-def: $sgpr30
	v_cmpx_eq_u16_e32 0x80, v12
; %bb.14671:                            ;   in Loop: Header=BB6_12675 Depth=3
	s_mov_b32 s30, 0x7f800001
	s_xor_b32 s13, exec_lo, -1
; %bb.14672:                            ;   in Loop: Header=BB6_12675 Depth=3
	s_or_b32 exec_lo, exec_lo, s34
	s_delay_alu instid0(SALU_CYCLE_1)
	s_and_b32 s13, s13, exec_lo
	s_or_saveexec_b32 s31, s31
	v_mov_b32_e32 v13, s30
	s_xor_b32 exec_lo, exec_lo, s31
	s_cbranch_execz .LBB6_13274
.LBB6_14673:                            ;   in Loop: Header=BB6_12675 Depth=3
	v_cmp_ne_u16_e32 vcc_lo, 0, v12
	v_mov_b32_e32 v13, 0
	s_and_not1_b32 s13, s13, exec_lo
	s_and_b32 vcc_lo, vcc_lo, exec_lo
	s_delay_alu instid0(SALU_CYCLE_1)
	s_or_b32 s13, s13, vcc_lo
	s_or_b32 exec_lo, exec_lo, s31
	s_and_saveexec_b32 s30, s13
	s_cbranch_execnz .LBB6_13275
	s_branch .LBB6_13276
.LBB6_14674:                            ;   in Loop: Header=BB6_12675 Depth=3
	s_mov_b32 s13, -1
	s_mov_b32 s34, exec_lo
                                        ; implicit-def: $sgpr30
	v_cmpx_eq_u16_e32 0x80, v14
; %bb.14675:                            ;   in Loop: Header=BB6_12675 Depth=3
	s_mov_b32 s30, 0x7f800001
	s_xor_b32 s13, exec_lo, -1
; %bb.14676:                            ;   in Loop: Header=BB6_12675 Depth=3
	s_or_b32 exec_lo, exec_lo, s34
	s_delay_alu instid0(SALU_CYCLE_1)
	s_and_b32 s13, s13, exec_lo
                                        ; implicit-def: $vgpr14
	s_or_saveexec_b32 s31, s31
	v_mov_b32_e32 v13, s30
	s_xor_b32 exec_lo, exec_lo, s31
	s_cbranch_execz .LBB6_13286
.LBB6_14677:                            ;   in Loop: Header=BB6_12675 Depth=3
	v_cmp_ne_u16_e32 vcc_lo, 0, v14
	v_mov_b32_e32 v13, 0
	s_and_not1_b32 s13, s13, exec_lo
	s_and_b32 vcc_lo, vcc_lo, exec_lo
	s_delay_alu instid0(SALU_CYCLE_1)
	s_or_b32 s13, s13, vcc_lo
	s_or_b32 exec_lo, exec_lo, s31
	s_and_saveexec_b32 s30, s13
	s_cbranch_execnz .LBB6_13287
	s_branch .LBB6_13288
.LBB6_14678:                            ;   in Loop: Header=BB6_12675 Depth=3
	s_mov_b32 s13, -1
	s_mov_b32 s34, exec_lo
                                        ; implicit-def: $sgpr30
	v_cmpx_eq_u16_e32 0x80, v12
; %bb.14679:                            ;   in Loop: Header=BB6_12675 Depth=3
	s_mov_b32 s30, 0x7f800001
	s_xor_b32 s13, exec_lo, -1
; %bb.14680:                            ;   in Loop: Header=BB6_12675 Depth=3
	s_or_b32 exec_lo, exec_lo, s34
	s_delay_alu instid0(SALU_CYCLE_1)
	s_and_b32 s13, s13, exec_lo
	s_or_saveexec_b32 s31, s31
	v_mov_b32_e32 v13, s30
	s_xor_b32 exec_lo, exec_lo, s31
	s_cbranch_execz .LBB6_13298
.LBB6_14681:                            ;   in Loop: Header=BB6_12675 Depth=3
	v_cmp_ne_u16_e32 vcc_lo, 0, v12
	v_mov_b32_e32 v13, 0
	s_and_not1_b32 s13, s13, exec_lo
	s_and_b32 vcc_lo, vcc_lo, exec_lo
	s_delay_alu instid0(SALU_CYCLE_1)
	s_or_b32 s13, s13, vcc_lo
	s_or_b32 exec_lo, exec_lo, s31
	s_and_saveexec_b32 s30, s13
	s_cbranch_execnz .LBB6_13299
	s_branch .LBB6_13300
.LBB6_14682:                            ;   in Loop: Header=BB6_12675 Depth=3
	s_mov_b32 s13, -1
	s_mov_b32 s34, exec_lo
                                        ; implicit-def: $sgpr30
	v_cmpx_eq_u16_e32 0x80, v12
; %bb.14683:                            ;   in Loop: Header=BB6_12675 Depth=3
	s_mov_b32 s30, 0x7f800001
	s_xor_b32 s13, exec_lo, -1
; %bb.14684:                            ;   in Loop: Header=BB6_12675 Depth=3
	s_or_b32 exec_lo, exec_lo, s34
	s_delay_alu instid0(SALU_CYCLE_1)
	s_and_b32 s13, s13, exec_lo
                                        ; implicit-def: $vgpr12
	s_or_saveexec_b32 s31, s31
	v_mov_b32_e32 v8, s30
	s_xor_b32 exec_lo, exec_lo, s31
	s_cbranch_execz .LBB6_13310
.LBB6_14685:                            ;   in Loop: Header=BB6_12675 Depth=3
	v_cmp_ne_u16_e32 vcc_lo, 0, v12
	v_mov_b32_e32 v8, 0
	s_and_not1_b32 s13, s13, exec_lo
	s_and_b32 vcc_lo, vcc_lo, exec_lo
	s_delay_alu instid0(SALU_CYCLE_1)
	s_or_b32 s13, s13, vcc_lo
	s_or_b32 exec_lo, exec_lo, s31
	s_and_saveexec_b32 s30, s13
	s_cbranch_execnz .LBB6_13311
	s_branch .LBB6_13312
.LBB6_14686:                            ;   in Loop: Header=BB6_12675 Depth=3
	s_mov_b32 s13, -1
	s_mov_b32 s34, exec_lo
                                        ; implicit-def: $sgpr30
	v_cmpx_eq_u16_e32 0x80, v8
; %bb.14687:                            ;   in Loop: Header=BB6_12675 Depth=3
	s_mov_b32 s30, 0x7f800001
	s_xor_b32 s13, exec_lo, -1
; %bb.14688:                            ;   in Loop: Header=BB6_12675 Depth=3
	s_or_b32 exec_lo, exec_lo, s34
	s_delay_alu instid0(SALU_CYCLE_1)
	s_and_b32 s13, s13, exec_lo
	s_or_saveexec_b32 s31, s31
	v_mov_b32_e32 v12, s30
	s_xor_b32 exec_lo, exec_lo, s31
	s_cbranch_execz .LBB6_13322
.LBB6_14689:                            ;   in Loop: Header=BB6_12675 Depth=3
	v_cmp_ne_u16_e32 vcc_lo, 0, v8
	v_mov_b32_e32 v12, 0
	s_and_not1_b32 s13, s13, exec_lo
	s_and_b32 vcc_lo, vcc_lo, exec_lo
	s_delay_alu instid0(SALU_CYCLE_1)
	s_or_b32 s13, s13, vcc_lo
	s_or_b32 exec_lo, exec_lo, s31
	s_and_saveexec_b32 s30, s13
	s_cbranch_execnz .LBB6_13323
	s_branch .LBB6_13324
.LBB6_14690:                            ;   in Loop: Header=BB6_12675 Depth=3
	s_mov_b32 s13, -1
	s_mov_b32 s34, exec_lo
                                        ; implicit-def: $sgpr30
	v_cmpx_eq_u16_e32 0x80, v13
; %bb.14691:                            ;   in Loop: Header=BB6_12675 Depth=3
	s_mov_b32 s30, 0x7f800001
	s_xor_b32 s13, exec_lo, -1
; %bb.14692:                            ;   in Loop: Header=BB6_12675 Depth=3
	s_or_b32 exec_lo, exec_lo, s34
	s_delay_alu instid0(SALU_CYCLE_1)
	s_and_b32 s13, s13, exec_lo
                                        ; implicit-def: $vgpr13
	s_or_saveexec_b32 s31, s31
	v_mov_b32_e32 v12, s30
	s_xor_b32 exec_lo, exec_lo, s31
	s_cbranch_execz .LBB6_13334
.LBB6_14693:                            ;   in Loop: Header=BB6_12675 Depth=3
	v_cmp_ne_u16_e32 vcc_lo, 0, v13
	v_mov_b32_e32 v12, 0
	s_and_not1_b32 s13, s13, exec_lo
	s_and_b32 vcc_lo, vcc_lo, exec_lo
	s_delay_alu instid0(SALU_CYCLE_1)
	s_or_b32 s13, s13, vcc_lo
	s_or_b32 exec_lo, exec_lo, s31
	s_and_saveexec_b32 s30, s13
	s_cbranch_execnz .LBB6_13335
	s_branch .LBB6_13336
.LBB6_14694:                            ;   in Loop: Header=BB6_12675 Depth=3
	s_mov_b32 s13, -1
	s_mov_b32 s34, exec_lo
                                        ; implicit-def: $sgpr30
	v_cmpx_eq_u16_e32 0x80, v8
; %bb.14695:                            ;   in Loop: Header=BB6_12675 Depth=3
	s_mov_b32 s30, 0x7f800001
	s_xor_b32 s13, exec_lo, -1
; %bb.14696:                            ;   in Loop: Header=BB6_12675 Depth=3
	s_or_b32 exec_lo, exec_lo, s34
	s_delay_alu instid0(SALU_CYCLE_1)
	s_and_b32 s13, s13, exec_lo
	s_or_saveexec_b32 s31, s31
	v_mov_b32_e32 v12, s30
	s_xor_b32 exec_lo, exec_lo, s31
	s_cbranch_execz .LBB6_13346
.LBB6_14697:                            ;   in Loop: Header=BB6_12675 Depth=3
	v_cmp_ne_u16_e32 vcc_lo, 0, v8
	v_mov_b32_e32 v12, 0
	s_and_not1_b32 s13, s13, exec_lo
	s_and_b32 vcc_lo, vcc_lo, exec_lo
	s_delay_alu instid0(SALU_CYCLE_1)
	s_or_b32 s13, s13, vcc_lo
	s_or_b32 exec_lo, exec_lo, s31
	s_and_saveexec_b32 s30, s13
	s_cbranch_execnz .LBB6_13347
	s_branch .LBB6_13348
.LBB6_14698:                            ;   in Loop: Header=BB6_12675 Depth=3
	s_mov_b32 s13, -1
	s_mov_b32 s34, exec_lo
                                        ; implicit-def: $sgpr30
	v_cmpx_eq_u16_e32 0x80, v9
; %bb.14699:                            ;   in Loop: Header=BB6_12675 Depth=3
	s_mov_b32 s30, 0x7f800001
	s_xor_b32 s13, exec_lo, -1
; %bb.14700:                            ;   in Loop: Header=BB6_12675 Depth=3
	s_or_b32 exec_lo, exec_lo, s34
	s_delay_alu instid0(SALU_CYCLE_1)
	s_and_b32 s13, s13, exec_lo
                                        ; implicit-def: $vgpr9
	s_or_saveexec_b32 s31, s31
	v_mov_b32_e32 v8, s30
	s_xor_b32 exec_lo, exec_lo, s31
	s_cbranch_execz .LBB6_13358
.LBB6_14701:                            ;   in Loop: Header=BB6_12675 Depth=3
	v_cmp_ne_u16_e32 vcc_lo, 0, v9
	v_mov_b32_e32 v8, 0
	s_and_not1_b32 s13, s13, exec_lo
	s_and_b32 vcc_lo, vcc_lo, exec_lo
	s_delay_alu instid0(SALU_CYCLE_1)
	s_or_b32 s13, s13, vcc_lo
	s_or_b32 exec_lo, exec_lo, s31
	s_and_saveexec_b32 s30, s13
	s_cbranch_execnz .LBB6_13359
	s_branch .LBB6_13360
.LBB6_14702:                            ;   in Loop: Header=BB6_12675 Depth=3
	s_mov_b32 s13, -1
	s_mov_b32 s34, exec_lo
                                        ; implicit-def: $sgpr30
	v_cmpx_eq_u16_e32 0x80, v8
; %bb.14703:                            ;   in Loop: Header=BB6_12675 Depth=3
	s_mov_b32 s30, 0x7f800001
	s_xor_b32 s13, exec_lo, -1
; %bb.14704:                            ;   in Loop: Header=BB6_12675 Depth=3
	s_or_b32 exec_lo, exec_lo, s34
	s_delay_alu instid0(SALU_CYCLE_1)
	s_and_b32 s13, s13, exec_lo
	s_or_saveexec_b32 s31, s31
	v_mov_b32_e32 v9, s30
	s_xor_b32 exec_lo, exec_lo, s31
	s_cbranch_execz .LBB6_13370
.LBB6_14705:                            ;   in Loop: Header=BB6_12675 Depth=3
	v_cmp_ne_u16_e32 vcc_lo, 0, v8
	v_mov_b32_e32 v9, 0
	s_and_not1_b32 s13, s13, exec_lo
	s_and_b32 vcc_lo, vcc_lo, exec_lo
	s_delay_alu instid0(SALU_CYCLE_1)
	s_or_b32 s13, s13, vcc_lo
	s_or_b32 exec_lo, exec_lo, s31
	s_and_saveexec_b32 s30, s13
	s_cbranch_execnz .LBB6_13371
	s_branch .LBB6_13372
.LBB6_14706:                            ;   in Loop: Header=BB6_12675 Depth=3
	s_mov_b32 s13, -1
	s_mov_b32 s34, exec_lo
                                        ; implicit-def: $sgpr30
	v_cmpx_eq_u16_e32 0x80, v12
; %bb.14707:                            ;   in Loop: Header=BB6_12675 Depth=3
	s_mov_b32 s30, 0x7f800001
	s_xor_b32 s13, exec_lo, -1
; %bb.14708:                            ;   in Loop: Header=BB6_12675 Depth=3
	s_or_b32 exec_lo, exec_lo, s34
	s_delay_alu instid0(SALU_CYCLE_1)
	s_and_b32 s13, s13, exec_lo
                                        ; implicit-def: $vgpr12
	s_or_saveexec_b32 s31, s31
	v_mov_b32_e32 v9, s30
	s_xor_b32 exec_lo, exec_lo, s31
	s_cbranch_execz .LBB6_13382
.LBB6_14709:                            ;   in Loop: Header=BB6_12675 Depth=3
	v_cmp_ne_u16_e32 vcc_lo, 0, v12
	v_mov_b32_e32 v9, 0
	s_and_not1_b32 s13, s13, exec_lo
	s_and_b32 vcc_lo, vcc_lo, exec_lo
	s_delay_alu instid0(SALU_CYCLE_1)
	s_or_b32 s13, s13, vcc_lo
	s_or_b32 exec_lo, exec_lo, s31
	s_and_saveexec_b32 s30, s13
	s_cbranch_execnz .LBB6_13383
	s_branch .LBB6_13384
.LBB6_14710:                            ;   in Loop: Header=BB6_12675 Depth=3
	s_mov_b32 s13, -1
	s_mov_b32 s34, exec_lo
                                        ; implicit-def: $sgpr30
	v_cmpx_eq_u16_e32 0x80, v8
; %bb.14711:                            ;   in Loop: Header=BB6_12675 Depth=3
	s_mov_b32 s30, 0x7f800001
	s_xor_b32 s13, exec_lo, -1
; %bb.14712:                            ;   in Loop: Header=BB6_12675 Depth=3
	s_or_b32 exec_lo, exec_lo, s34
	s_delay_alu instid0(SALU_CYCLE_1)
	s_and_b32 s13, s13, exec_lo
	s_or_saveexec_b32 s31, s31
	v_mov_b32_e32 v9, s30
	s_xor_b32 exec_lo, exec_lo, s31
	s_cbranch_execz .LBB6_13394
.LBB6_14713:                            ;   in Loop: Header=BB6_12675 Depth=3
	v_cmp_ne_u16_e32 vcc_lo, 0, v8
	v_mov_b32_e32 v9, 0
	s_and_not1_b32 s13, s13, exec_lo
	s_and_b32 vcc_lo, vcc_lo, exec_lo
	s_delay_alu instid0(SALU_CYCLE_1)
	s_or_b32 s13, s13, vcc_lo
	s_or_b32 exec_lo, exec_lo, s31
	s_and_saveexec_b32 s30, s13
	s_cbranch_execnz .LBB6_13395
	s_branch .LBB6_13396
.LBB6_14714:                            ;   in Loop: Header=BB6_12675 Depth=3
	s_mov_b32 s13, -1
	s_mov_b32 s34, exec_lo
                                        ; implicit-def: $sgpr30
	v_cmpx_eq_u16_e32 0x80, v9
; %bb.14715:                            ;   in Loop: Header=BB6_12675 Depth=3
	s_mov_b32 s30, 0x7f800001
	s_xor_b32 s13, exec_lo, -1
; %bb.14716:                            ;   in Loop: Header=BB6_12675 Depth=3
	s_or_b32 exec_lo, exec_lo, s34
	s_delay_alu instid0(SALU_CYCLE_1)
	s_and_b32 s13, s13, exec_lo
                                        ; implicit-def: $vgpr9
	s_or_saveexec_b32 s31, s31
	v_mov_b32_e32 v8, s30
	s_xor_b32 exec_lo, exec_lo, s31
	s_cbranch_execz .LBB6_13406
.LBB6_14717:                            ;   in Loop: Header=BB6_12675 Depth=3
	v_cmp_ne_u16_e32 vcc_lo, 0, v9
	v_mov_b32_e32 v8, 0
	s_and_not1_b32 s13, s13, exec_lo
	s_and_b32 vcc_lo, vcc_lo, exec_lo
	s_delay_alu instid0(SALU_CYCLE_1)
	s_or_b32 s13, s13, vcc_lo
	s_or_b32 exec_lo, exec_lo, s31
	s_and_saveexec_b32 s30, s13
	s_cbranch_execnz .LBB6_13407
	s_branch .LBB6_13408
.LBB6_14718:                            ;   in Loop: Header=BB6_12675 Depth=3
	s_mov_b32 s13, -1
	s_mov_b32 s34, exec_lo
                                        ; implicit-def: $sgpr30
	v_cmpx_eq_u16_e32 0x80, v8
; %bb.14719:                            ;   in Loop: Header=BB6_12675 Depth=3
	s_mov_b32 s30, 0x7f800001
	s_xor_b32 s13, exec_lo, -1
; %bb.14720:                            ;   in Loop: Header=BB6_12675 Depth=3
	s_or_b32 exec_lo, exec_lo, s34
	s_delay_alu instid0(SALU_CYCLE_1)
	s_and_b32 s13, s13, exec_lo
	s_or_saveexec_b32 s31, s31
	v_mov_b32_e32 v9, s30
	s_xor_b32 exec_lo, exec_lo, s31
	s_cbranch_execz .LBB6_13418
.LBB6_14721:                            ;   in Loop: Header=BB6_12675 Depth=3
	v_cmp_ne_u16_e32 vcc_lo, 0, v8
	v_mov_b32_e32 v9, 0
	s_and_not1_b32 s13, s13, exec_lo
	s_and_b32 vcc_lo, vcc_lo, exec_lo
	s_delay_alu instid0(SALU_CYCLE_1)
	s_or_b32 s13, s13, vcc_lo
	s_or_b32 exec_lo, exec_lo, s31
	s_and_saveexec_b32 s30, s13
	s_cbranch_execnz .LBB6_13419
	s_branch .LBB6_13420
.LBB6_14722:                            ;   in Loop: Header=BB6_12675 Depth=3
	s_mov_b32 s13, -1
	s_mov_b32 s34, exec_lo
                                        ; implicit-def: $sgpr30
	v_cmpx_eq_u16_e32 0x80, v10
; %bb.14723:                            ;   in Loop: Header=BB6_12675 Depth=3
	s_mov_b32 s30, 0x7f800001
	s_xor_b32 s13, exec_lo, -1
; %bb.14724:                            ;   in Loop: Header=BB6_12675 Depth=3
	s_or_b32 exec_lo, exec_lo, s34
	s_delay_alu instid0(SALU_CYCLE_1)
	s_and_b32 s13, s13, exec_lo
                                        ; implicit-def: $vgpr10
	s_or_saveexec_b32 s31, s31
	v_mov_b32_e32 v9, s30
	s_xor_b32 exec_lo, exec_lo, s31
	s_cbranch_execz .LBB6_13430
.LBB6_14725:                            ;   in Loop: Header=BB6_12675 Depth=3
	v_cmp_ne_u16_e32 vcc_lo, 0, v10
	v_mov_b32_e32 v9, 0
	s_and_not1_b32 s13, s13, exec_lo
	s_and_b32 vcc_lo, vcc_lo, exec_lo
	s_delay_alu instid0(SALU_CYCLE_1)
	s_or_b32 s13, s13, vcc_lo
	s_or_b32 exec_lo, exec_lo, s31
	s_and_saveexec_b32 s30, s13
	s_cbranch_execnz .LBB6_13431
	s_branch .LBB6_13432
.LBB6_14726:                            ;   in Loop: Header=BB6_12675 Depth=3
	s_mov_b32 s13, -1
	s_mov_b32 s34, exec_lo
                                        ; implicit-def: $sgpr30
	v_cmpx_eq_u16_e32 0x80, v8
; %bb.14727:                            ;   in Loop: Header=BB6_12675 Depth=3
	s_mov_b32 s30, 0x7f800001
	s_xor_b32 s13, exec_lo, -1
; %bb.14728:                            ;   in Loop: Header=BB6_12675 Depth=3
	s_or_b32 exec_lo, exec_lo, s34
	s_delay_alu instid0(SALU_CYCLE_1)
	s_and_b32 s13, s13, exec_lo
	s_or_saveexec_b32 s31, s31
	v_mov_b32_e32 v9, s30
	s_xor_b32 exec_lo, exec_lo, s31
	s_cbranch_execz .LBB6_13442
.LBB6_14729:                            ;   in Loop: Header=BB6_12675 Depth=3
	v_cmp_ne_u16_e32 vcc_lo, 0, v8
	v_mov_b32_e32 v9, 0
	s_and_not1_b32 s13, s13, exec_lo
	s_and_b32 vcc_lo, vcc_lo, exec_lo
	s_delay_alu instid0(SALU_CYCLE_1)
	s_or_b32 s13, s13, vcc_lo
	s_or_b32 exec_lo, exec_lo, s31
	s_and_saveexec_b32 s30, s13
	s_cbranch_execnz .LBB6_13443
	s_branch .LBB6_13444
.LBB6_14730:                            ;   in Loop: Header=BB6_12675 Depth=3
	s_mov_b32 s13, -1
	s_mov_b32 s31, exec_lo
                                        ; implicit-def: $sgpr17
	v_cmpx_eq_u16_e32 0x80, v27
; %bb.14731:                            ;   in Loop: Header=BB6_12675 Depth=3
	s_mov_b32 s17, 0x7f800001
	s_xor_b32 s13, exec_lo, -1
; %bb.14732:                            ;   in Loop: Header=BB6_12675 Depth=3
	s_or_b32 exec_lo, exec_lo, s31
	s_delay_alu instid0(SALU_CYCLE_1)
	s_and_b32 s13, s13, exec_lo
                                        ; implicit-def: $vgpr27
	s_or_saveexec_b32 s30, s30
	v_mov_b32_e32 v26, s17
	s_xor_b32 exec_lo, exec_lo, s30
	s_cbranch_execz .LBB6_13454
.LBB6_14733:                            ;   in Loop: Header=BB6_12675 Depth=3
	v_cmp_ne_u16_e32 vcc_lo, 0, v27
	v_mov_b32_e32 v26, 0
	s_and_not1_b32 s13, s13, exec_lo
	s_and_b32 s17, vcc_lo, exec_lo
	s_delay_alu instid0(SALU_CYCLE_1)
	s_or_b32 s13, s13, s17
	s_or_b32 exec_lo, exec_lo, s30
	s_and_saveexec_b32 s17, s13
	s_cbranch_execnz .LBB6_13455
	s_branch .LBB6_13456
.LBB6_14734:                            ;   in Loop: Header=BB6_12675 Depth=3
	s_mov_b32 s13, -1
	s_mov_b32 s31, exec_lo
                                        ; implicit-def: $sgpr17
	v_cmpx_eq_u16_e32 0x80, v36
; %bb.14735:                            ;   in Loop: Header=BB6_12675 Depth=3
	s_mov_b32 s17, 0x7f800001
	s_xor_b32 s13, exec_lo, -1
; %bb.14736:                            ;   in Loop: Header=BB6_12675 Depth=3
	s_or_b32 exec_lo, exec_lo, s31
	s_delay_alu instid0(SALU_CYCLE_1)
	s_and_b32 s13, s13, exec_lo
                                        ; implicit-def: $vgpr36
	s_or_saveexec_b32 s30, s30
	v_mov_b32_e32 v27, s17
	s_xor_b32 exec_lo, exec_lo, s30
	s_cbranch_execz .LBB6_13458
.LBB6_14737:                            ;   in Loop: Header=BB6_12675 Depth=3
	v_cmp_ne_u16_e32 vcc_lo, 0, v36
	v_mov_b32_e32 v27, 0
	s_and_not1_b32 s13, s13, exec_lo
	s_and_b32 s17, vcc_lo, exec_lo
	s_delay_alu instid0(SALU_CYCLE_1)
	s_or_b32 s13, s13, s17
	s_or_b32 exec_lo, exec_lo, s30
	s_and_saveexec_b32 s17, s13
	s_cbranch_execnz .LBB6_13459
	s_branch .LBB6_13460
.LBB6_14738:                            ;   in Loop: Header=BB6_12675 Depth=3
	s_mov_b32 s13, -1
	s_mov_b32 s31, exec_lo
                                        ; implicit-def: $sgpr17
	v_cmpx_eq_u16_e32 0x80, v27
; %bb.14739:                            ;   in Loop: Header=BB6_12675 Depth=3
	s_mov_b32 s17, 0x7f800001
	s_xor_b32 s13, exec_lo, -1
; %bb.14740:                            ;   in Loop: Header=BB6_12675 Depth=3
	s_or_b32 exec_lo, exec_lo, s31
	s_delay_alu instid0(SALU_CYCLE_1)
	s_and_b32 s13, s13, exec_lo
                                        ; implicit-def: $vgpr27
	s_or_saveexec_b32 s30, s30
	v_mov_b32_e32 v26, s17
	s_xor_b32 exec_lo, exec_lo, s30
	s_cbranch_execz .LBB6_13470
.LBB6_14741:                            ;   in Loop: Header=BB6_12675 Depth=3
	v_cmp_ne_u16_e32 vcc_lo, 0, v27
	v_mov_b32_e32 v26, 0
	s_and_not1_b32 s13, s13, exec_lo
	s_and_b32 s17, vcc_lo, exec_lo
	s_delay_alu instid0(SALU_CYCLE_1)
	s_or_b32 s13, s13, s17
	s_or_b32 exec_lo, exec_lo, s30
	s_and_saveexec_b32 s17, s13
	s_cbranch_execnz .LBB6_13471
	s_branch .LBB6_13472
.LBB6_14742:                            ;   in Loop: Header=BB6_12675 Depth=3
	s_mov_b32 s13, -1
	s_mov_b32 s31, exec_lo
                                        ; implicit-def: $sgpr17
	v_cmpx_eq_u16_e32 0x80, v27
; %bb.14743:                            ;   in Loop: Header=BB6_12675 Depth=3
	s_mov_b32 s17, 0x7f800001
	s_xor_b32 s13, exec_lo, -1
; %bb.14744:                            ;   in Loop: Header=BB6_12675 Depth=3
	s_or_b32 exec_lo, exec_lo, s31
	s_delay_alu instid0(SALU_CYCLE_1)
	s_and_b32 s13, s13, exec_lo
	s_or_saveexec_b32 s30, s30
	v_mov_b32_e32 v36, s17
	s_xor_b32 exec_lo, exec_lo, s30
	s_cbranch_execz .LBB6_13474
.LBB6_14745:                            ;   in Loop: Header=BB6_12675 Depth=3
	v_cmp_ne_u16_e32 vcc_lo, 0, v27
	v_mov_b32_e32 v36, 0
	s_and_not1_b32 s13, s13, exec_lo
	s_and_b32 s17, vcc_lo, exec_lo
	s_delay_alu instid0(SALU_CYCLE_1)
	s_or_b32 s13, s13, s17
	s_or_b32 exec_lo, exec_lo, s30
	s_and_saveexec_b32 s17, s13
	s_cbranch_execnz .LBB6_13475
	s_branch .LBB6_13476
.LBB6_14746:                            ;   in Loop: Header=BB6_12675 Depth=3
	s_mov_b32 s13, -1
	s_mov_b32 s31, exec_lo
                                        ; implicit-def: $sgpr17
	v_cmpx_eq_u16_e32 0x80, v27
; %bb.14747:                            ;   in Loop: Header=BB6_12675 Depth=3
	s_mov_b32 s17, 0x7f800001
	s_xor_b32 s13, exec_lo, -1
; %bb.14748:                            ;   in Loop: Header=BB6_12675 Depth=3
	s_or_b32 exec_lo, exec_lo, s31
	s_delay_alu instid0(SALU_CYCLE_1)
	s_and_b32 s13, s13, exec_lo
                                        ; implicit-def: $vgpr27
	s_or_saveexec_b32 s30, s30
	v_mov_b32_e32 v26, s17
	s_xor_b32 exec_lo, exec_lo, s30
	s_cbranch_execz .LBB6_13486
.LBB6_14749:                            ;   in Loop: Header=BB6_12675 Depth=3
	v_cmp_ne_u16_e32 vcc_lo, 0, v27
	v_mov_b32_e32 v26, 0
	s_and_not1_b32 s13, s13, exec_lo
	s_and_b32 s17, vcc_lo, exec_lo
	s_delay_alu instid0(SALU_CYCLE_1)
	s_or_b32 s13, s13, s17
	s_or_b32 exec_lo, exec_lo, s30
	s_and_saveexec_b32 s17, s13
	s_cbranch_execnz .LBB6_13487
	s_branch .LBB6_13488
.LBB6_14750:                            ;   in Loop: Header=BB6_12675 Depth=3
	s_mov_b32 s13, -1
	s_mov_b32 s31, exec_lo
                                        ; implicit-def: $sgpr17
	v_cmpx_eq_u16_e32 0x80, v37
; %bb.14751:                            ;   in Loop: Header=BB6_12675 Depth=3
	s_mov_b32 s17, 0x7f800001
	s_xor_b32 s13, exec_lo, -1
; %bb.14752:                            ;   in Loop: Header=BB6_12675 Depth=3
	s_or_b32 exec_lo, exec_lo, s31
	s_delay_alu instid0(SALU_CYCLE_1)
	s_and_b32 s13, s13, exec_lo
                                        ; implicit-def: $vgpr37
	s_or_saveexec_b32 s30, s30
	v_mov_b32_e32 v36, s17
	s_xor_b32 exec_lo, exec_lo, s30
	s_cbranch_execz .LBB6_13490
.LBB6_14753:                            ;   in Loop: Header=BB6_12675 Depth=3
	v_cmp_ne_u16_e32 vcc_lo, 0, v37
	v_mov_b32_e32 v36, 0
	s_and_not1_b32 s13, s13, exec_lo
	s_and_b32 s17, vcc_lo, exec_lo
	s_delay_alu instid0(SALU_CYCLE_1)
	s_or_b32 s13, s13, s17
	s_or_b32 exec_lo, exec_lo, s30
	s_and_saveexec_b32 s17, s13
	s_cbranch_execnz .LBB6_13491
	s_branch .LBB6_13492
.LBB6_14754:                            ;   in Loop: Header=BB6_12675 Depth=3
	s_mov_b32 s13, -1
	s_mov_b32 s31, exec_lo
                                        ; implicit-def: $sgpr17
	v_cmpx_eq_u16_e32 0x80, v27
; %bb.14755:                            ;   in Loop: Header=BB6_12675 Depth=3
	s_mov_b32 s17, 0x7f800001
	s_xor_b32 s13, exec_lo, -1
; %bb.14756:                            ;   in Loop: Header=BB6_12675 Depth=3
	s_or_b32 exec_lo, exec_lo, s31
	s_delay_alu instid0(SALU_CYCLE_1)
	s_and_b32 s13, s13, exec_lo
	s_or_saveexec_b32 s30, s30
	v_mov_b32_e32 v26, s17
	s_xor_b32 exec_lo, exec_lo, s30
	s_cbranch_execz .LBB6_13502
.LBB6_14757:                            ;   in Loop: Header=BB6_12675 Depth=3
	v_cmp_ne_u16_e32 vcc_lo, 0, v27
	v_mov_b32_e32 v26, 0
	s_and_not1_b32 s13, s13, exec_lo
	s_and_b32 s17, vcc_lo, exec_lo
	s_delay_alu instid0(SALU_CYCLE_1)
	s_or_b32 s13, s13, s17
	s_or_b32 exec_lo, exec_lo, s30
	s_and_saveexec_b32 s17, s13
	s_cbranch_execnz .LBB6_13503
	s_branch .LBB6_13504
.LBB6_14758:                            ;   in Loop: Header=BB6_12675 Depth=3
	s_mov_b32 s13, -1
	s_mov_b32 s31, exec_lo
                                        ; implicit-def: $sgpr17
	v_cmpx_eq_u16_e32 0x80, v27
; %bb.14759:                            ;   in Loop: Header=BB6_12675 Depth=3
	s_mov_b32 s17, 0x7f800001
	s_xor_b32 s13, exec_lo, -1
; %bb.14760:                            ;   in Loop: Header=BB6_12675 Depth=3
	s_or_b32 exec_lo, exec_lo, s31
	s_delay_alu instid0(SALU_CYCLE_1)
	s_and_b32 s13, s13, exec_lo
	s_or_saveexec_b32 s30, s30
	v_mov_b32_e32 v36, s17
	s_xor_b32 exec_lo, exec_lo, s30
	s_cbranch_execz .LBB6_13506
.LBB6_14761:                            ;   in Loop: Header=BB6_12675 Depth=3
	v_cmp_ne_u16_e32 vcc_lo, 0, v27
	v_mov_b32_e32 v36, 0
	s_and_not1_b32 s13, s13, exec_lo
	s_and_b32 s17, vcc_lo, exec_lo
	s_delay_alu instid0(SALU_CYCLE_1)
	s_or_b32 s13, s13, s17
	s_or_b32 exec_lo, exec_lo, s30
	s_and_saveexec_b32 s17, s13
	s_cbranch_execnz .LBB6_13507
	s_branch .LBB6_13508
.LBB6_14762:                            ;   in Loop: Header=BB6_12675 Depth=3
	s_mov_b32 s13, -1
	s_mov_b32 s31, exec_lo
                                        ; implicit-def: $sgpr17
	v_cmpx_eq_u16_e32 0x80, v36
; %bb.14763:                            ;   in Loop: Header=BB6_12675 Depth=3
	s_mov_b32 s17, 0x7f800001
	s_xor_b32 s13, exec_lo, -1
; %bb.14764:                            ;   in Loop: Header=BB6_12675 Depth=3
	s_or_b32 exec_lo, exec_lo, s31
	s_delay_alu instid0(SALU_CYCLE_1)
	s_and_b32 s13, s13, exec_lo
                                        ; implicit-def: $vgpr36
	s_or_saveexec_b32 s30, s30
	v_mov_b32_e32 v27, s17
	s_xor_b32 exec_lo, exec_lo, s30
	s_cbranch_execz .LBB6_13518
.LBB6_14765:                            ;   in Loop: Header=BB6_12675 Depth=3
	v_cmp_ne_u16_e32 vcc_lo, 0, v36
	v_mov_b32_e32 v27, 0
	s_and_not1_b32 s13, s13, exec_lo
	s_and_b32 s17, vcc_lo, exec_lo
	s_delay_alu instid0(SALU_CYCLE_1)
	s_or_b32 s13, s13, s17
	s_or_b32 exec_lo, exec_lo, s30
	s_and_saveexec_b32 s17, s13
	s_cbranch_execnz .LBB6_13519
	s_branch .LBB6_13520
.LBB6_14766:                            ;   in Loop: Header=BB6_12675 Depth=3
	s_mov_b32 s13, -1
	s_mov_b32 s31, exec_lo
                                        ; implicit-def: $sgpr17
	v_cmpx_eq_u16_e32 0x80, v37
; %bb.14767:                            ;   in Loop: Header=BB6_12675 Depth=3
	s_mov_b32 s17, 0x7f800001
	s_xor_b32 s13, exec_lo, -1
; %bb.14768:                            ;   in Loop: Header=BB6_12675 Depth=3
	s_or_b32 exec_lo, exec_lo, s31
	s_delay_alu instid0(SALU_CYCLE_1)
	s_and_b32 s13, s13, exec_lo
                                        ; implicit-def: $vgpr37
	s_or_saveexec_b32 s30, s30
	v_mov_b32_e32 v36, s17
	s_xor_b32 exec_lo, exec_lo, s30
	s_cbranch_execz .LBB6_13522
.LBB6_14769:                            ;   in Loop: Header=BB6_12675 Depth=3
	v_cmp_ne_u16_e32 vcc_lo, 0, v37
	v_mov_b32_e32 v36, 0
	s_and_not1_b32 s13, s13, exec_lo
	s_and_b32 s17, vcc_lo, exec_lo
	s_delay_alu instid0(SALU_CYCLE_1)
	s_or_b32 s13, s13, s17
	s_or_b32 exec_lo, exec_lo, s30
	s_and_saveexec_b32 s17, s13
	s_cbranch_execnz .LBB6_13523
	s_branch .LBB6_13524
.LBB6_14770:                            ;   in Loop: Header=BB6_12675 Depth=3
	s_mov_b32 s13, -1
	s_mov_b32 s31, exec_lo
                                        ; implicit-def: $sgpr17
	v_cmpx_eq_u16_e32 0x80, v36
; %bb.14771:                            ;   in Loop: Header=BB6_12675 Depth=3
	s_mov_b32 s17, 0x7f800001
	s_xor_b32 s13, exec_lo, -1
; %bb.14772:                            ;   in Loop: Header=BB6_12675 Depth=3
	s_or_b32 exec_lo, exec_lo, s31
	s_delay_alu instid0(SALU_CYCLE_1)
	s_and_b32 s13, s13, exec_lo
	s_or_saveexec_b32 s30, s30
	v_mov_b32_e32 v27, s17
	s_xor_b32 exec_lo, exec_lo, s30
	s_cbranch_execz .LBB6_13534
.LBB6_14773:                            ;   in Loop: Header=BB6_12675 Depth=3
	v_cmp_ne_u16_e32 vcc_lo, 0, v36
	v_mov_b32_e32 v27, 0
	s_and_not1_b32 s13, s13, exec_lo
	s_and_b32 s17, vcc_lo, exec_lo
	s_delay_alu instid0(SALU_CYCLE_1)
	s_or_b32 s13, s13, s17
	s_or_b32 exec_lo, exec_lo, s30
	s_and_saveexec_b32 s17, s13
	s_cbranch_execnz .LBB6_13535
	s_branch .LBB6_13536
.LBB6_14774:                            ;   in Loop: Header=BB6_12675 Depth=3
	s_mov_b32 s13, -1
	s_mov_b32 s31, exec_lo
                                        ; implicit-def: $sgpr17
	v_cmpx_eq_u16_e32 0x80, v36
; %bb.14775:                            ;   in Loop: Header=BB6_12675 Depth=3
	s_mov_b32 s17, 0x7f800001
	s_xor_b32 s13, exec_lo, -1
; %bb.14776:                            ;   in Loop: Header=BB6_12675 Depth=3
	s_or_b32 exec_lo, exec_lo, s31
	s_delay_alu instid0(SALU_CYCLE_1)
	s_and_b32 s13, s13, exec_lo
	s_or_saveexec_b32 s30, s30
	v_mov_b32_e32 v37, s17
	s_xor_b32 exec_lo, exec_lo, s30
	s_cbranch_execz .LBB6_13538
.LBB6_14777:                            ;   in Loop: Header=BB6_12675 Depth=3
	v_cmp_ne_u16_e32 vcc_lo, 0, v36
	v_mov_b32_e32 v37, 0
	s_and_not1_b32 s13, s13, exec_lo
	s_and_b32 s17, vcc_lo, exec_lo
	s_delay_alu instid0(SALU_CYCLE_1)
	s_or_b32 s13, s13, s17
	s_or_b32 exec_lo, exec_lo, s30
	s_and_saveexec_b32 s17, s13
	s_cbranch_execnz .LBB6_13539
	s_branch .LBB6_13540
.LBB6_14778:                            ;   in Loop: Header=BB6_12675 Depth=3
	s_mov_b32 s13, -1
	s_mov_b32 s31, exec_lo
                                        ; implicit-def: $sgpr17
	v_cmpx_eq_u16_e32 0x80, v37
; %bb.14779:                            ;   in Loop: Header=BB6_12675 Depth=3
	s_mov_b32 s17, 0x7f800001
	s_xor_b32 s13, exec_lo, -1
; %bb.14780:                            ;   in Loop: Header=BB6_12675 Depth=3
	s_or_b32 exec_lo, exec_lo, s31
	s_delay_alu instid0(SALU_CYCLE_1)
	s_and_b32 s13, s13, exec_lo
                                        ; implicit-def: $vgpr37
	s_or_saveexec_b32 s30, s30
	v_mov_b32_e32 v27, s17
	s_xor_b32 exec_lo, exec_lo, s30
	s_cbranch_execz .LBB6_13550
.LBB6_14781:                            ;   in Loop: Header=BB6_12675 Depth=3
	v_cmp_ne_u16_e32 vcc_lo, 0, v37
	v_mov_b32_e32 v27, 0
	s_and_not1_b32 s13, s13, exec_lo
	s_and_b32 s17, vcc_lo, exec_lo
	s_delay_alu instid0(SALU_CYCLE_1)
	s_or_b32 s13, s13, s17
	s_or_b32 exec_lo, exec_lo, s30
	v_lshl_or_b32 v26, v36, 16, v26
	s_and_saveexec_b32 s17, s13
	s_cbranch_execnz .LBB6_13551
	s_branch .LBB6_13552
.LBB6_14782:                            ;   in Loop: Header=BB6_12675 Depth=3
	s_mov_b32 s13, -1
	s_mov_b32 s31, exec_lo
                                        ; implicit-def: $sgpr17
	v_cmpx_eq_u16_e32 0x80, v38
; %bb.14783:                            ;   in Loop: Header=BB6_12675 Depth=3
	s_mov_b32 s17, 0x7f800001
	s_xor_b32 s13, exec_lo, -1
; %bb.14784:                            ;   in Loop: Header=BB6_12675 Depth=3
	s_or_b32 exec_lo, exec_lo, s31
	s_delay_alu instid0(SALU_CYCLE_1)
	s_and_b32 s13, s13, exec_lo
                                        ; implicit-def: $vgpr38
	s_or_saveexec_b32 s30, s30
	v_mov_b32_e32 v37, s17
	s_xor_b32 exec_lo, exec_lo, s30
	s_cbranch_execz .LBB6_13554
.LBB6_14785:                            ;   in Loop: Header=BB6_12675 Depth=3
	v_cmp_ne_u16_e32 vcc_lo, 0, v38
	v_mov_b32_e32 v37, 0
	s_and_not1_b32 s13, s13, exec_lo
	s_and_b32 s17, vcc_lo, exec_lo
	s_delay_alu instid0(SALU_CYCLE_1)
	s_or_b32 s13, s13, s17
	s_or_b32 exec_lo, exec_lo, s30
	s_and_saveexec_b32 s17, s13
	s_cbranch_execnz .LBB6_13555
	s_branch .LBB6_13556
.LBB6_14786:                            ;   in Loop: Header=BB6_12675 Depth=3
	s_mov_b32 s13, -1
	s_mov_b32 s31, exec_lo
                                        ; implicit-def: $sgpr17
	v_cmpx_eq_u16_e32 0x80, v36
; %bb.14787:                            ;   in Loop: Header=BB6_12675 Depth=3
	s_mov_b32 s17, 0x7f800001
	s_xor_b32 s13, exec_lo, -1
; %bb.14788:                            ;   in Loop: Header=BB6_12675 Depth=3
	s_or_b32 exec_lo, exec_lo, s31
	s_delay_alu instid0(SALU_CYCLE_1)
	s_and_b32 s13, s13, exec_lo
	s_or_saveexec_b32 s30, s30
	v_mov_b32_e32 v27, s17
	s_xor_b32 exec_lo, exec_lo, s30
	s_cbranch_execz .LBB6_13566
.LBB6_14789:                            ;   in Loop: Header=BB6_12675 Depth=3
	v_cmp_ne_u16_e32 vcc_lo, 0, v36
	v_mov_b32_e32 v27, 0
	s_and_not1_b32 s13, s13, exec_lo
	s_and_b32 s17, vcc_lo, exec_lo
	s_delay_alu instid0(SALU_CYCLE_1)
	s_or_b32 s13, s13, s17
	s_or_b32 exec_lo, exec_lo, s30
	s_and_saveexec_b32 s17, s13
	s_cbranch_execnz .LBB6_13567
	s_branch .LBB6_13568
.LBB6_14790:                            ;   in Loop: Header=BB6_12675 Depth=3
	s_mov_b32 s13, -1
	s_mov_b32 s31, exec_lo
                                        ; implicit-def: $sgpr17
	v_cmpx_eq_u16_e32 0x80, v26
; %bb.14791:                            ;   in Loop: Header=BB6_12675 Depth=3
	s_mov_b32 s17, 0x7f800001
	s_xor_b32 s13, exec_lo, -1
; %bb.14792:                            ;   in Loop: Header=BB6_12675 Depth=3
	s_or_b32 exec_lo, exec_lo, s31
	s_delay_alu instid0(SALU_CYCLE_1)
	s_and_b32 s13, s13, exec_lo
	s_or_saveexec_b32 s30, s30
	v_mov_b32_e32 v36, s17
	s_xor_b32 exec_lo, exec_lo, s30
	s_cbranch_execz .LBB6_13570
.LBB6_14793:                            ;   in Loop: Header=BB6_12675 Depth=3
	v_cmp_ne_u16_e32 vcc_lo, 0, v26
	v_mov_b32_e32 v36, 0
	s_and_not1_b32 s13, s13, exec_lo
	s_and_b32 s17, vcc_lo, exec_lo
	s_delay_alu instid0(SALU_CYCLE_1)
	s_or_b32 s13, s13, s17
	s_or_b32 exec_lo, exec_lo, s30
	s_and_saveexec_b32 s17, s13
	s_cbranch_execnz .LBB6_13571
	s_branch .LBB6_13572
.LBB6_14794:                            ;   in Loop: Header=BB6_12675 Depth=3
	s_mov_b32 s13, -1
	s_mov_b32 s31, exec_lo
                                        ; implicit-def: $sgpr17
	v_cmpx_eq_u16_e32 0x80, v27
; %bb.14795:                            ;   in Loop: Header=BB6_12675 Depth=3
	s_mov_b32 s17, 0x7f800001
	s_xor_b32 s13, exec_lo, -1
; %bb.14796:                            ;   in Loop: Header=BB6_12675 Depth=3
	s_or_b32 exec_lo, exec_lo, s31
	s_delay_alu instid0(SALU_CYCLE_1)
	s_and_b32 s13, s13, exec_lo
                                        ; implicit-def: $vgpr27
	s_or_saveexec_b32 s30, s30
	v_mov_b32_e32 v26, s17
	s_xor_b32 exec_lo, exec_lo, s30
	s_cbranch_execz .LBB6_13582
.LBB6_14797:                            ;   in Loop: Header=BB6_12675 Depth=3
	v_cmp_ne_u16_e32 vcc_lo, 0, v27
	v_mov_b32_e32 v26, 0
	s_and_not1_b32 s13, s13, exec_lo
	s_and_b32 s17, vcc_lo, exec_lo
	s_delay_alu instid0(SALU_CYCLE_1)
	s_or_b32 s13, s13, s17
	s_or_b32 exec_lo, exec_lo, s30
	s_and_saveexec_b32 s17, s13
	s_cbranch_execnz .LBB6_13583
	s_branch .LBB6_13584
.LBB6_14798:                            ;   in Loop: Header=BB6_12675 Depth=3
	s_mov_b32 s13, -1
	s_mov_b32 s31, exec_lo
                                        ; implicit-def: $sgpr17
	v_cmpx_eq_u16_e32 0x80, v36
; %bb.14799:                            ;   in Loop: Header=BB6_12675 Depth=3
	s_mov_b32 s17, 0x7f800001
	s_xor_b32 s13, exec_lo, -1
; %bb.14800:                            ;   in Loop: Header=BB6_12675 Depth=3
	s_or_b32 exec_lo, exec_lo, s31
	s_delay_alu instid0(SALU_CYCLE_1)
	s_and_b32 s13, s13, exec_lo
                                        ; implicit-def: $vgpr36
	s_or_saveexec_b32 s30, s30
	v_mov_b32_e32 v27, s17
	s_xor_b32 exec_lo, exec_lo, s30
	s_cbranch_execz .LBB6_13586
.LBB6_14801:                            ;   in Loop: Header=BB6_12675 Depth=3
	v_cmp_ne_u16_e32 vcc_lo, 0, v36
	v_mov_b32_e32 v27, 0
	s_and_not1_b32 s13, s13, exec_lo
	s_and_b32 s17, vcc_lo, exec_lo
	s_delay_alu instid0(SALU_CYCLE_1)
	s_or_b32 s13, s13, s17
	s_or_b32 exec_lo, exec_lo, s30
	s_and_saveexec_b32 s17, s13
	s_cbranch_execnz .LBB6_13587
	s_branch .LBB6_13588
.LBB6_14802:                            ;   in Loop: Header=BB6_12675 Depth=3
	s_mov_b32 s13, -1
	s_mov_b32 s31, exec_lo
                                        ; implicit-def: $sgpr17
	v_cmpx_eq_u16_e32 0x80, v27
; %bb.14803:                            ;   in Loop: Header=BB6_12675 Depth=3
	s_mov_b32 s17, 0x7f800001
	s_xor_b32 s13, exec_lo, -1
; %bb.14804:                            ;   in Loop: Header=BB6_12675 Depth=3
	s_or_b32 exec_lo, exec_lo, s31
	s_delay_alu instid0(SALU_CYCLE_1)
	s_and_b32 s13, s13, exec_lo
                                        ; implicit-def: $vgpr27
	s_or_saveexec_b32 s30, s30
	v_mov_b32_e32 v26, s17
	s_xor_b32 exec_lo, exec_lo, s30
	s_cbranch_execz .LBB6_13598
.LBB6_14805:                            ;   in Loop: Header=BB6_12675 Depth=3
	v_cmp_ne_u16_e32 vcc_lo, 0, v27
	v_mov_b32_e32 v26, 0
	s_and_not1_b32 s13, s13, exec_lo
	s_and_b32 s17, vcc_lo, exec_lo
	s_delay_alu instid0(SALU_CYCLE_1)
	s_or_b32 s13, s13, s17
	s_or_b32 exec_lo, exec_lo, s30
	s_and_saveexec_b32 s17, s13
	s_cbranch_execnz .LBB6_13599
	s_branch .LBB6_13600
.LBB6_14806:                            ;   in Loop: Header=BB6_12675 Depth=3
	s_mov_b32 s13, -1
	s_mov_b32 s31, exec_lo
                                        ; implicit-def: $sgpr17
	v_cmpx_eq_u16_e32 0x80, v27
; %bb.14807:                            ;   in Loop: Header=BB6_12675 Depth=3
	s_mov_b32 s17, 0x7f800001
	s_xor_b32 s13, exec_lo, -1
; %bb.14808:                            ;   in Loop: Header=BB6_12675 Depth=3
	s_or_b32 exec_lo, exec_lo, s31
	s_delay_alu instid0(SALU_CYCLE_1)
	s_and_b32 s13, s13, exec_lo
	s_or_saveexec_b32 s30, s30
	v_mov_b32_e32 v36, s17
	s_xor_b32 exec_lo, exec_lo, s30
	s_cbranch_execz .LBB6_13602
.LBB6_14809:                            ;   in Loop: Header=BB6_12675 Depth=3
	v_cmp_ne_u16_e32 vcc_lo, 0, v27
	v_mov_b32_e32 v36, 0
	s_and_not1_b32 s13, s13, exec_lo
	s_and_b32 s17, vcc_lo, exec_lo
	s_delay_alu instid0(SALU_CYCLE_1)
	s_or_b32 s13, s13, s17
	s_or_b32 exec_lo, exec_lo, s30
	s_and_saveexec_b32 s17, s13
	s_cbranch_execnz .LBB6_13603
	s_branch .LBB6_13604
.LBB6_14810:                            ;   in Loop: Header=BB6_12675 Depth=3
	s_mov_b32 s13, -1
	s_mov_b32 s31, exec_lo
                                        ; implicit-def: $sgpr17
	v_cmpx_eq_u16_e32 0x80, v27
; %bb.14811:                            ;   in Loop: Header=BB6_12675 Depth=3
	s_mov_b32 s17, 0x7f800001
	s_xor_b32 s13, exec_lo, -1
; %bb.14812:                            ;   in Loop: Header=BB6_12675 Depth=3
	s_or_b32 exec_lo, exec_lo, s31
	s_delay_alu instid0(SALU_CYCLE_1)
	s_and_b32 s13, s13, exec_lo
                                        ; implicit-def: $vgpr27
	s_or_saveexec_b32 s30, s30
	v_mov_b32_e32 v26, s17
	s_xor_b32 exec_lo, exec_lo, s30
	s_cbranch_execz .LBB6_13614
.LBB6_14813:                            ;   in Loop: Header=BB6_12675 Depth=3
	v_cmp_ne_u16_e32 vcc_lo, 0, v27
	v_mov_b32_e32 v26, 0
	s_and_not1_b32 s13, s13, exec_lo
	s_and_b32 s17, vcc_lo, exec_lo
	s_delay_alu instid0(SALU_CYCLE_1)
	s_or_b32 s13, s13, s17
	s_or_b32 exec_lo, exec_lo, s30
	s_and_saveexec_b32 s17, s13
	s_cbranch_execnz .LBB6_13615
	s_branch .LBB6_13616
.LBB6_14814:                            ;   in Loop: Header=BB6_12675 Depth=3
	s_mov_b32 s13, -1
	s_mov_b32 s31, exec_lo
                                        ; implicit-def: $sgpr17
	v_cmpx_eq_u16_e32 0x80, v37
; %bb.14815:                            ;   in Loop: Header=BB6_12675 Depth=3
	s_mov_b32 s17, 0x7f800001
	s_xor_b32 s13, exec_lo, -1
; %bb.14816:                            ;   in Loop: Header=BB6_12675 Depth=3
	s_or_b32 exec_lo, exec_lo, s31
	s_delay_alu instid0(SALU_CYCLE_1)
	s_and_b32 s13, s13, exec_lo
                                        ; implicit-def: $vgpr37
	s_or_saveexec_b32 s30, s30
	v_mov_b32_e32 v36, s17
	s_xor_b32 exec_lo, exec_lo, s30
	s_cbranch_execz .LBB6_13618
.LBB6_14817:                            ;   in Loop: Header=BB6_12675 Depth=3
	v_cmp_ne_u16_e32 vcc_lo, 0, v37
	v_mov_b32_e32 v36, 0
	s_and_not1_b32 s13, s13, exec_lo
	s_and_b32 s17, vcc_lo, exec_lo
	s_delay_alu instid0(SALU_CYCLE_1)
	s_or_b32 s13, s13, s17
	s_or_b32 exec_lo, exec_lo, s30
	s_and_saveexec_b32 s17, s13
	s_cbranch_execnz .LBB6_13619
	s_branch .LBB6_13620
.LBB6_14818:                            ;   in Loop: Header=BB6_12675 Depth=3
	s_mov_b32 s13, -1
	s_mov_b32 s31, exec_lo
                                        ; implicit-def: $sgpr17
	v_cmpx_eq_u16_e32 0x80, v27
; %bb.14819:                            ;   in Loop: Header=BB6_12675 Depth=3
	s_mov_b32 s17, 0x7f800001
	s_xor_b32 s13, exec_lo, -1
; %bb.14820:                            ;   in Loop: Header=BB6_12675 Depth=3
	s_or_b32 exec_lo, exec_lo, s31
	s_delay_alu instid0(SALU_CYCLE_1)
	s_and_b32 s13, s13, exec_lo
	s_or_saveexec_b32 s30, s30
	v_mov_b32_e32 v26, s17
	s_xor_b32 exec_lo, exec_lo, s30
	s_cbranch_execz .LBB6_13630
.LBB6_14821:                            ;   in Loop: Header=BB6_12675 Depth=3
	v_cmp_ne_u16_e32 vcc_lo, 0, v27
	v_mov_b32_e32 v26, 0
	s_and_not1_b32 s13, s13, exec_lo
	s_and_b32 s17, vcc_lo, exec_lo
	s_delay_alu instid0(SALU_CYCLE_1)
	s_or_b32 s13, s13, s17
	s_or_b32 exec_lo, exec_lo, s30
	s_and_saveexec_b32 s17, s13
	s_cbranch_execnz .LBB6_13631
	s_branch .LBB6_13632
.LBB6_14822:                            ;   in Loop: Header=BB6_12675 Depth=3
	s_mov_b32 s13, -1
	s_mov_b32 s31, exec_lo
                                        ; implicit-def: $sgpr17
	v_cmpx_eq_u16_e32 0x80, v27
; %bb.14823:                            ;   in Loop: Header=BB6_12675 Depth=3
	s_mov_b32 s17, 0x7f800001
	s_xor_b32 s13, exec_lo, -1
; %bb.14824:                            ;   in Loop: Header=BB6_12675 Depth=3
	s_or_b32 exec_lo, exec_lo, s31
	s_delay_alu instid0(SALU_CYCLE_1)
	s_and_b32 s13, s13, exec_lo
	s_or_saveexec_b32 s30, s30
	v_mov_b32_e32 v36, s17
	s_xor_b32 exec_lo, exec_lo, s30
	s_cbranch_execz .LBB6_13634
.LBB6_14825:                            ;   in Loop: Header=BB6_12675 Depth=3
	v_cmp_ne_u16_e32 vcc_lo, 0, v27
	v_mov_b32_e32 v36, 0
	s_and_not1_b32 s13, s13, exec_lo
	s_and_b32 s17, vcc_lo, exec_lo
	s_delay_alu instid0(SALU_CYCLE_1)
	s_or_b32 s13, s13, s17
	s_or_b32 exec_lo, exec_lo, s30
	s_and_saveexec_b32 s17, s13
	s_cbranch_execnz .LBB6_13635
	s_branch .LBB6_13636
.LBB6_14826:                            ;   in Loop: Header=BB6_12675 Depth=3
	s_mov_b32 s13, -1
	s_mov_b32 s31, exec_lo
                                        ; implicit-def: $sgpr17
	v_cmpx_eq_u16_e32 0x80, v36
; %bb.14827:                            ;   in Loop: Header=BB6_12675 Depth=3
	s_mov_b32 s17, 0x7f800001
	s_xor_b32 s13, exec_lo, -1
; %bb.14828:                            ;   in Loop: Header=BB6_12675 Depth=3
	s_or_b32 exec_lo, exec_lo, s31
	s_delay_alu instid0(SALU_CYCLE_1)
	s_and_b32 s13, s13, exec_lo
                                        ; implicit-def: $vgpr36
	s_or_saveexec_b32 s30, s30
	v_mov_b32_e32 v27, s17
	s_xor_b32 exec_lo, exec_lo, s30
	s_cbranch_execz .LBB6_13646
.LBB6_14829:                            ;   in Loop: Header=BB6_12675 Depth=3
	v_cmp_ne_u16_e32 vcc_lo, 0, v36
	v_mov_b32_e32 v27, 0
	s_and_not1_b32 s13, s13, exec_lo
	s_and_b32 s17, vcc_lo, exec_lo
	s_delay_alu instid0(SALU_CYCLE_1)
	s_or_b32 s13, s13, s17
	s_or_b32 exec_lo, exec_lo, s30
	s_and_saveexec_b32 s17, s13
	s_cbranch_execnz .LBB6_13647
	s_branch .LBB6_13648
.LBB6_14830:                            ;   in Loop: Header=BB6_12675 Depth=3
	s_mov_b32 s13, -1
	s_mov_b32 s31, exec_lo
                                        ; implicit-def: $sgpr17
	v_cmpx_eq_u16_e32 0x80, v37
; %bb.14831:                            ;   in Loop: Header=BB6_12675 Depth=3
	s_mov_b32 s17, 0x7f800001
	s_xor_b32 s13, exec_lo, -1
; %bb.14832:                            ;   in Loop: Header=BB6_12675 Depth=3
	s_or_b32 exec_lo, exec_lo, s31
	s_delay_alu instid0(SALU_CYCLE_1)
	s_and_b32 s13, s13, exec_lo
                                        ; implicit-def: $vgpr37
	s_or_saveexec_b32 s30, s30
	v_mov_b32_e32 v36, s17
	s_xor_b32 exec_lo, exec_lo, s30
	s_cbranch_execz .LBB6_13650
.LBB6_14833:                            ;   in Loop: Header=BB6_12675 Depth=3
	v_cmp_ne_u16_e32 vcc_lo, 0, v37
	v_mov_b32_e32 v36, 0
	s_and_not1_b32 s13, s13, exec_lo
	s_and_b32 s17, vcc_lo, exec_lo
	s_delay_alu instid0(SALU_CYCLE_1)
	s_or_b32 s13, s13, s17
	s_or_b32 exec_lo, exec_lo, s30
	s_and_saveexec_b32 s17, s13
	s_cbranch_execnz .LBB6_13651
	s_branch .LBB6_13652
.LBB6_14834:                            ;   in Loop: Header=BB6_12675 Depth=3
	s_mov_b32 s13, -1
	s_mov_b32 s31, exec_lo
                                        ; implicit-def: $sgpr17
	v_cmpx_eq_u16_e32 0x80, v36
; %bb.14835:                            ;   in Loop: Header=BB6_12675 Depth=3
	s_mov_b32 s17, 0x7f800001
	s_xor_b32 s13, exec_lo, -1
; %bb.14836:                            ;   in Loop: Header=BB6_12675 Depth=3
	s_or_b32 exec_lo, exec_lo, s31
	s_delay_alu instid0(SALU_CYCLE_1)
	s_and_b32 s13, s13, exec_lo
	s_or_saveexec_b32 s30, s30
	v_mov_b32_e32 v27, s17
	s_xor_b32 exec_lo, exec_lo, s30
	s_cbranch_execz .LBB6_13662
.LBB6_14837:                            ;   in Loop: Header=BB6_12675 Depth=3
	v_cmp_ne_u16_e32 vcc_lo, 0, v36
	v_mov_b32_e32 v27, 0
	s_and_not1_b32 s13, s13, exec_lo
	s_and_b32 s17, vcc_lo, exec_lo
	s_delay_alu instid0(SALU_CYCLE_1)
	s_or_b32 s13, s13, s17
	s_or_b32 exec_lo, exec_lo, s30
	s_and_saveexec_b32 s17, s13
	s_cbranch_execnz .LBB6_13663
	s_branch .LBB6_13664
.LBB6_14838:                            ;   in Loop: Header=BB6_12675 Depth=3
	s_mov_b32 s13, -1
	s_mov_b32 s31, exec_lo
                                        ; implicit-def: $sgpr17
	v_cmpx_eq_u16_e32 0x80, v36
; %bb.14839:                            ;   in Loop: Header=BB6_12675 Depth=3
	s_mov_b32 s17, 0x7f800001
	s_xor_b32 s13, exec_lo, -1
; %bb.14840:                            ;   in Loop: Header=BB6_12675 Depth=3
	s_or_b32 exec_lo, exec_lo, s31
	s_delay_alu instid0(SALU_CYCLE_1)
	s_and_b32 s13, s13, exec_lo
	s_or_saveexec_b32 s30, s30
	v_mov_b32_e32 v37, s17
	s_xor_b32 exec_lo, exec_lo, s30
	s_cbranch_execz .LBB6_13666
.LBB6_14841:                            ;   in Loop: Header=BB6_12675 Depth=3
	v_cmp_ne_u16_e32 vcc_lo, 0, v36
	v_mov_b32_e32 v37, 0
	s_and_not1_b32 s13, s13, exec_lo
	s_and_b32 s17, vcc_lo, exec_lo
	s_delay_alu instid0(SALU_CYCLE_1)
	s_or_b32 s13, s13, s17
	s_or_b32 exec_lo, exec_lo, s30
	s_and_saveexec_b32 s17, s13
	s_cbranch_execnz .LBB6_13667
	s_branch .LBB6_13668
.LBB6_14842:                            ;   in Loop: Header=BB6_12675 Depth=3
	s_mov_b32 s13, -1
	s_mov_b32 s31, exec_lo
                                        ; implicit-def: $sgpr17
	v_cmpx_eq_u16_e32 0x80, v37
; %bb.14843:                            ;   in Loop: Header=BB6_12675 Depth=3
	s_mov_b32 s17, 0x7f800001
	s_xor_b32 s13, exec_lo, -1
; %bb.14844:                            ;   in Loop: Header=BB6_12675 Depth=3
	s_or_b32 exec_lo, exec_lo, s31
	s_delay_alu instid0(SALU_CYCLE_1)
	s_and_b32 s13, s13, exec_lo
                                        ; implicit-def: $vgpr37
	s_or_saveexec_b32 s30, s30
	v_mov_b32_e32 v27, s17
	s_xor_b32 exec_lo, exec_lo, s30
	s_cbranch_execz .LBB6_13678
.LBB6_14845:                            ;   in Loop: Header=BB6_12675 Depth=3
	v_cmp_ne_u16_e32 vcc_lo, 0, v37
	v_mov_b32_e32 v27, 0
	s_and_not1_b32 s13, s13, exec_lo
	s_and_b32 s17, vcc_lo, exec_lo
	s_delay_alu instid0(SALU_CYCLE_1)
	s_or_b32 s13, s13, s17
	s_or_b32 exec_lo, exec_lo, s30
	v_lshl_or_b32 v26, v36, 16, v26
	s_and_saveexec_b32 s17, s13
	s_cbranch_execnz .LBB6_13679
	s_branch .LBB6_13680
.LBB6_14846:                            ;   in Loop: Header=BB6_12675 Depth=3
	s_mov_b32 s13, -1
	s_mov_b32 s31, exec_lo
                                        ; implicit-def: $sgpr17
	v_cmpx_eq_u16_e32 0x80, v38
; %bb.14847:                            ;   in Loop: Header=BB6_12675 Depth=3
	s_mov_b32 s17, 0x7f800001
	s_xor_b32 s13, exec_lo, -1
; %bb.14848:                            ;   in Loop: Header=BB6_12675 Depth=3
	s_or_b32 exec_lo, exec_lo, s31
	s_delay_alu instid0(SALU_CYCLE_1)
	s_and_b32 s13, s13, exec_lo
                                        ; implicit-def: $vgpr38
	s_or_saveexec_b32 s30, s30
	v_mov_b32_e32 v37, s17
	s_xor_b32 exec_lo, exec_lo, s30
	s_cbranch_execz .LBB6_13682
.LBB6_14849:                            ;   in Loop: Header=BB6_12675 Depth=3
	v_cmp_ne_u16_e32 vcc_lo, 0, v38
	v_mov_b32_e32 v37, 0
	s_and_not1_b32 s13, s13, exec_lo
	s_and_b32 s17, vcc_lo, exec_lo
	s_delay_alu instid0(SALU_CYCLE_1)
	s_or_b32 s13, s13, s17
	s_or_b32 exec_lo, exec_lo, s30
	s_and_saveexec_b32 s17, s13
	s_cbranch_execnz .LBB6_13683
	s_branch .LBB6_13684
.LBB6_14850:                            ;   in Loop: Header=BB6_12675 Depth=3
	s_mov_b32 s13, -1
	s_mov_b32 s31, exec_lo
                                        ; implicit-def: $sgpr17
	v_cmpx_eq_u16_e32 0x80, v36
; %bb.14851:                            ;   in Loop: Header=BB6_12675 Depth=3
	s_mov_b32 s17, 0x7f800001
	s_xor_b32 s13, exec_lo, -1
; %bb.14852:                            ;   in Loop: Header=BB6_12675 Depth=3
	s_or_b32 exec_lo, exec_lo, s31
	s_delay_alu instid0(SALU_CYCLE_1)
	s_and_b32 s13, s13, exec_lo
	s_or_saveexec_b32 s30, s30
	v_mov_b32_e32 v27, s17
	s_xor_b32 exec_lo, exec_lo, s30
	s_cbranch_execz .LBB6_13694
.LBB6_14853:                            ;   in Loop: Header=BB6_12675 Depth=3
	v_cmp_ne_u16_e32 vcc_lo, 0, v36
	v_mov_b32_e32 v27, 0
	s_and_not1_b32 s13, s13, exec_lo
	s_and_b32 s17, vcc_lo, exec_lo
	s_delay_alu instid0(SALU_CYCLE_1)
	s_or_b32 s13, s13, s17
	s_or_b32 exec_lo, exec_lo, s30
	s_and_saveexec_b32 s17, s13
	s_cbranch_execnz .LBB6_13695
	s_branch .LBB6_13696
.LBB6_14854:                            ;   in Loop: Header=BB6_12675 Depth=3
	s_mov_b32 s13, -1
	s_mov_b32 s31, exec_lo
                                        ; implicit-def: $sgpr17
	v_cmpx_eq_u16_e32 0x80, v26
; %bb.14855:                            ;   in Loop: Header=BB6_12675 Depth=3
	s_mov_b32 s17, 0x7f800001
	s_xor_b32 s13, exec_lo, -1
; %bb.14856:                            ;   in Loop: Header=BB6_12675 Depth=3
	s_or_b32 exec_lo, exec_lo, s31
	s_delay_alu instid0(SALU_CYCLE_1)
	s_and_b32 s13, s13, exec_lo
	s_or_saveexec_b32 s30, s30
	v_mov_b32_e32 v36, s17
	s_xor_b32 exec_lo, exec_lo, s30
	s_cbranch_execz .LBB6_13698
.LBB6_14857:                            ;   in Loop: Header=BB6_12675 Depth=3
	v_cmp_ne_u16_e32 vcc_lo, 0, v26
	v_mov_b32_e32 v36, 0
	s_and_not1_b32 s13, s13, exec_lo
	s_and_b32 s17, vcc_lo, exec_lo
	s_delay_alu instid0(SALU_CYCLE_1)
	s_or_b32 s13, s13, s17
	s_or_b32 exec_lo, exec_lo, s30
	s_and_saveexec_b32 s17, s13
	s_cbranch_execnz .LBB6_13699
	s_branch .LBB6_13700
.LBB6_14858:                            ;   in Loop: Header=BB6_12675 Depth=3
	s_mov_b32 s13, -1
	s_mov_b32 s31, exec_lo
                                        ; implicit-def: $sgpr17
	v_cmpx_eq_u16_e32 0x80, v27
; %bb.14859:                            ;   in Loop: Header=BB6_12675 Depth=3
	s_mov_b32 s17, 0x7f800001
	s_xor_b32 s13, exec_lo, -1
; %bb.14860:                            ;   in Loop: Header=BB6_12675 Depth=3
	s_or_b32 exec_lo, exec_lo, s31
	s_delay_alu instid0(SALU_CYCLE_1)
	s_and_b32 s13, s13, exec_lo
                                        ; implicit-def: $vgpr27
	s_or_saveexec_b32 s30, s30
	v_mov_b32_e32 v26, s17
	s_xor_b32 exec_lo, exec_lo, s30
	s_cbranch_execz .LBB6_13710
.LBB6_14861:                            ;   in Loop: Header=BB6_12675 Depth=3
	v_cmp_ne_u16_e32 vcc_lo, 0, v27
	v_mov_b32_e32 v26, 0
	s_and_not1_b32 s13, s13, exec_lo
	s_and_b32 s17, vcc_lo, exec_lo
	s_delay_alu instid0(SALU_CYCLE_1)
	s_or_b32 s13, s13, s17
	s_or_b32 exec_lo, exec_lo, s30
	s_and_saveexec_b32 s17, s13
	s_cbranch_execnz .LBB6_13711
	s_branch .LBB6_13712
.LBB6_14862:                            ;   in Loop: Header=BB6_12675 Depth=3
	s_mov_b32 s13, -1
	s_mov_b32 s31, exec_lo
                                        ; implicit-def: $sgpr17
	v_cmpx_eq_u16_e32 0x80, v36
; %bb.14863:                            ;   in Loop: Header=BB6_12675 Depth=3
	s_mov_b32 s17, 0x7f800001
	s_xor_b32 s13, exec_lo, -1
; %bb.14864:                            ;   in Loop: Header=BB6_12675 Depth=3
	s_or_b32 exec_lo, exec_lo, s31
	s_delay_alu instid0(SALU_CYCLE_1)
	s_and_b32 s13, s13, exec_lo
                                        ; implicit-def: $vgpr36
	s_or_saveexec_b32 s30, s30
	v_mov_b32_e32 v27, s17
	s_xor_b32 exec_lo, exec_lo, s30
	s_cbranch_execz .LBB6_13714
.LBB6_14865:                            ;   in Loop: Header=BB6_12675 Depth=3
	v_cmp_ne_u16_e32 vcc_lo, 0, v36
	v_mov_b32_e32 v27, 0
	s_and_not1_b32 s13, s13, exec_lo
	s_and_b32 s17, vcc_lo, exec_lo
	s_delay_alu instid0(SALU_CYCLE_1)
	s_or_b32 s13, s13, s17
	s_or_b32 exec_lo, exec_lo, s30
	s_and_saveexec_b32 s17, s13
	s_cbranch_execnz .LBB6_13715
	s_branch .LBB6_13716
.LBB6_14866:                            ;   in Loop: Header=BB6_12675 Depth=3
	s_mov_b32 s13, -1
	s_mov_b32 s31, exec_lo
                                        ; implicit-def: $sgpr17
	v_cmpx_eq_u16_e32 0x80, v27
; %bb.14867:                            ;   in Loop: Header=BB6_12675 Depth=3
	s_mov_b32 s17, 0x7f800001
	s_xor_b32 s13, exec_lo, -1
; %bb.14868:                            ;   in Loop: Header=BB6_12675 Depth=3
	s_or_b32 exec_lo, exec_lo, s31
	s_delay_alu instid0(SALU_CYCLE_1)
	s_and_b32 s13, s13, exec_lo
                                        ; implicit-def: $vgpr27
	s_or_saveexec_b32 s30, s30
	v_mov_b32_e32 v26, s17
	s_xor_b32 exec_lo, exec_lo, s30
	s_cbranch_execz .LBB6_13726
.LBB6_14869:                            ;   in Loop: Header=BB6_12675 Depth=3
	v_cmp_ne_u16_e32 vcc_lo, 0, v27
	v_mov_b32_e32 v26, 0
	s_and_not1_b32 s13, s13, exec_lo
	s_and_b32 s17, vcc_lo, exec_lo
	s_delay_alu instid0(SALU_CYCLE_1)
	s_or_b32 s13, s13, s17
	s_or_b32 exec_lo, exec_lo, s30
	s_and_saveexec_b32 s17, s13
	s_cbranch_execnz .LBB6_13727
	s_branch .LBB6_13728
.LBB6_14870:                            ;   in Loop: Header=BB6_12675 Depth=3
	s_mov_b32 s13, -1
	s_mov_b32 s31, exec_lo
                                        ; implicit-def: $sgpr17
	v_cmpx_eq_u16_e32 0x80, v27
; %bb.14871:                            ;   in Loop: Header=BB6_12675 Depth=3
	s_mov_b32 s17, 0x7f800001
	s_xor_b32 s13, exec_lo, -1
; %bb.14872:                            ;   in Loop: Header=BB6_12675 Depth=3
	s_or_b32 exec_lo, exec_lo, s31
	s_delay_alu instid0(SALU_CYCLE_1)
	s_and_b32 s13, s13, exec_lo
	s_or_saveexec_b32 s30, s30
	v_mov_b32_e32 v36, s17
	s_xor_b32 exec_lo, exec_lo, s30
	s_cbranch_execz .LBB6_13730
.LBB6_14873:                            ;   in Loop: Header=BB6_12675 Depth=3
	v_cmp_ne_u16_e32 vcc_lo, 0, v27
	v_mov_b32_e32 v36, 0
	s_and_not1_b32 s13, s13, exec_lo
	s_and_b32 s17, vcc_lo, exec_lo
	s_delay_alu instid0(SALU_CYCLE_1)
	s_or_b32 s13, s13, s17
	s_or_b32 exec_lo, exec_lo, s30
	s_and_saveexec_b32 s17, s13
	s_cbranch_execnz .LBB6_13731
	s_branch .LBB6_13732
.LBB6_14874:                            ;   in Loop: Header=BB6_12675 Depth=3
	s_mov_b32 s13, -1
	s_mov_b32 s31, exec_lo
                                        ; implicit-def: $sgpr17
	v_cmpx_eq_u16_e32 0x80, v27
; %bb.14875:                            ;   in Loop: Header=BB6_12675 Depth=3
	s_mov_b32 s17, 0x7f800001
	s_xor_b32 s13, exec_lo, -1
; %bb.14876:                            ;   in Loop: Header=BB6_12675 Depth=3
	s_or_b32 exec_lo, exec_lo, s31
	s_delay_alu instid0(SALU_CYCLE_1)
	s_and_b32 s13, s13, exec_lo
                                        ; implicit-def: $vgpr27
	s_or_saveexec_b32 s30, s30
	v_mov_b32_e32 v26, s17
	s_xor_b32 exec_lo, exec_lo, s30
	s_cbranch_execz .LBB6_13742
.LBB6_14877:                            ;   in Loop: Header=BB6_12675 Depth=3
	v_cmp_ne_u16_e32 vcc_lo, 0, v27
	v_mov_b32_e32 v26, 0
	s_and_not1_b32 s13, s13, exec_lo
	s_and_b32 s17, vcc_lo, exec_lo
	s_delay_alu instid0(SALU_CYCLE_1)
	s_or_b32 s13, s13, s17
	s_or_b32 exec_lo, exec_lo, s30
	s_and_saveexec_b32 s17, s13
	s_cbranch_execnz .LBB6_13743
	s_branch .LBB6_13744
.LBB6_14878:                            ;   in Loop: Header=BB6_12675 Depth=3
	s_mov_b32 s13, -1
	s_mov_b32 s31, exec_lo
                                        ; implicit-def: $sgpr17
	v_cmpx_eq_u16_e32 0x80, v37
; %bb.14879:                            ;   in Loop: Header=BB6_12675 Depth=3
	s_mov_b32 s17, 0x7f800001
	s_xor_b32 s13, exec_lo, -1
; %bb.14880:                            ;   in Loop: Header=BB6_12675 Depth=3
	s_or_b32 exec_lo, exec_lo, s31
	s_delay_alu instid0(SALU_CYCLE_1)
	s_and_b32 s13, s13, exec_lo
                                        ; implicit-def: $vgpr37
	s_or_saveexec_b32 s30, s30
	v_mov_b32_e32 v36, s17
	s_xor_b32 exec_lo, exec_lo, s30
	s_cbranch_execz .LBB6_13746
.LBB6_14881:                            ;   in Loop: Header=BB6_12675 Depth=3
	v_cmp_ne_u16_e32 vcc_lo, 0, v37
	v_mov_b32_e32 v36, 0
	s_and_not1_b32 s13, s13, exec_lo
	s_and_b32 s17, vcc_lo, exec_lo
	s_delay_alu instid0(SALU_CYCLE_1)
	s_or_b32 s13, s13, s17
	s_or_b32 exec_lo, exec_lo, s30
	s_and_saveexec_b32 s17, s13
	s_cbranch_execnz .LBB6_13747
	s_branch .LBB6_13748
.LBB6_14882:                            ;   in Loop: Header=BB6_12675 Depth=3
	s_mov_b32 s13, -1
	s_mov_b32 s31, exec_lo
                                        ; implicit-def: $sgpr17
	v_cmpx_eq_u16_e32 0x80, v27
; %bb.14883:                            ;   in Loop: Header=BB6_12675 Depth=3
	s_mov_b32 s17, 0x7f800001
	s_xor_b32 s13, exec_lo, -1
; %bb.14884:                            ;   in Loop: Header=BB6_12675 Depth=3
	s_or_b32 exec_lo, exec_lo, s31
	s_delay_alu instid0(SALU_CYCLE_1)
	s_and_b32 s13, s13, exec_lo
	s_or_saveexec_b32 s30, s30
	v_mov_b32_e32 v26, s17
	s_xor_b32 exec_lo, exec_lo, s30
	s_cbranch_execz .LBB6_13758
.LBB6_14885:                            ;   in Loop: Header=BB6_12675 Depth=3
	v_cmp_ne_u16_e32 vcc_lo, 0, v27
	v_mov_b32_e32 v26, 0
	s_and_not1_b32 s13, s13, exec_lo
	s_and_b32 s17, vcc_lo, exec_lo
	s_delay_alu instid0(SALU_CYCLE_1)
	s_or_b32 s13, s13, s17
	s_or_b32 exec_lo, exec_lo, s30
	s_and_saveexec_b32 s17, s13
	s_cbranch_execnz .LBB6_13759
	s_branch .LBB6_13760
.LBB6_14886:                            ;   in Loop: Header=BB6_12675 Depth=3
	s_mov_b32 s13, -1
	s_mov_b32 s31, exec_lo
                                        ; implicit-def: $sgpr17
	v_cmpx_eq_u16_e32 0x80, v27
; %bb.14887:                            ;   in Loop: Header=BB6_12675 Depth=3
	s_mov_b32 s17, 0x7f800001
	s_xor_b32 s13, exec_lo, -1
; %bb.14888:                            ;   in Loop: Header=BB6_12675 Depth=3
	s_or_b32 exec_lo, exec_lo, s31
	s_delay_alu instid0(SALU_CYCLE_1)
	s_and_b32 s13, s13, exec_lo
	s_or_saveexec_b32 s30, s30
	v_mov_b32_e32 v36, s17
	s_xor_b32 exec_lo, exec_lo, s30
	s_cbranch_execz .LBB6_13762
.LBB6_14889:                            ;   in Loop: Header=BB6_12675 Depth=3
	v_cmp_ne_u16_e32 vcc_lo, 0, v27
	v_mov_b32_e32 v36, 0
	s_and_not1_b32 s13, s13, exec_lo
	s_and_b32 s17, vcc_lo, exec_lo
	s_delay_alu instid0(SALU_CYCLE_1)
	s_or_b32 s13, s13, s17
	s_or_b32 exec_lo, exec_lo, s30
	s_and_saveexec_b32 s17, s13
	s_cbranch_execnz .LBB6_13763
	s_branch .LBB6_13764
.LBB6_14890:                            ;   in Loop: Header=BB6_12675 Depth=3
	s_mov_b32 s13, -1
	s_mov_b32 s31, exec_lo
                                        ; implicit-def: $sgpr17
	v_cmpx_eq_u16_e32 0x80, v36
; %bb.14891:                            ;   in Loop: Header=BB6_12675 Depth=3
	s_mov_b32 s17, 0x7f800001
	s_xor_b32 s13, exec_lo, -1
; %bb.14892:                            ;   in Loop: Header=BB6_12675 Depth=3
	s_or_b32 exec_lo, exec_lo, s31
	s_delay_alu instid0(SALU_CYCLE_1)
	s_and_b32 s13, s13, exec_lo
                                        ; implicit-def: $vgpr36
	s_or_saveexec_b32 s30, s30
	v_mov_b32_e32 v27, s17
	s_xor_b32 exec_lo, exec_lo, s30
	s_cbranch_execz .LBB6_13774
.LBB6_14893:                            ;   in Loop: Header=BB6_12675 Depth=3
	v_cmp_ne_u16_e32 vcc_lo, 0, v36
	v_mov_b32_e32 v27, 0
	s_and_not1_b32 s13, s13, exec_lo
	s_and_b32 s17, vcc_lo, exec_lo
	s_delay_alu instid0(SALU_CYCLE_1)
	s_or_b32 s13, s13, s17
	s_or_b32 exec_lo, exec_lo, s30
	s_and_saveexec_b32 s17, s13
	s_cbranch_execnz .LBB6_13775
	s_branch .LBB6_13776
.LBB6_14894:                            ;   in Loop: Header=BB6_12675 Depth=3
	s_mov_b32 s13, -1
	s_mov_b32 s31, exec_lo
                                        ; implicit-def: $sgpr17
	v_cmpx_eq_u16_e32 0x80, v37
; %bb.14895:                            ;   in Loop: Header=BB6_12675 Depth=3
	s_mov_b32 s17, 0x7f800001
	s_xor_b32 s13, exec_lo, -1
; %bb.14896:                            ;   in Loop: Header=BB6_12675 Depth=3
	s_or_b32 exec_lo, exec_lo, s31
	s_delay_alu instid0(SALU_CYCLE_1)
	s_and_b32 s13, s13, exec_lo
                                        ; implicit-def: $vgpr37
	s_or_saveexec_b32 s30, s30
	v_mov_b32_e32 v36, s17
	s_xor_b32 exec_lo, exec_lo, s30
	s_cbranch_execz .LBB6_13778
.LBB6_14897:                            ;   in Loop: Header=BB6_12675 Depth=3
	v_cmp_ne_u16_e32 vcc_lo, 0, v37
	v_mov_b32_e32 v36, 0
	s_and_not1_b32 s13, s13, exec_lo
	s_and_b32 s17, vcc_lo, exec_lo
	s_delay_alu instid0(SALU_CYCLE_1)
	s_or_b32 s13, s13, s17
	s_or_b32 exec_lo, exec_lo, s30
	s_and_saveexec_b32 s17, s13
	s_cbranch_execnz .LBB6_13779
	s_branch .LBB6_13780
.LBB6_14898:                            ;   in Loop: Header=BB6_12675 Depth=3
	s_mov_b32 s13, -1
	s_mov_b32 s31, exec_lo
                                        ; implicit-def: $sgpr17
	v_cmpx_eq_u16_e32 0x80, v36
; %bb.14899:                            ;   in Loop: Header=BB6_12675 Depth=3
	s_mov_b32 s17, 0x7f800001
	s_xor_b32 s13, exec_lo, -1
; %bb.14900:                            ;   in Loop: Header=BB6_12675 Depth=3
	s_or_b32 exec_lo, exec_lo, s31
	s_delay_alu instid0(SALU_CYCLE_1)
	s_and_b32 s13, s13, exec_lo
	s_or_saveexec_b32 s30, s30
	v_mov_b32_e32 v27, s17
	s_xor_b32 exec_lo, exec_lo, s30
	s_cbranch_execz .LBB6_13790
.LBB6_14901:                            ;   in Loop: Header=BB6_12675 Depth=3
	v_cmp_ne_u16_e32 vcc_lo, 0, v36
	v_mov_b32_e32 v27, 0
	s_and_not1_b32 s13, s13, exec_lo
	s_and_b32 s17, vcc_lo, exec_lo
	s_delay_alu instid0(SALU_CYCLE_1)
	s_or_b32 s13, s13, s17
	s_or_b32 exec_lo, exec_lo, s30
	s_and_saveexec_b32 s17, s13
	s_cbranch_execnz .LBB6_13791
	s_branch .LBB6_13792
.LBB6_14902:                            ;   in Loop: Header=BB6_12675 Depth=3
	s_mov_b32 s13, -1
	s_mov_b32 s31, exec_lo
                                        ; implicit-def: $sgpr17
	v_cmpx_eq_u16_e32 0x80, v36
; %bb.14903:                            ;   in Loop: Header=BB6_12675 Depth=3
	s_mov_b32 s17, 0x7f800001
	s_xor_b32 s13, exec_lo, -1
; %bb.14904:                            ;   in Loop: Header=BB6_12675 Depth=3
	s_or_b32 exec_lo, exec_lo, s31
	s_delay_alu instid0(SALU_CYCLE_1)
	s_and_b32 s13, s13, exec_lo
	s_or_saveexec_b32 s30, s30
	v_mov_b32_e32 v37, s17
	s_xor_b32 exec_lo, exec_lo, s30
	s_cbranch_execz .LBB6_13794
.LBB6_14905:                            ;   in Loop: Header=BB6_12675 Depth=3
	v_cmp_ne_u16_e32 vcc_lo, 0, v36
	v_mov_b32_e32 v37, 0
	s_and_not1_b32 s13, s13, exec_lo
	s_and_b32 s17, vcc_lo, exec_lo
	s_delay_alu instid0(SALU_CYCLE_1)
	s_or_b32 s13, s13, s17
	s_or_b32 exec_lo, exec_lo, s30
	s_and_saveexec_b32 s17, s13
	s_cbranch_execnz .LBB6_13795
	s_branch .LBB6_13796
.LBB6_14906:                            ;   in Loop: Header=BB6_12675 Depth=3
	s_mov_b32 s13, -1
	s_mov_b32 s31, exec_lo
                                        ; implicit-def: $sgpr17
	v_cmpx_eq_u16_e32 0x80, v37
; %bb.14907:                            ;   in Loop: Header=BB6_12675 Depth=3
	s_mov_b32 s17, 0x7f800001
	s_xor_b32 s13, exec_lo, -1
; %bb.14908:                            ;   in Loop: Header=BB6_12675 Depth=3
	s_or_b32 exec_lo, exec_lo, s31
	s_delay_alu instid0(SALU_CYCLE_1)
	s_and_b32 s13, s13, exec_lo
                                        ; implicit-def: $vgpr37
	s_or_saveexec_b32 s30, s30
	v_mov_b32_e32 v27, s17
	s_xor_b32 exec_lo, exec_lo, s30
	s_cbranch_execz .LBB6_13806
.LBB6_14909:                            ;   in Loop: Header=BB6_12675 Depth=3
	v_cmp_ne_u16_e32 vcc_lo, 0, v37
	v_mov_b32_e32 v27, 0
	s_and_not1_b32 s13, s13, exec_lo
	s_and_b32 s17, vcc_lo, exec_lo
	s_delay_alu instid0(SALU_CYCLE_1)
	s_or_b32 s13, s13, s17
	s_or_b32 exec_lo, exec_lo, s30
	v_lshl_or_b32 v26, v36, 16, v26
	s_and_saveexec_b32 s17, s13
	s_cbranch_execnz .LBB6_13807
	s_branch .LBB6_13808
.LBB6_14910:                            ;   in Loop: Header=BB6_12675 Depth=3
	s_mov_b32 s13, -1
	s_mov_b32 s31, exec_lo
                                        ; implicit-def: $sgpr17
	v_cmpx_eq_u16_e32 0x80, v38
; %bb.14911:                            ;   in Loop: Header=BB6_12675 Depth=3
	s_mov_b32 s17, 0x7f800001
	s_xor_b32 s13, exec_lo, -1
; %bb.14912:                            ;   in Loop: Header=BB6_12675 Depth=3
	s_or_b32 exec_lo, exec_lo, s31
	s_delay_alu instid0(SALU_CYCLE_1)
	s_and_b32 s13, s13, exec_lo
                                        ; implicit-def: $vgpr38
	s_or_saveexec_b32 s30, s30
	v_mov_b32_e32 v37, s17
	s_xor_b32 exec_lo, exec_lo, s30
	s_cbranch_execz .LBB6_13810
.LBB6_14913:                            ;   in Loop: Header=BB6_12675 Depth=3
	v_cmp_ne_u16_e32 vcc_lo, 0, v38
	v_mov_b32_e32 v37, 0
	s_and_not1_b32 s13, s13, exec_lo
	s_and_b32 s17, vcc_lo, exec_lo
	s_delay_alu instid0(SALU_CYCLE_1)
	s_or_b32 s13, s13, s17
	s_or_b32 exec_lo, exec_lo, s30
	s_and_saveexec_b32 s17, s13
	s_cbranch_execnz .LBB6_13811
	s_branch .LBB6_13812
.LBB6_14914:                            ;   in Loop: Header=BB6_12675 Depth=3
	s_mov_b32 s13, -1
	s_mov_b32 s31, exec_lo
                                        ; implicit-def: $sgpr17
	v_cmpx_eq_u16_e32 0x80, v36
; %bb.14915:                            ;   in Loop: Header=BB6_12675 Depth=3
	s_mov_b32 s17, 0x7f800001
	s_xor_b32 s13, exec_lo, -1
; %bb.14916:                            ;   in Loop: Header=BB6_12675 Depth=3
	s_or_b32 exec_lo, exec_lo, s31
	s_delay_alu instid0(SALU_CYCLE_1)
	s_and_b32 s13, s13, exec_lo
	s_or_saveexec_b32 s30, s30
	v_mov_b32_e32 v27, s17
	s_xor_b32 exec_lo, exec_lo, s30
	s_cbranch_execz .LBB6_13822
.LBB6_14917:                            ;   in Loop: Header=BB6_12675 Depth=3
	v_cmp_ne_u16_e32 vcc_lo, 0, v36
	v_mov_b32_e32 v27, 0
	s_and_not1_b32 s13, s13, exec_lo
	s_and_b32 s17, vcc_lo, exec_lo
	s_delay_alu instid0(SALU_CYCLE_1)
	s_or_b32 s13, s13, s17
	s_or_b32 exec_lo, exec_lo, s30
	s_and_saveexec_b32 s17, s13
	s_cbranch_execnz .LBB6_13823
	s_branch .LBB6_13824
.LBB6_14918:                            ;   in Loop: Header=BB6_12675 Depth=3
	s_mov_b32 s13, -1
	s_mov_b32 s31, exec_lo
                                        ; implicit-def: $sgpr17
	v_cmpx_eq_u16_e32 0x80, v26
; %bb.14919:                            ;   in Loop: Header=BB6_12675 Depth=3
	s_mov_b32 s17, 0x7f800001
	s_xor_b32 s13, exec_lo, -1
; %bb.14920:                            ;   in Loop: Header=BB6_12675 Depth=3
	s_or_b32 exec_lo, exec_lo, s31
	s_delay_alu instid0(SALU_CYCLE_1)
	s_and_b32 s13, s13, exec_lo
	s_or_saveexec_b32 s30, s30
	v_mov_b32_e32 v36, s17
	s_xor_b32 exec_lo, exec_lo, s30
	s_cbranch_execz .LBB6_13826
.LBB6_14921:                            ;   in Loop: Header=BB6_12675 Depth=3
	v_cmp_ne_u16_e32 vcc_lo, 0, v26
	v_mov_b32_e32 v36, 0
	s_and_not1_b32 s13, s13, exec_lo
	s_and_b32 s17, vcc_lo, exec_lo
	s_delay_alu instid0(SALU_CYCLE_1)
	s_or_b32 s13, s13, s17
	s_or_b32 exec_lo, exec_lo, s30
	s_and_saveexec_b32 s17, s13
	s_cbranch_execnz .LBB6_13827
	s_branch .LBB6_13828
.LBB6_14922:                            ;   in Loop: Header=BB6_12675 Depth=3
	s_mov_b32 s13, -1
	s_mov_b32 s31, exec_lo
                                        ; implicit-def: $sgpr17
	v_cmpx_eq_u16_e32 0x80, v27
; %bb.14923:                            ;   in Loop: Header=BB6_12675 Depth=3
	s_mov_b32 s17, 0x7f800001
	s_xor_b32 s13, exec_lo, -1
; %bb.14924:                            ;   in Loop: Header=BB6_12675 Depth=3
	s_or_b32 exec_lo, exec_lo, s31
	s_delay_alu instid0(SALU_CYCLE_1)
	s_and_b32 s13, s13, exec_lo
                                        ; implicit-def: $vgpr27
	s_or_saveexec_b32 s30, s30
	v_mov_b32_e32 v26, s17
	s_xor_b32 exec_lo, exec_lo, s30
	s_cbranch_execz .LBB6_13838
.LBB6_14925:                            ;   in Loop: Header=BB6_12675 Depth=3
	v_cmp_ne_u16_e32 vcc_lo, 0, v27
	v_mov_b32_e32 v26, 0
	s_and_not1_b32 s13, s13, exec_lo
	s_and_b32 s17, vcc_lo, exec_lo
	s_delay_alu instid0(SALU_CYCLE_1)
	s_or_b32 s13, s13, s17
	s_or_b32 exec_lo, exec_lo, s30
	s_and_saveexec_b32 s17, s13
	s_cbranch_execnz .LBB6_13839
	s_branch .LBB6_13840
.LBB6_14926:                            ;   in Loop: Header=BB6_12675 Depth=3
	s_mov_b32 s13, -1
	s_mov_b32 s31, exec_lo
                                        ; implicit-def: $sgpr17
	v_cmpx_eq_u16_e32 0x80, v36
; %bb.14927:                            ;   in Loop: Header=BB6_12675 Depth=3
	s_mov_b32 s17, 0x7f800001
	s_xor_b32 s13, exec_lo, -1
; %bb.14928:                            ;   in Loop: Header=BB6_12675 Depth=3
	s_or_b32 exec_lo, exec_lo, s31
	s_delay_alu instid0(SALU_CYCLE_1)
	s_and_b32 s13, s13, exec_lo
                                        ; implicit-def: $vgpr36
	s_or_saveexec_b32 s30, s30
	v_mov_b32_e32 v27, s17
	s_xor_b32 exec_lo, exec_lo, s30
	s_cbranch_execz .LBB6_13842
.LBB6_14929:                            ;   in Loop: Header=BB6_12675 Depth=3
	v_cmp_ne_u16_e32 vcc_lo, 0, v36
	v_mov_b32_e32 v27, 0
	s_and_not1_b32 s13, s13, exec_lo
	s_and_b32 s17, vcc_lo, exec_lo
	s_delay_alu instid0(SALU_CYCLE_1)
	s_or_b32 s13, s13, s17
	s_or_b32 exec_lo, exec_lo, s30
	s_and_saveexec_b32 s17, s13
	s_cbranch_execnz .LBB6_13843
	s_branch .LBB6_13844
.LBB6_14930:                            ;   in Loop: Header=BB6_12675 Depth=3
	s_mov_b32 s13, -1
	s_mov_b32 s31, exec_lo
                                        ; implicit-def: $sgpr17
	v_cmpx_eq_u16_e32 0x80, v27
; %bb.14931:                            ;   in Loop: Header=BB6_12675 Depth=3
	s_mov_b32 s17, 0x7f800001
	s_xor_b32 s13, exec_lo, -1
; %bb.14932:                            ;   in Loop: Header=BB6_12675 Depth=3
	s_or_b32 exec_lo, exec_lo, s31
	s_delay_alu instid0(SALU_CYCLE_1)
	s_and_b32 s13, s13, exec_lo
                                        ; implicit-def: $vgpr27
	s_or_saveexec_b32 s30, s30
	v_mov_b32_e32 v26, s17
	s_xor_b32 exec_lo, exec_lo, s30
	s_cbranch_execz .LBB6_13854
.LBB6_14933:                            ;   in Loop: Header=BB6_12675 Depth=3
	v_cmp_ne_u16_e32 vcc_lo, 0, v27
	v_mov_b32_e32 v26, 0
	s_and_not1_b32 s13, s13, exec_lo
	s_and_b32 s17, vcc_lo, exec_lo
	s_delay_alu instid0(SALU_CYCLE_1)
	s_or_b32 s13, s13, s17
	s_or_b32 exec_lo, exec_lo, s30
	s_and_saveexec_b32 s17, s13
	s_cbranch_execnz .LBB6_13855
	s_branch .LBB6_13856
.LBB6_14934:                            ;   in Loop: Header=BB6_12675 Depth=3
	s_mov_b32 s13, -1
	s_mov_b32 s31, exec_lo
                                        ; implicit-def: $sgpr17
	v_cmpx_eq_u16_e32 0x80, v27
; %bb.14935:                            ;   in Loop: Header=BB6_12675 Depth=3
	s_mov_b32 s17, 0x7f800001
	s_xor_b32 s13, exec_lo, -1
; %bb.14936:                            ;   in Loop: Header=BB6_12675 Depth=3
	s_or_b32 exec_lo, exec_lo, s31
	s_delay_alu instid0(SALU_CYCLE_1)
	s_and_b32 s13, s13, exec_lo
	s_or_saveexec_b32 s30, s30
	v_mov_b32_e32 v36, s17
	s_xor_b32 exec_lo, exec_lo, s30
	s_cbranch_execz .LBB6_13858
.LBB6_14937:                            ;   in Loop: Header=BB6_12675 Depth=3
	v_cmp_ne_u16_e32 vcc_lo, 0, v27
	v_mov_b32_e32 v36, 0
	s_and_not1_b32 s13, s13, exec_lo
	s_and_b32 s17, vcc_lo, exec_lo
	s_delay_alu instid0(SALU_CYCLE_1)
	s_or_b32 s13, s13, s17
	s_or_b32 exec_lo, exec_lo, s30
	s_and_saveexec_b32 s17, s13
	s_cbranch_execnz .LBB6_13859
	s_branch .LBB6_13860
.LBB6_14938:                            ;   in Loop: Header=BB6_12675 Depth=3
	s_mov_b32 s13, -1
	s_mov_b32 s31, exec_lo
                                        ; implicit-def: $sgpr17
	v_cmpx_eq_u16_e32 0x80, v27
; %bb.14939:                            ;   in Loop: Header=BB6_12675 Depth=3
	s_mov_b32 s17, 0x7f800001
	s_xor_b32 s13, exec_lo, -1
; %bb.14940:                            ;   in Loop: Header=BB6_12675 Depth=3
	s_or_b32 exec_lo, exec_lo, s31
	s_delay_alu instid0(SALU_CYCLE_1)
	s_and_b32 s13, s13, exec_lo
                                        ; implicit-def: $vgpr27
	s_or_saveexec_b32 s30, s30
	v_mov_b32_e32 v26, s17
	s_xor_b32 exec_lo, exec_lo, s30
	s_cbranch_execz .LBB6_13870
.LBB6_14941:                            ;   in Loop: Header=BB6_12675 Depth=3
	v_cmp_ne_u16_e32 vcc_lo, 0, v27
	v_mov_b32_e32 v26, 0
	s_and_not1_b32 s13, s13, exec_lo
	s_and_b32 s17, vcc_lo, exec_lo
	s_delay_alu instid0(SALU_CYCLE_1)
	s_or_b32 s13, s13, s17
	s_or_b32 exec_lo, exec_lo, s30
	s_and_saveexec_b32 s17, s13
	s_cbranch_execnz .LBB6_13871
	s_branch .LBB6_13872
.LBB6_14942:                            ;   in Loop: Header=BB6_12675 Depth=3
	s_mov_b32 s13, -1
	s_mov_b32 s31, exec_lo
                                        ; implicit-def: $sgpr17
	v_cmpx_eq_u16_e32 0x80, v37
; %bb.14943:                            ;   in Loop: Header=BB6_12675 Depth=3
	s_mov_b32 s17, 0x7f800001
	s_xor_b32 s13, exec_lo, -1
; %bb.14944:                            ;   in Loop: Header=BB6_12675 Depth=3
	s_or_b32 exec_lo, exec_lo, s31
	s_delay_alu instid0(SALU_CYCLE_1)
	s_and_b32 s13, s13, exec_lo
                                        ; implicit-def: $vgpr37
	s_or_saveexec_b32 s30, s30
	v_mov_b32_e32 v36, s17
	s_xor_b32 exec_lo, exec_lo, s30
	s_cbranch_execz .LBB6_13874
.LBB6_14945:                            ;   in Loop: Header=BB6_12675 Depth=3
	v_cmp_ne_u16_e32 vcc_lo, 0, v37
	v_mov_b32_e32 v36, 0
	s_and_not1_b32 s13, s13, exec_lo
	s_and_b32 s17, vcc_lo, exec_lo
	s_delay_alu instid0(SALU_CYCLE_1)
	s_or_b32 s13, s13, s17
	s_or_b32 exec_lo, exec_lo, s30
	s_and_saveexec_b32 s17, s13
	s_cbranch_execnz .LBB6_13875
	s_branch .LBB6_13876
.LBB6_14946:                            ;   in Loop: Header=BB6_12675 Depth=3
	s_mov_b32 s13, -1
	s_mov_b32 s31, exec_lo
                                        ; implicit-def: $sgpr17
	v_cmpx_eq_u16_e32 0x80, v27
; %bb.14947:                            ;   in Loop: Header=BB6_12675 Depth=3
	s_mov_b32 s17, 0x7f800001
	s_xor_b32 s13, exec_lo, -1
; %bb.14948:                            ;   in Loop: Header=BB6_12675 Depth=3
	s_or_b32 exec_lo, exec_lo, s31
	s_delay_alu instid0(SALU_CYCLE_1)
	s_and_b32 s13, s13, exec_lo
	s_or_saveexec_b32 s30, s30
	v_mov_b32_e32 v26, s17
	s_xor_b32 exec_lo, exec_lo, s30
	s_cbranch_execz .LBB6_13886
.LBB6_14949:                            ;   in Loop: Header=BB6_12675 Depth=3
	v_cmp_ne_u16_e32 vcc_lo, 0, v27
	v_mov_b32_e32 v26, 0
	s_and_not1_b32 s13, s13, exec_lo
	s_and_b32 s17, vcc_lo, exec_lo
	s_delay_alu instid0(SALU_CYCLE_1)
	s_or_b32 s13, s13, s17
	s_or_b32 exec_lo, exec_lo, s30
	s_and_saveexec_b32 s17, s13
	s_cbranch_execnz .LBB6_13887
	s_branch .LBB6_13888
.LBB6_14950:                            ;   in Loop: Header=BB6_12675 Depth=3
	s_mov_b32 s13, -1
	s_mov_b32 s31, exec_lo
                                        ; implicit-def: $sgpr17
	v_cmpx_eq_u16_e32 0x80, v27
; %bb.14951:                            ;   in Loop: Header=BB6_12675 Depth=3
	s_mov_b32 s17, 0x7f800001
	s_xor_b32 s13, exec_lo, -1
; %bb.14952:                            ;   in Loop: Header=BB6_12675 Depth=3
	s_or_b32 exec_lo, exec_lo, s31
	s_delay_alu instid0(SALU_CYCLE_1)
	s_and_b32 s13, s13, exec_lo
	s_or_saveexec_b32 s30, s30
	v_mov_b32_e32 v36, s17
	s_xor_b32 exec_lo, exec_lo, s30
	s_cbranch_execz .LBB6_13890
.LBB6_14953:                            ;   in Loop: Header=BB6_12675 Depth=3
	v_cmp_ne_u16_e32 vcc_lo, 0, v27
	v_mov_b32_e32 v36, 0
	s_and_not1_b32 s13, s13, exec_lo
	s_and_b32 s17, vcc_lo, exec_lo
	s_delay_alu instid0(SALU_CYCLE_1)
	s_or_b32 s13, s13, s17
	s_or_b32 exec_lo, exec_lo, s30
	s_and_saveexec_b32 s17, s13
	s_cbranch_execnz .LBB6_13891
	s_branch .LBB6_13892
.LBB6_14954:                            ;   in Loop: Header=BB6_12675 Depth=3
	s_mov_b32 s13, -1
	s_mov_b32 s31, exec_lo
                                        ; implicit-def: $sgpr17
	v_cmpx_eq_u16_e32 0x80, v36
; %bb.14955:                            ;   in Loop: Header=BB6_12675 Depth=3
	s_mov_b32 s17, 0x7f800001
	s_xor_b32 s13, exec_lo, -1
; %bb.14956:                            ;   in Loop: Header=BB6_12675 Depth=3
	s_or_b32 exec_lo, exec_lo, s31
	s_delay_alu instid0(SALU_CYCLE_1)
	s_and_b32 s13, s13, exec_lo
                                        ; implicit-def: $vgpr36
	s_or_saveexec_b32 s30, s30
	v_mov_b32_e32 v27, s17
	s_xor_b32 exec_lo, exec_lo, s30
	s_cbranch_execz .LBB6_13902
.LBB6_14957:                            ;   in Loop: Header=BB6_12675 Depth=3
	v_cmp_ne_u16_e32 vcc_lo, 0, v36
	v_mov_b32_e32 v27, 0
	s_and_not1_b32 s13, s13, exec_lo
	s_and_b32 s17, vcc_lo, exec_lo
	s_delay_alu instid0(SALU_CYCLE_1)
	s_or_b32 s13, s13, s17
	s_or_b32 exec_lo, exec_lo, s30
	s_and_saveexec_b32 s17, s13
	s_cbranch_execnz .LBB6_13903
	s_branch .LBB6_13904
.LBB6_14958:                            ;   in Loop: Header=BB6_12675 Depth=3
	s_mov_b32 s13, -1
	s_mov_b32 s31, exec_lo
                                        ; implicit-def: $sgpr17
	v_cmpx_eq_u16_e32 0x80, v37
; %bb.14959:                            ;   in Loop: Header=BB6_12675 Depth=3
	s_mov_b32 s17, 0x7f800001
	s_xor_b32 s13, exec_lo, -1
; %bb.14960:                            ;   in Loop: Header=BB6_12675 Depth=3
	s_or_b32 exec_lo, exec_lo, s31
	s_delay_alu instid0(SALU_CYCLE_1)
	s_and_b32 s13, s13, exec_lo
                                        ; implicit-def: $vgpr37
	s_or_saveexec_b32 s30, s30
	v_mov_b32_e32 v36, s17
	s_xor_b32 exec_lo, exec_lo, s30
	s_cbranch_execz .LBB6_13906
.LBB6_14961:                            ;   in Loop: Header=BB6_12675 Depth=3
	v_cmp_ne_u16_e32 vcc_lo, 0, v37
	v_mov_b32_e32 v36, 0
	s_and_not1_b32 s13, s13, exec_lo
	s_and_b32 s17, vcc_lo, exec_lo
	s_delay_alu instid0(SALU_CYCLE_1)
	s_or_b32 s13, s13, s17
	s_or_b32 exec_lo, exec_lo, s30
	s_and_saveexec_b32 s17, s13
	s_cbranch_execnz .LBB6_13907
	s_branch .LBB6_13908
.LBB6_14962:                            ;   in Loop: Header=BB6_12675 Depth=3
	s_mov_b32 s13, -1
	s_mov_b32 s31, exec_lo
                                        ; implicit-def: $sgpr17
	v_cmpx_eq_u16_e32 0x80, v36
; %bb.14963:                            ;   in Loop: Header=BB6_12675 Depth=3
	s_mov_b32 s17, 0x7f800001
	s_xor_b32 s13, exec_lo, -1
; %bb.14964:                            ;   in Loop: Header=BB6_12675 Depth=3
	s_or_b32 exec_lo, exec_lo, s31
	s_delay_alu instid0(SALU_CYCLE_1)
	s_and_b32 s13, s13, exec_lo
	s_or_saveexec_b32 s30, s30
	v_mov_b32_e32 v27, s17
	s_xor_b32 exec_lo, exec_lo, s30
	s_cbranch_execz .LBB6_13918
.LBB6_14965:                            ;   in Loop: Header=BB6_12675 Depth=3
	v_cmp_ne_u16_e32 vcc_lo, 0, v36
	v_mov_b32_e32 v27, 0
	s_and_not1_b32 s13, s13, exec_lo
	s_and_b32 s17, vcc_lo, exec_lo
	s_delay_alu instid0(SALU_CYCLE_1)
	s_or_b32 s13, s13, s17
	s_or_b32 exec_lo, exec_lo, s30
	s_and_saveexec_b32 s17, s13
	s_cbranch_execnz .LBB6_13919
	s_branch .LBB6_13920
.LBB6_14966:                            ;   in Loop: Header=BB6_12675 Depth=3
	s_mov_b32 s13, -1
	s_mov_b32 s31, exec_lo
                                        ; implicit-def: $sgpr17
	v_cmpx_eq_u16_e32 0x80, v36
; %bb.14967:                            ;   in Loop: Header=BB6_12675 Depth=3
	s_mov_b32 s17, 0x7f800001
	s_xor_b32 s13, exec_lo, -1
; %bb.14968:                            ;   in Loop: Header=BB6_12675 Depth=3
	s_or_b32 exec_lo, exec_lo, s31
	s_delay_alu instid0(SALU_CYCLE_1)
	s_and_b32 s13, s13, exec_lo
	s_or_saveexec_b32 s30, s30
	v_mov_b32_e32 v37, s17
	s_xor_b32 exec_lo, exec_lo, s30
	s_cbranch_execz .LBB6_13922
.LBB6_14969:                            ;   in Loop: Header=BB6_12675 Depth=3
	v_cmp_ne_u16_e32 vcc_lo, 0, v36
	v_mov_b32_e32 v37, 0
	s_and_not1_b32 s13, s13, exec_lo
	s_and_b32 s17, vcc_lo, exec_lo
	s_delay_alu instid0(SALU_CYCLE_1)
	s_or_b32 s13, s13, s17
	s_or_b32 exec_lo, exec_lo, s30
	s_and_saveexec_b32 s17, s13
	s_cbranch_execnz .LBB6_13923
	s_branch .LBB6_13924
.LBB6_14970:                            ;   in Loop: Header=BB6_12675 Depth=3
	s_mov_b32 s13, -1
	s_mov_b32 s31, exec_lo
                                        ; implicit-def: $sgpr17
	v_cmpx_eq_u16_e32 0x80, v37
; %bb.14971:                            ;   in Loop: Header=BB6_12675 Depth=3
	s_mov_b32 s17, 0x7f800001
	s_xor_b32 s13, exec_lo, -1
; %bb.14972:                            ;   in Loop: Header=BB6_12675 Depth=3
	s_or_b32 exec_lo, exec_lo, s31
	s_delay_alu instid0(SALU_CYCLE_1)
	s_and_b32 s13, s13, exec_lo
                                        ; implicit-def: $vgpr37
	s_or_saveexec_b32 s30, s30
	v_mov_b32_e32 v27, s17
	s_xor_b32 exec_lo, exec_lo, s30
	s_cbranch_execz .LBB6_13934
.LBB6_14973:                            ;   in Loop: Header=BB6_12675 Depth=3
	v_cmp_ne_u16_e32 vcc_lo, 0, v37
	v_mov_b32_e32 v27, 0
	s_and_not1_b32 s13, s13, exec_lo
	s_and_b32 s17, vcc_lo, exec_lo
	s_delay_alu instid0(SALU_CYCLE_1)
	s_or_b32 s13, s13, s17
	s_or_b32 exec_lo, exec_lo, s30
	v_lshl_or_b32 v26, v36, 16, v26
	s_and_saveexec_b32 s17, s13
	s_cbranch_execnz .LBB6_13935
	s_branch .LBB6_13936
.LBB6_14974:                            ;   in Loop: Header=BB6_12675 Depth=3
	s_mov_b32 s13, -1
	s_mov_b32 s31, exec_lo
                                        ; implicit-def: $sgpr17
	v_cmpx_eq_u16_e32 0x80, v38
; %bb.14975:                            ;   in Loop: Header=BB6_12675 Depth=3
	s_mov_b32 s17, 0x7f800001
	s_xor_b32 s13, exec_lo, -1
; %bb.14976:                            ;   in Loop: Header=BB6_12675 Depth=3
	s_or_b32 exec_lo, exec_lo, s31
	s_delay_alu instid0(SALU_CYCLE_1)
	s_and_b32 s13, s13, exec_lo
                                        ; implicit-def: $vgpr38
	s_or_saveexec_b32 s30, s30
	v_mov_b32_e32 v37, s17
	s_xor_b32 exec_lo, exec_lo, s30
	s_cbranch_execz .LBB6_13938
.LBB6_14977:                            ;   in Loop: Header=BB6_12675 Depth=3
	v_cmp_ne_u16_e32 vcc_lo, 0, v38
	v_mov_b32_e32 v37, 0
	s_and_not1_b32 s13, s13, exec_lo
	s_and_b32 s17, vcc_lo, exec_lo
	s_delay_alu instid0(SALU_CYCLE_1)
	s_or_b32 s13, s13, s17
	s_or_b32 exec_lo, exec_lo, s30
	s_and_saveexec_b32 s17, s13
	s_cbranch_execnz .LBB6_13939
	s_branch .LBB6_13940
.LBB6_14978:                            ;   in Loop: Header=BB6_12675 Depth=3
	s_mov_b32 s13, -1
	s_mov_b32 s31, exec_lo
                                        ; implicit-def: $sgpr17
	v_cmpx_eq_u16_e32 0x80, v36
; %bb.14979:                            ;   in Loop: Header=BB6_12675 Depth=3
	s_mov_b32 s17, 0x7f800001
	s_xor_b32 s13, exec_lo, -1
; %bb.14980:                            ;   in Loop: Header=BB6_12675 Depth=3
	s_or_b32 exec_lo, exec_lo, s31
	s_delay_alu instid0(SALU_CYCLE_1)
	s_and_b32 s13, s13, exec_lo
	s_or_saveexec_b32 s30, s30
	v_mov_b32_e32 v27, s17
	s_xor_b32 exec_lo, exec_lo, s30
	s_cbranch_execz .LBB6_13950
.LBB6_14981:                            ;   in Loop: Header=BB6_12675 Depth=3
	v_cmp_ne_u16_e32 vcc_lo, 0, v36
	v_mov_b32_e32 v27, 0
	s_and_not1_b32 s13, s13, exec_lo
	s_and_b32 s17, vcc_lo, exec_lo
	s_delay_alu instid0(SALU_CYCLE_1)
	s_or_b32 s13, s13, s17
	s_or_b32 exec_lo, exec_lo, s30
	s_and_saveexec_b32 s17, s13
	s_cbranch_execnz .LBB6_13951
	s_branch .LBB6_13952
.LBB6_14982:                            ;   in Loop: Header=BB6_12675 Depth=3
	s_mov_b32 s13, -1
	s_mov_b32 s31, exec_lo
                                        ; implicit-def: $sgpr17
	v_cmpx_eq_u16_e32 0x80, v26
; %bb.14983:                            ;   in Loop: Header=BB6_12675 Depth=3
	s_mov_b32 s17, 0x7f800001
	s_xor_b32 s13, exec_lo, -1
; %bb.14984:                            ;   in Loop: Header=BB6_12675 Depth=3
	s_or_b32 exec_lo, exec_lo, s31
	s_delay_alu instid0(SALU_CYCLE_1)
	s_and_b32 s13, s13, exec_lo
	s_or_saveexec_b32 s30, s30
	v_mov_b32_e32 v36, s17
	s_xor_b32 exec_lo, exec_lo, s30
	s_cbranch_execz .LBB6_13954
.LBB6_14985:                            ;   in Loop: Header=BB6_12675 Depth=3
	v_cmp_ne_u16_e32 vcc_lo, 0, v26
	v_mov_b32_e32 v36, 0
	s_and_not1_b32 s13, s13, exec_lo
	s_and_b32 s17, vcc_lo, exec_lo
	s_delay_alu instid0(SALU_CYCLE_1)
	s_or_b32 s13, s13, s17
	s_or_b32 exec_lo, exec_lo, s30
	s_and_saveexec_b32 s17, s13
	s_cbranch_execnz .LBB6_13955
	s_branch .LBB6_13956
.LBB6_14986:                            ;   in Loop: Header=BB6_12675 Depth=3
	s_mov_b32 s13, -1
	s_mov_b32 s31, exec_lo
                                        ; implicit-def: $sgpr17
	v_cmpx_eq_u16_e32 0x80, v27
; %bb.14987:                            ;   in Loop: Header=BB6_12675 Depth=3
	s_mov_b32 s17, 0x7f800001
	s_xor_b32 s13, exec_lo, -1
; %bb.14988:                            ;   in Loop: Header=BB6_12675 Depth=3
	s_or_b32 exec_lo, exec_lo, s31
	s_delay_alu instid0(SALU_CYCLE_1)
	s_and_b32 s13, s13, exec_lo
                                        ; implicit-def: $vgpr27
	s_or_saveexec_b32 s30, s30
	v_mov_b32_e32 v26, s17
	s_xor_b32 exec_lo, exec_lo, s30
	s_cbranch_execz .LBB6_13966
.LBB6_14989:                            ;   in Loop: Header=BB6_12675 Depth=3
	v_cmp_ne_u16_e32 vcc_lo, 0, v27
	v_mov_b32_e32 v26, 0
	s_and_not1_b32 s13, s13, exec_lo
	s_and_b32 s17, vcc_lo, exec_lo
	s_delay_alu instid0(SALU_CYCLE_1)
	s_or_b32 s13, s13, s17
	s_or_b32 exec_lo, exec_lo, s30
	s_and_saveexec_b32 s17, s13
	s_cbranch_execnz .LBB6_13967
	s_branch .LBB6_13968
.LBB6_14990:                            ;   in Loop: Header=BB6_12675 Depth=3
	s_mov_b32 s13, -1
	s_mov_b32 s31, exec_lo
                                        ; implicit-def: $sgpr17
	v_cmpx_eq_u16_e32 0x80, v36
; %bb.14991:                            ;   in Loop: Header=BB6_12675 Depth=3
	s_mov_b32 s17, 0x7f800001
	s_xor_b32 s13, exec_lo, -1
; %bb.14992:                            ;   in Loop: Header=BB6_12675 Depth=3
	s_or_b32 exec_lo, exec_lo, s31
	s_delay_alu instid0(SALU_CYCLE_1)
	s_and_b32 s13, s13, exec_lo
                                        ; implicit-def: $vgpr36
	s_or_saveexec_b32 s30, s30
	v_mov_b32_e32 v27, s17
	s_xor_b32 exec_lo, exec_lo, s30
	s_cbranch_execz .LBB6_13970
.LBB6_14993:                            ;   in Loop: Header=BB6_12675 Depth=3
	v_cmp_ne_u16_e32 vcc_lo, 0, v36
	v_mov_b32_e32 v27, 0
	s_and_not1_b32 s13, s13, exec_lo
	s_and_b32 s17, vcc_lo, exec_lo
	s_delay_alu instid0(SALU_CYCLE_1)
	s_or_b32 s13, s13, s17
	s_or_b32 exec_lo, exec_lo, s30
	s_and_saveexec_b32 s17, s13
	s_cbranch_execnz .LBB6_13971
	s_branch .LBB6_13972
.LBB6_14994:                            ;   in Loop: Header=BB6_12675 Depth=3
	s_mov_b32 s13, -1
	s_mov_b32 s31, exec_lo
                                        ; implicit-def: $sgpr17
	v_cmpx_eq_u16_e32 0x80, v27
; %bb.14995:                            ;   in Loop: Header=BB6_12675 Depth=3
	s_mov_b32 s17, 0x7f800001
	s_xor_b32 s13, exec_lo, -1
; %bb.14996:                            ;   in Loop: Header=BB6_12675 Depth=3
	s_or_b32 exec_lo, exec_lo, s31
	s_delay_alu instid0(SALU_CYCLE_1)
	s_and_b32 s13, s13, exec_lo
                                        ; implicit-def: $vgpr27
	s_or_saveexec_b32 s30, s30
	v_mov_b32_e32 v26, s17
	s_xor_b32 exec_lo, exec_lo, s30
	s_cbranch_execz .LBB6_13982
.LBB6_14997:                            ;   in Loop: Header=BB6_12675 Depth=3
	v_cmp_ne_u16_e32 vcc_lo, 0, v27
	v_mov_b32_e32 v26, 0
	s_and_not1_b32 s13, s13, exec_lo
	s_and_b32 s17, vcc_lo, exec_lo
	s_delay_alu instid0(SALU_CYCLE_1)
	s_or_b32 s13, s13, s17
	s_or_b32 exec_lo, exec_lo, s30
	s_and_saveexec_b32 s17, s13
	s_cbranch_execnz .LBB6_13983
	s_branch .LBB6_13984
.LBB6_14998:                            ;   in Loop: Header=BB6_12675 Depth=3
	s_mov_b32 s13, -1
	s_mov_b32 s31, exec_lo
                                        ; implicit-def: $sgpr17
	v_cmpx_eq_u16_e32 0x80, v27
; %bb.14999:                            ;   in Loop: Header=BB6_12675 Depth=3
	s_mov_b32 s17, 0x7f800001
	s_xor_b32 s13, exec_lo, -1
; %bb.15000:                            ;   in Loop: Header=BB6_12675 Depth=3
	s_or_b32 exec_lo, exec_lo, s31
	s_delay_alu instid0(SALU_CYCLE_1)
	s_and_b32 s13, s13, exec_lo
	s_or_saveexec_b32 s30, s30
	v_mov_b32_e32 v36, s17
	s_xor_b32 exec_lo, exec_lo, s30
	s_cbranch_execz .LBB6_13986
.LBB6_15001:                            ;   in Loop: Header=BB6_12675 Depth=3
	v_cmp_ne_u16_e32 vcc_lo, 0, v27
	v_mov_b32_e32 v36, 0
	s_and_not1_b32 s13, s13, exec_lo
	s_and_b32 s17, vcc_lo, exec_lo
	s_delay_alu instid0(SALU_CYCLE_1)
	s_or_b32 s13, s13, s17
	s_or_b32 exec_lo, exec_lo, s30
	s_and_saveexec_b32 s17, s13
	s_cbranch_execnz .LBB6_13987
	s_branch .LBB6_13988
.LBB6_15002:                            ;   in Loop: Header=BB6_12675 Depth=3
	s_mov_b32 s13, -1
	s_mov_b32 s31, exec_lo
                                        ; implicit-def: $sgpr17
	v_cmpx_eq_u16_e32 0x80, v27
; %bb.15003:                            ;   in Loop: Header=BB6_12675 Depth=3
	s_mov_b32 s17, 0x7f800001
	s_xor_b32 s13, exec_lo, -1
; %bb.15004:                            ;   in Loop: Header=BB6_12675 Depth=3
	s_or_b32 exec_lo, exec_lo, s31
	s_delay_alu instid0(SALU_CYCLE_1)
	s_and_b32 s13, s13, exec_lo
                                        ; implicit-def: $vgpr27
	s_or_saveexec_b32 s30, s30
	v_mov_b32_e32 v26, s17
	s_xor_b32 exec_lo, exec_lo, s30
	s_cbranch_execz .LBB6_13998
.LBB6_15005:                            ;   in Loop: Header=BB6_12675 Depth=3
	v_cmp_ne_u16_e32 vcc_lo, 0, v27
	v_mov_b32_e32 v26, 0
	s_and_not1_b32 s13, s13, exec_lo
	s_and_b32 s17, vcc_lo, exec_lo
	s_delay_alu instid0(SALU_CYCLE_1)
	s_or_b32 s13, s13, s17
	s_or_b32 exec_lo, exec_lo, s30
	s_and_saveexec_b32 s17, s13
	s_cbranch_execnz .LBB6_13999
	s_branch .LBB6_14000
.LBB6_15006:                            ;   in Loop: Header=BB6_12675 Depth=3
	s_mov_b32 s13, -1
	s_mov_b32 s31, exec_lo
                                        ; implicit-def: $sgpr17
	v_cmpx_eq_u16_e32 0x80, v37
; %bb.15007:                            ;   in Loop: Header=BB6_12675 Depth=3
	s_mov_b32 s17, 0x7f800001
	s_xor_b32 s13, exec_lo, -1
; %bb.15008:                            ;   in Loop: Header=BB6_12675 Depth=3
	s_or_b32 exec_lo, exec_lo, s31
	s_delay_alu instid0(SALU_CYCLE_1)
	s_and_b32 s13, s13, exec_lo
                                        ; implicit-def: $vgpr37
	s_or_saveexec_b32 s30, s30
	v_mov_b32_e32 v36, s17
	s_xor_b32 exec_lo, exec_lo, s30
	s_cbranch_execz .LBB6_14002
.LBB6_15009:                            ;   in Loop: Header=BB6_12675 Depth=3
	v_cmp_ne_u16_e32 vcc_lo, 0, v37
	v_mov_b32_e32 v36, 0
	s_and_not1_b32 s13, s13, exec_lo
	s_and_b32 s17, vcc_lo, exec_lo
	s_delay_alu instid0(SALU_CYCLE_1)
	s_or_b32 s13, s13, s17
	s_or_b32 exec_lo, exec_lo, s30
	s_and_saveexec_b32 s17, s13
	s_cbranch_execnz .LBB6_14003
	s_branch .LBB6_14004
.LBB6_15010:                            ;   in Loop: Header=BB6_12675 Depth=3
	s_mov_b32 s13, -1
	s_mov_b32 s31, exec_lo
                                        ; implicit-def: $sgpr17
	v_cmpx_eq_u16_e32 0x80, v27
; %bb.15011:                            ;   in Loop: Header=BB6_12675 Depth=3
	s_mov_b32 s17, 0x7f800001
	s_xor_b32 s13, exec_lo, -1
; %bb.15012:                            ;   in Loop: Header=BB6_12675 Depth=3
	s_or_b32 exec_lo, exec_lo, s31
	s_delay_alu instid0(SALU_CYCLE_1)
	s_and_b32 s13, s13, exec_lo
	s_or_saveexec_b32 s30, s30
	v_mov_b32_e32 v26, s17
	s_xor_b32 exec_lo, exec_lo, s30
	s_cbranch_execz .LBB6_14014
.LBB6_15013:                            ;   in Loop: Header=BB6_12675 Depth=3
	v_cmp_ne_u16_e32 vcc_lo, 0, v27
	v_mov_b32_e32 v26, 0
	s_and_not1_b32 s13, s13, exec_lo
	s_and_b32 s17, vcc_lo, exec_lo
	s_delay_alu instid0(SALU_CYCLE_1)
	s_or_b32 s13, s13, s17
	s_or_b32 exec_lo, exec_lo, s30
	s_and_saveexec_b32 s17, s13
	s_cbranch_execnz .LBB6_14015
	s_branch .LBB6_14016
.LBB6_15014:                            ;   in Loop: Header=BB6_12675 Depth=3
	s_mov_b32 s13, -1
	s_mov_b32 s31, exec_lo
                                        ; implicit-def: $sgpr17
	v_cmpx_eq_u16_e32 0x80, v27
; %bb.15015:                            ;   in Loop: Header=BB6_12675 Depth=3
	s_mov_b32 s17, 0x7f800001
	s_xor_b32 s13, exec_lo, -1
; %bb.15016:                            ;   in Loop: Header=BB6_12675 Depth=3
	s_or_b32 exec_lo, exec_lo, s31
	s_delay_alu instid0(SALU_CYCLE_1)
	s_and_b32 s13, s13, exec_lo
	s_or_saveexec_b32 s30, s30
	v_mov_b32_e32 v36, s17
	s_xor_b32 exec_lo, exec_lo, s30
	s_cbranch_execz .LBB6_14018
.LBB6_15017:                            ;   in Loop: Header=BB6_12675 Depth=3
	v_cmp_ne_u16_e32 vcc_lo, 0, v27
	v_mov_b32_e32 v36, 0
	s_and_not1_b32 s13, s13, exec_lo
	s_and_b32 s17, vcc_lo, exec_lo
	s_delay_alu instid0(SALU_CYCLE_1)
	s_or_b32 s13, s13, s17
	s_or_b32 exec_lo, exec_lo, s30
	s_and_saveexec_b32 s17, s13
	s_cbranch_execnz .LBB6_14019
	s_branch .LBB6_14020
.LBB6_15018:                            ;   in Loop: Header=BB6_12675 Depth=3
	s_mov_b32 s13, -1
	s_mov_b32 s31, exec_lo
                                        ; implicit-def: $sgpr17
	v_cmpx_eq_u16_e32 0x80, v36
; %bb.15019:                            ;   in Loop: Header=BB6_12675 Depth=3
	s_mov_b32 s17, 0x7f800001
	s_xor_b32 s13, exec_lo, -1
; %bb.15020:                            ;   in Loop: Header=BB6_12675 Depth=3
	s_or_b32 exec_lo, exec_lo, s31
	s_delay_alu instid0(SALU_CYCLE_1)
	s_and_b32 s13, s13, exec_lo
                                        ; implicit-def: $vgpr36
	s_or_saveexec_b32 s30, s30
	v_mov_b32_e32 v27, s17
	s_xor_b32 exec_lo, exec_lo, s30
	s_cbranch_execz .LBB6_14030
.LBB6_15021:                            ;   in Loop: Header=BB6_12675 Depth=3
	v_cmp_ne_u16_e32 vcc_lo, 0, v36
	v_mov_b32_e32 v27, 0
	s_and_not1_b32 s13, s13, exec_lo
	s_and_b32 s17, vcc_lo, exec_lo
	s_delay_alu instid0(SALU_CYCLE_1)
	s_or_b32 s13, s13, s17
	s_or_b32 exec_lo, exec_lo, s30
	s_and_saveexec_b32 s17, s13
	s_cbranch_execnz .LBB6_14031
	s_branch .LBB6_14032
.LBB6_15022:                            ;   in Loop: Header=BB6_12675 Depth=3
	s_mov_b32 s13, -1
	s_mov_b32 s31, exec_lo
                                        ; implicit-def: $sgpr17
	v_cmpx_eq_u16_e32 0x80, v37
; %bb.15023:                            ;   in Loop: Header=BB6_12675 Depth=3
	s_mov_b32 s17, 0x7f800001
	s_xor_b32 s13, exec_lo, -1
; %bb.15024:                            ;   in Loop: Header=BB6_12675 Depth=3
	s_or_b32 exec_lo, exec_lo, s31
	s_delay_alu instid0(SALU_CYCLE_1)
	s_and_b32 s13, s13, exec_lo
                                        ; implicit-def: $vgpr37
	s_or_saveexec_b32 s30, s30
	v_mov_b32_e32 v36, s17
	s_xor_b32 exec_lo, exec_lo, s30
	s_cbranch_execz .LBB6_14034
.LBB6_15025:                            ;   in Loop: Header=BB6_12675 Depth=3
	v_cmp_ne_u16_e32 vcc_lo, 0, v37
	v_mov_b32_e32 v36, 0
	s_and_not1_b32 s13, s13, exec_lo
	s_and_b32 s17, vcc_lo, exec_lo
	s_delay_alu instid0(SALU_CYCLE_1)
	s_or_b32 s13, s13, s17
	s_or_b32 exec_lo, exec_lo, s30
	s_and_saveexec_b32 s17, s13
	s_cbranch_execnz .LBB6_14035
	s_branch .LBB6_14036
.LBB6_15026:                            ;   in Loop: Header=BB6_12675 Depth=3
	s_mov_b32 s13, -1
	s_mov_b32 s31, exec_lo
                                        ; implicit-def: $sgpr17
	v_cmpx_eq_u16_e32 0x80, v36
; %bb.15027:                            ;   in Loop: Header=BB6_12675 Depth=3
	s_mov_b32 s17, 0x7f800001
	s_xor_b32 s13, exec_lo, -1
; %bb.15028:                            ;   in Loop: Header=BB6_12675 Depth=3
	s_or_b32 exec_lo, exec_lo, s31
	s_delay_alu instid0(SALU_CYCLE_1)
	s_and_b32 s13, s13, exec_lo
	s_or_saveexec_b32 s30, s30
	v_mov_b32_e32 v27, s17
	s_xor_b32 exec_lo, exec_lo, s30
	s_cbranch_execz .LBB6_14046
.LBB6_15029:                            ;   in Loop: Header=BB6_12675 Depth=3
	v_cmp_ne_u16_e32 vcc_lo, 0, v36
	v_mov_b32_e32 v27, 0
	s_and_not1_b32 s13, s13, exec_lo
	s_and_b32 s17, vcc_lo, exec_lo
	s_delay_alu instid0(SALU_CYCLE_1)
	s_or_b32 s13, s13, s17
	s_or_b32 exec_lo, exec_lo, s30
	s_and_saveexec_b32 s17, s13
	s_cbranch_execnz .LBB6_14047
	s_branch .LBB6_14048
.LBB6_15030:                            ;   in Loop: Header=BB6_12675 Depth=3
	s_mov_b32 s13, -1
	s_mov_b32 s31, exec_lo
                                        ; implicit-def: $sgpr17
	v_cmpx_eq_u16_e32 0x80, v36
; %bb.15031:                            ;   in Loop: Header=BB6_12675 Depth=3
	s_mov_b32 s17, 0x7f800001
	s_xor_b32 s13, exec_lo, -1
; %bb.15032:                            ;   in Loop: Header=BB6_12675 Depth=3
	s_or_b32 exec_lo, exec_lo, s31
	s_delay_alu instid0(SALU_CYCLE_1)
	s_and_b32 s13, s13, exec_lo
	s_or_saveexec_b32 s30, s30
	v_mov_b32_e32 v37, s17
	s_xor_b32 exec_lo, exec_lo, s30
	s_cbranch_execz .LBB6_14050
.LBB6_15033:                            ;   in Loop: Header=BB6_12675 Depth=3
	v_cmp_ne_u16_e32 vcc_lo, 0, v36
	v_mov_b32_e32 v37, 0
	s_and_not1_b32 s13, s13, exec_lo
	s_and_b32 s17, vcc_lo, exec_lo
	s_delay_alu instid0(SALU_CYCLE_1)
	s_or_b32 s13, s13, s17
	s_or_b32 exec_lo, exec_lo, s30
	s_and_saveexec_b32 s17, s13
	s_cbranch_execnz .LBB6_14051
	s_branch .LBB6_14052
.LBB6_15034:                            ;   in Loop: Header=BB6_12675 Depth=3
	s_mov_b32 s13, -1
	s_mov_b32 s31, exec_lo
                                        ; implicit-def: $sgpr17
	v_cmpx_eq_u16_e32 0x80, v37
; %bb.15035:                            ;   in Loop: Header=BB6_12675 Depth=3
	s_mov_b32 s17, 0x7f800001
	s_xor_b32 s13, exec_lo, -1
; %bb.15036:                            ;   in Loop: Header=BB6_12675 Depth=3
	s_or_b32 exec_lo, exec_lo, s31
	s_delay_alu instid0(SALU_CYCLE_1)
	s_and_b32 s13, s13, exec_lo
                                        ; implicit-def: $vgpr37
	s_or_saveexec_b32 s30, s30
	v_mov_b32_e32 v27, s17
	s_xor_b32 exec_lo, exec_lo, s30
	s_cbranch_execz .LBB6_14062
.LBB6_15037:                            ;   in Loop: Header=BB6_12675 Depth=3
	v_cmp_ne_u16_e32 vcc_lo, 0, v37
	v_mov_b32_e32 v27, 0
	s_and_not1_b32 s13, s13, exec_lo
	s_and_b32 s17, vcc_lo, exec_lo
	s_delay_alu instid0(SALU_CYCLE_1)
	s_or_b32 s13, s13, s17
	s_or_b32 exec_lo, exec_lo, s30
	v_lshl_or_b32 v26, v36, 16, v26
	s_and_saveexec_b32 s17, s13
	s_cbranch_execnz .LBB6_14063
	s_branch .LBB6_14064
.LBB6_15038:                            ;   in Loop: Header=BB6_12675 Depth=3
	s_mov_b32 s13, -1
	s_mov_b32 s31, exec_lo
                                        ; implicit-def: $sgpr17
	v_cmpx_eq_u16_e32 0x80, v38
; %bb.15039:                            ;   in Loop: Header=BB6_12675 Depth=3
	s_mov_b32 s17, 0x7f800001
	s_xor_b32 s13, exec_lo, -1
; %bb.15040:                            ;   in Loop: Header=BB6_12675 Depth=3
	s_or_b32 exec_lo, exec_lo, s31
	s_delay_alu instid0(SALU_CYCLE_1)
	s_and_b32 s13, s13, exec_lo
                                        ; implicit-def: $vgpr38
	s_or_saveexec_b32 s30, s30
	v_mov_b32_e32 v37, s17
	s_xor_b32 exec_lo, exec_lo, s30
	s_cbranch_execz .LBB6_14066
.LBB6_15041:                            ;   in Loop: Header=BB6_12675 Depth=3
	v_cmp_ne_u16_e32 vcc_lo, 0, v38
	v_mov_b32_e32 v37, 0
	s_and_not1_b32 s13, s13, exec_lo
	s_and_b32 s17, vcc_lo, exec_lo
	s_delay_alu instid0(SALU_CYCLE_1)
	s_or_b32 s13, s13, s17
	s_or_b32 exec_lo, exec_lo, s30
	s_and_saveexec_b32 s17, s13
	s_cbranch_execnz .LBB6_14067
	s_branch .LBB6_14068
.LBB6_15042:                            ;   in Loop: Header=BB6_12675 Depth=3
	s_mov_b32 s13, -1
	s_mov_b32 s31, exec_lo
                                        ; implicit-def: $sgpr17
	v_cmpx_eq_u16_e32 0x80, v36
; %bb.15043:                            ;   in Loop: Header=BB6_12675 Depth=3
	s_mov_b32 s17, 0x7f800001
	s_xor_b32 s13, exec_lo, -1
; %bb.15044:                            ;   in Loop: Header=BB6_12675 Depth=3
	s_or_b32 exec_lo, exec_lo, s31
	s_delay_alu instid0(SALU_CYCLE_1)
	s_and_b32 s13, s13, exec_lo
	s_or_saveexec_b32 s30, s30
	v_mov_b32_e32 v27, s17
	s_xor_b32 exec_lo, exec_lo, s30
	s_cbranch_execz .LBB6_14078
.LBB6_15045:                            ;   in Loop: Header=BB6_12675 Depth=3
	v_cmp_ne_u16_e32 vcc_lo, 0, v36
	v_mov_b32_e32 v27, 0
	s_and_not1_b32 s13, s13, exec_lo
	s_and_b32 s17, vcc_lo, exec_lo
	s_delay_alu instid0(SALU_CYCLE_1)
	s_or_b32 s13, s13, s17
	s_or_b32 exec_lo, exec_lo, s30
	s_and_saveexec_b32 s17, s13
	s_cbranch_execnz .LBB6_14079
	s_branch .LBB6_14080
.LBB6_15046:                            ;   in Loop: Header=BB6_12675 Depth=3
	s_mov_b32 s13, -1
	s_mov_b32 s31, exec_lo
                                        ; implicit-def: $sgpr17
	v_cmpx_eq_u16_e32 0x80, v26
; %bb.15047:                            ;   in Loop: Header=BB6_12675 Depth=3
	s_mov_b32 s17, 0x7f800001
	s_xor_b32 s13, exec_lo, -1
; %bb.15048:                            ;   in Loop: Header=BB6_12675 Depth=3
	s_or_b32 exec_lo, exec_lo, s31
	s_delay_alu instid0(SALU_CYCLE_1)
	s_and_b32 s13, s13, exec_lo
	s_or_saveexec_b32 s30, s30
	v_mov_b32_e32 v36, s17
	s_xor_b32 exec_lo, exec_lo, s30
	s_cbranch_execz .LBB6_14082
.LBB6_15049:                            ;   in Loop: Header=BB6_12675 Depth=3
	v_cmp_ne_u16_e32 vcc_lo, 0, v26
	v_mov_b32_e32 v36, 0
	s_and_not1_b32 s13, s13, exec_lo
	s_and_b32 s17, vcc_lo, exec_lo
	s_delay_alu instid0(SALU_CYCLE_1)
	s_or_b32 s13, s13, s17
	s_or_b32 exec_lo, exec_lo, s30
	s_and_saveexec_b32 s17, s13
	s_cbranch_execnz .LBB6_14083
	s_branch .LBB6_14084
.LBB6_15050:                            ;   in Loop: Header=BB6_12675 Depth=3
	s_mov_b32 s13, -1
	s_mov_b32 s31, exec_lo
                                        ; implicit-def: $sgpr17
	v_cmpx_eq_u16_e32 0x80, v27
; %bb.15051:                            ;   in Loop: Header=BB6_12675 Depth=3
	s_mov_b32 s17, 0x7f800001
	s_xor_b32 s13, exec_lo, -1
; %bb.15052:                            ;   in Loop: Header=BB6_12675 Depth=3
	s_or_b32 exec_lo, exec_lo, s31
	s_delay_alu instid0(SALU_CYCLE_1)
	s_and_b32 s13, s13, exec_lo
                                        ; implicit-def: $vgpr27
	s_or_saveexec_b32 s30, s30
	v_mov_b32_e32 v26, s17
	s_xor_b32 exec_lo, exec_lo, s30
	s_cbranch_execz .LBB6_14094
.LBB6_15053:                            ;   in Loop: Header=BB6_12675 Depth=3
	v_cmp_ne_u16_e32 vcc_lo, 0, v27
	v_mov_b32_e32 v26, 0
	s_and_not1_b32 s13, s13, exec_lo
	s_and_b32 s17, vcc_lo, exec_lo
	s_delay_alu instid0(SALU_CYCLE_1)
	s_or_b32 s13, s13, s17
	s_or_b32 exec_lo, exec_lo, s30
	s_and_saveexec_b32 s17, s13
	s_cbranch_execnz .LBB6_14095
	s_branch .LBB6_14096
.LBB6_15054:                            ;   in Loop: Header=BB6_12675 Depth=3
	s_mov_b32 s13, -1
	s_mov_b32 s31, exec_lo
                                        ; implicit-def: $sgpr17
	v_cmpx_eq_u16_e32 0x80, v36
; %bb.15055:                            ;   in Loop: Header=BB6_12675 Depth=3
	s_mov_b32 s17, 0x7f800001
	s_xor_b32 s13, exec_lo, -1
; %bb.15056:                            ;   in Loop: Header=BB6_12675 Depth=3
	s_or_b32 exec_lo, exec_lo, s31
	s_delay_alu instid0(SALU_CYCLE_1)
	s_and_b32 s13, s13, exec_lo
                                        ; implicit-def: $vgpr36
	s_or_saveexec_b32 s30, s30
	v_mov_b32_e32 v27, s17
	s_xor_b32 exec_lo, exec_lo, s30
	s_cbranch_execz .LBB6_14098
.LBB6_15057:                            ;   in Loop: Header=BB6_12675 Depth=3
	v_cmp_ne_u16_e32 vcc_lo, 0, v36
	v_mov_b32_e32 v27, 0
	s_and_not1_b32 s13, s13, exec_lo
	s_and_b32 s17, vcc_lo, exec_lo
	s_delay_alu instid0(SALU_CYCLE_1)
	s_or_b32 s13, s13, s17
	s_or_b32 exec_lo, exec_lo, s30
	s_and_saveexec_b32 s17, s13
	s_cbranch_execnz .LBB6_14099
	s_branch .LBB6_14100
.LBB6_15058:                            ;   in Loop: Header=BB6_12675 Depth=3
	s_mov_b32 s13, -1
	s_mov_b32 s31, exec_lo
                                        ; implicit-def: $sgpr17
	v_cmpx_eq_u16_e32 0x80, v27
; %bb.15059:                            ;   in Loop: Header=BB6_12675 Depth=3
	s_mov_b32 s17, 0x7f800001
	s_xor_b32 s13, exec_lo, -1
; %bb.15060:                            ;   in Loop: Header=BB6_12675 Depth=3
	s_or_b32 exec_lo, exec_lo, s31
	s_delay_alu instid0(SALU_CYCLE_1)
	s_and_b32 s13, s13, exec_lo
                                        ; implicit-def: $vgpr27
	s_or_saveexec_b32 s30, s30
	v_mov_b32_e32 v26, s17
	s_xor_b32 exec_lo, exec_lo, s30
	s_cbranch_execz .LBB6_14110
.LBB6_15061:                            ;   in Loop: Header=BB6_12675 Depth=3
	v_cmp_ne_u16_e32 vcc_lo, 0, v27
	v_mov_b32_e32 v26, 0
	s_and_not1_b32 s13, s13, exec_lo
	s_and_b32 s17, vcc_lo, exec_lo
	s_delay_alu instid0(SALU_CYCLE_1)
	s_or_b32 s13, s13, s17
	s_or_b32 exec_lo, exec_lo, s30
	s_and_saveexec_b32 s17, s13
	s_cbranch_execnz .LBB6_14111
	s_branch .LBB6_14112
.LBB6_15062:                            ;   in Loop: Header=BB6_12675 Depth=3
	s_mov_b32 s13, -1
	s_mov_b32 s31, exec_lo
                                        ; implicit-def: $sgpr17
	v_cmpx_eq_u16_e32 0x80, v27
; %bb.15063:                            ;   in Loop: Header=BB6_12675 Depth=3
	s_mov_b32 s17, 0x7f800001
	s_xor_b32 s13, exec_lo, -1
; %bb.15064:                            ;   in Loop: Header=BB6_12675 Depth=3
	s_or_b32 exec_lo, exec_lo, s31
	s_delay_alu instid0(SALU_CYCLE_1)
	s_and_b32 s13, s13, exec_lo
	s_or_saveexec_b32 s30, s30
	v_mov_b32_e32 v36, s17
	s_xor_b32 exec_lo, exec_lo, s30
	s_cbranch_execz .LBB6_14114
.LBB6_15065:                            ;   in Loop: Header=BB6_12675 Depth=3
	v_cmp_ne_u16_e32 vcc_lo, 0, v27
	v_mov_b32_e32 v36, 0
	s_and_not1_b32 s13, s13, exec_lo
	s_and_b32 s17, vcc_lo, exec_lo
	s_delay_alu instid0(SALU_CYCLE_1)
	s_or_b32 s13, s13, s17
	s_or_b32 exec_lo, exec_lo, s30
	s_and_saveexec_b32 s17, s13
	s_cbranch_execnz .LBB6_14115
	s_branch .LBB6_14116
.LBB6_15066:                            ;   in Loop: Header=BB6_12675 Depth=3
	s_mov_b32 s13, -1
	s_mov_b32 s31, exec_lo
                                        ; implicit-def: $sgpr17
	v_cmpx_eq_u16_e32 0x80, v27
; %bb.15067:                            ;   in Loop: Header=BB6_12675 Depth=3
	s_mov_b32 s17, 0x7f800001
	s_xor_b32 s13, exec_lo, -1
; %bb.15068:                            ;   in Loop: Header=BB6_12675 Depth=3
	s_or_b32 exec_lo, exec_lo, s31
	s_delay_alu instid0(SALU_CYCLE_1)
	s_and_b32 s13, s13, exec_lo
                                        ; implicit-def: $vgpr27
	s_or_saveexec_b32 s30, s30
	v_mov_b32_e32 v26, s17
	s_xor_b32 exec_lo, exec_lo, s30
	s_cbranch_execz .LBB6_14126
.LBB6_15069:                            ;   in Loop: Header=BB6_12675 Depth=3
	v_cmp_ne_u16_e32 vcc_lo, 0, v27
	v_mov_b32_e32 v26, 0
	s_and_not1_b32 s13, s13, exec_lo
	s_and_b32 s17, vcc_lo, exec_lo
	s_delay_alu instid0(SALU_CYCLE_1)
	s_or_b32 s13, s13, s17
	s_or_b32 exec_lo, exec_lo, s30
	s_and_saveexec_b32 s17, s13
	s_cbranch_execnz .LBB6_14127
	s_branch .LBB6_14128
.LBB6_15070:                            ;   in Loop: Header=BB6_12675 Depth=3
	s_mov_b32 s13, -1
	s_mov_b32 s31, exec_lo
                                        ; implicit-def: $sgpr17
	v_cmpx_eq_u16_e32 0x80, v37
; %bb.15071:                            ;   in Loop: Header=BB6_12675 Depth=3
	s_mov_b32 s17, 0x7f800001
	s_xor_b32 s13, exec_lo, -1
; %bb.15072:                            ;   in Loop: Header=BB6_12675 Depth=3
	s_or_b32 exec_lo, exec_lo, s31
	s_delay_alu instid0(SALU_CYCLE_1)
	s_and_b32 s13, s13, exec_lo
                                        ; implicit-def: $vgpr37
	s_or_saveexec_b32 s30, s30
	v_mov_b32_e32 v36, s17
	s_xor_b32 exec_lo, exec_lo, s30
	s_cbranch_execz .LBB6_14130
.LBB6_15073:                            ;   in Loop: Header=BB6_12675 Depth=3
	v_cmp_ne_u16_e32 vcc_lo, 0, v37
	v_mov_b32_e32 v36, 0
	s_and_not1_b32 s13, s13, exec_lo
	s_and_b32 s17, vcc_lo, exec_lo
	s_delay_alu instid0(SALU_CYCLE_1)
	s_or_b32 s13, s13, s17
	s_or_b32 exec_lo, exec_lo, s30
	s_and_saveexec_b32 s17, s13
	s_cbranch_execnz .LBB6_14131
	s_branch .LBB6_14132
.LBB6_15074:                            ;   in Loop: Header=BB6_12675 Depth=3
	s_mov_b32 s13, -1
	s_mov_b32 s31, exec_lo
                                        ; implicit-def: $sgpr17
	v_cmpx_eq_u16_e32 0x80, v27
; %bb.15075:                            ;   in Loop: Header=BB6_12675 Depth=3
	s_mov_b32 s17, 0x7f800001
	s_xor_b32 s13, exec_lo, -1
; %bb.15076:                            ;   in Loop: Header=BB6_12675 Depth=3
	s_or_b32 exec_lo, exec_lo, s31
	s_delay_alu instid0(SALU_CYCLE_1)
	s_and_b32 s13, s13, exec_lo
	s_or_saveexec_b32 s30, s30
	v_mov_b32_e32 v26, s17
	s_xor_b32 exec_lo, exec_lo, s30
	s_cbranch_execz .LBB6_14142
.LBB6_15077:                            ;   in Loop: Header=BB6_12675 Depth=3
	v_cmp_ne_u16_e32 vcc_lo, 0, v27
	v_mov_b32_e32 v26, 0
	s_and_not1_b32 s13, s13, exec_lo
	s_and_b32 s17, vcc_lo, exec_lo
	s_delay_alu instid0(SALU_CYCLE_1)
	s_or_b32 s13, s13, s17
	s_or_b32 exec_lo, exec_lo, s30
	s_and_saveexec_b32 s17, s13
	s_cbranch_execnz .LBB6_14143
	s_branch .LBB6_14144
.LBB6_15078:                            ;   in Loop: Header=BB6_12675 Depth=3
	s_mov_b32 s13, -1
	s_mov_b32 s31, exec_lo
                                        ; implicit-def: $sgpr17
	v_cmpx_eq_u16_e32 0x80, v27
; %bb.15079:                            ;   in Loop: Header=BB6_12675 Depth=3
	s_mov_b32 s17, 0x7f800001
	s_xor_b32 s13, exec_lo, -1
; %bb.15080:                            ;   in Loop: Header=BB6_12675 Depth=3
	s_or_b32 exec_lo, exec_lo, s31
	s_delay_alu instid0(SALU_CYCLE_1)
	s_and_b32 s13, s13, exec_lo
	s_or_saveexec_b32 s30, s30
	v_mov_b32_e32 v36, s17
	s_xor_b32 exec_lo, exec_lo, s30
	s_cbranch_execz .LBB6_14146
.LBB6_15081:                            ;   in Loop: Header=BB6_12675 Depth=3
	v_cmp_ne_u16_e32 vcc_lo, 0, v27
	v_mov_b32_e32 v36, 0
	s_and_not1_b32 s13, s13, exec_lo
	s_and_b32 s17, vcc_lo, exec_lo
	s_delay_alu instid0(SALU_CYCLE_1)
	s_or_b32 s13, s13, s17
	s_or_b32 exec_lo, exec_lo, s30
	s_and_saveexec_b32 s17, s13
	s_cbranch_execnz .LBB6_14147
	s_branch .LBB6_14148
.LBB6_15082:                            ;   in Loop: Header=BB6_12675 Depth=3
	s_mov_b32 s13, -1
	s_mov_b32 s31, exec_lo
                                        ; implicit-def: $sgpr17
	v_cmpx_eq_u16_e32 0x80, v36
; %bb.15083:                            ;   in Loop: Header=BB6_12675 Depth=3
	s_mov_b32 s17, 0x7f800001
	s_xor_b32 s13, exec_lo, -1
; %bb.15084:                            ;   in Loop: Header=BB6_12675 Depth=3
	s_or_b32 exec_lo, exec_lo, s31
	s_delay_alu instid0(SALU_CYCLE_1)
	s_and_b32 s13, s13, exec_lo
                                        ; implicit-def: $vgpr36
	s_or_saveexec_b32 s30, s30
	v_mov_b32_e32 v27, s17
	s_xor_b32 exec_lo, exec_lo, s30
	s_cbranch_execz .LBB6_14158
.LBB6_15085:                            ;   in Loop: Header=BB6_12675 Depth=3
	v_cmp_ne_u16_e32 vcc_lo, 0, v36
	v_mov_b32_e32 v27, 0
	s_and_not1_b32 s13, s13, exec_lo
	s_and_b32 s17, vcc_lo, exec_lo
	s_delay_alu instid0(SALU_CYCLE_1)
	s_or_b32 s13, s13, s17
	s_or_b32 exec_lo, exec_lo, s30
	s_and_saveexec_b32 s17, s13
	s_cbranch_execnz .LBB6_14159
	s_branch .LBB6_14160
.LBB6_15086:                            ;   in Loop: Header=BB6_12675 Depth=3
	s_mov_b32 s13, -1
	s_mov_b32 s31, exec_lo
                                        ; implicit-def: $sgpr17
	v_cmpx_eq_u16_e32 0x80, v37
; %bb.15087:                            ;   in Loop: Header=BB6_12675 Depth=3
	s_mov_b32 s17, 0x7f800001
	s_xor_b32 s13, exec_lo, -1
; %bb.15088:                            ;   in Loop: Header=BB6_12675 Depth=3
	s_or_b32 exec_lo, exec_lo, s31
	s_delay_alu instid0(SALU_CYCLE_1)
	s_and_b32 s13, s13, exec_lo
                                        ; implicit-def: $vgpr37
	s_or_saveexec_b32 s30, s30
	v_mov_b32_e32 v36, s17
	s_xor_b32 exec_lo, exec_lo, s30
	s_cbranch_execz .LBB6_14162
.LBB6_15089:                            ;   in Loop: Header=BB6_12675 Depth=3
	v_cmp_ne_u16_e32 vcc_lo, 0, v37
	v_mov_b32_e32 v36, 0
	s_and_not1_b32 s13, s13, exec_lo
	s_and_b32 s17, vcc_lo, exec_lo
	s_delay_alu instid0(SALU_CYCLE_1)
	s_or_b32 s13, s13, s17
	s_or_b32 exec_lo, exec_lo, s30
	s_and_saveexec_b32 s17, s13
	s_cbranch_execnz .LBB6_14163
	s_branch .LBB6_14164
.LBB6_15090:                            ;   in Loop: Header=BB6_12675 Depth=3
	s_mov_b32 s13, -1
	s_mov_b32 s31, exec_lo
                                        ; implicit-def: $sgpr17
	v_cmpx_eq_u16_e32 0x80, v36
; %bb.15091:                            ;   in Loop: Header=BB6_12675 Depth=3
	s_mov_b32 s17, 0x7f800001
	s_xor_b32 s13, exec_lo, -1
; %bb.15092:                            ;   in Loop: Header=BB6_12675 Depth=3
	s_or_b32 exec_lo, exec_lo, s31
	s_delay_alu instid0(SALU_CYCLE_1)
	s_and_b32 s13, s13, exec_lo
	s_or_saveexec_b32 s30, s30
	v_mov_b32_e32 v27, s17
	s_xor_b32 exec_lo, exec_lo, s30
	s_cbranch_execz .LBB6_14174
.LBB6_15093:                            ;   in Loop: Header=BB6_12675 Depth=3
	v_cmp_ne_u16_e32 vcc_lo, 0, v36
	v_mov_b32_e32 v27, 0
	s_and_not1_b32 s13, s13, exec_lo
	s_and_b32 s17, vcc_lo, exec_lo
	s_delay_alu instid0(SALU_CYCLE_1)
	s_or_b32 s13, s13, s17
	s_or_b32 exec_lo, exec_lo, s30
	s_and_saveexec_b32 s17, s13
	s_cbranch_execnz .LBB6_14175
	s_branch .LBB6_14176
.LBB6_15094:                            ;   in Loop: Header=BB6_12675 Depth=3
	s_mov_b32 s13, -1
	s_mov_b32 s31, exec_lo
                                        ; implicit-def: $sgpr17
	v_cmpx_eq_u16_e32 0x80, v36
; %bb.15095:                            ;   in Loop: Header=BB6_12675 Depth=3
	s_mov_b32 s17, 0x7f800001
	s_xor_b32 s13, exec_lo, -1
; %bb.15096:                            ;   in Loop: Header=BB6_12675 Depth=3
	s_or_b32 exec_lo, exec_lo, s31
	s_delay_alu instid0(SALU_CYCLE_1)
	s_and_b32 s13, s13, exec_lo
	s_or_saveexec_b32 s30, s30
	v_mov_b32_e32 v37, s17
	s_xor_b32 exec_lo, exec_lo, s30
	s_cbranch_execz .LBB6_14178
.LBB6_15097:                            ;   in Loop: Header=BB6_12675 Depth=3
	v_cmp_ne_u16_e32 vcc_lo, 0, v36
	v_mov_b32_e32 v37, 0
	s_and_not1_b32 s13, s13, exec_lo
	s_and_b32 s17, vcc_lo, exec_lo
	s_delay_alu instid0(SALU_CYCLE_1)
	s_or_b32 s13, s13, s17
	s_or_b32 exec_lo, exec_lo, s30
	s_and_saveexec_b32 s17, s13
	s_cbranch_execnz .LBB6_14179
	s_branch .LBB6_14180
.LBB6_15098:                            ;   in Loop: Header=BB6_12675 Depth=3
	s_mov_b32 s13, -1
	s_mov_b32 s31, exec_lo
                                        ; implicit-def: $sgpr17
	v_cmpx_eq_u16_e32 0x80, v37
; %bb.15099:                            ;   in Loop: Header=BB6_12675 Depth=3
	s_mov_b32 s17, 0x7f800001
	s_xor_b32 s13, exec_lo, -1
; %bb.15100:                            ;   in Loop: Header=BB6_12675 Depth=3
	s_or_b32 exec_lo, exec_lo, s31
	s_delay_alu instid0(SALU_CYCLE_1)
	s_and_b32 s13, s13, exec_lo
                                        ; implicit-def: $vgpr37
	s_or_saveexec_b32 s30, s30
	v_mov_b32_e32 v27, s17
	s_xor_b32 exec_lo, exec_lo, s30
	s_cbranch_execz .LBB6_14190
.LBB6_15101:                            ;   in Loop: Header=BB6_12675 Depth=3
	v_cmp_ne_u16_e32 vcc_lo, 0, v37
	v_mov_b32_e32 v27, 0
	s_and_not1_b32 s13, s13, exec_lo
	s_and_b32 s17, vcc_lo, exec_lo
	s_delay_alu instid0(SALU_CYCLE_1)
	s_or_b32 s13, s13, s17
	s_or_b32 exec_lo, exec_lo, s30
	v_lshl_or_b32 v26, v36, 16, v26
	s_and_saveexec_b32 s17, s13
	s_cbranch_execnz .LBB6_14191
	s_branch .LBB6_14192
.LBB6_15102:                            ;   in Loop: Header=BB6_12675 Depth=3
	s_mov_b32 s13, -1
	s_mov_b32 s31, exec_lo
                                        ; implicit-def: $sgpr17
	v_cmpx_eq_u16_e32 0x80, v38
; %bb.15103:                            ;   in Loop: Header=BB6_12675 Depth=3
	s_mov_b32 s17, 0x7f800001
	s_xor_b32 s13, exec_lo, -1
; %bb.15104:                            ;   in Loop: Header=BB6_12675 Depth=3
	s_or_b32 exec_lo, exec_lo, s31
	s_delay_alu instid0(SALU_CYCLE_1)
	s_and_b32 s13, s13, exec_lo
                                        ; implicit-def: $vgpr38
	s_or_saveexec_b32 s30, s30
	v_mov_b32_e32 v37, s17
	s_xor_b32 exec_lo, exec_lo, s30
	s_cbranch_execz .LBB6_14194
.LBB6_15105:                            ;   in Loop: Header=BB6_12675 Depth=3
	v_cmp_ne_u16_e32 vcc_lo, 0, v38
	v_mov_b32_e32 v37, 0
	s_and_not1_b32 s13, s13, exec_lo
	s_and_b32 s17, vcc_lo, exec_lo
	s_delay_alu instid0(SALU_CYCLE_1)
	s_or_b32 s13, s13, s17
	s_or_b32 exec_lo, exec_lo, s30
	s_and_saveexec_b32 s17, s13
	s_cbranch_execnz .LBB6_14195
	s_branch .LBB6_14196
.LBB6_15106:                            ;   in Loop: Header=BB6_12675 Depth=3
	s_mov_b32 s13, -1
	s_mov_b32 s31, exec_lo
                                        ; implicit-def: $sgpr17
	v_cmpx_eq_u16_e32 0x80, v36
; %bb.15107:                            ;   in Loop: Header=BB6_12675 Depth=3
	s_mov_b32 s17, 0x7f800001
	s_xor_b32 s13, exec_lo, -1
; %bb.15108:                            ;   in Loop: Header=BB6_12675 Depth=3
	s_or_b32 exec_lo, exec_lo, s31
	s_delay_alu instid0(SALU_CYCLE_1)
	s_and_b32 s13, s13, exec_lo
	s_or_saveexec_b32 s30, s30
	v_mov_b32_e32 v27, s17
	s_xor_b32 exec_lo, exec_lo, s30
	s_cbranch_execz .LBB6_14206
.LBB6_15109:                            ;   in Loop: Header=BB6_12675 Depth=3
	v_cmp_ne_u16_e32 vcc_lo, 0, v36
	v_mov_b32_e32 v27, 0
	s_and_not1_b32 s13, s13, exec_lo
	s_and_b32 s17, vcc_lo, exec_lo
	s_delay_alu instid0(SALU_CYCLE_1)
	s_or_b32 s13, s13, s17
	s_or_b32 exec_lo, exec_lo, s30
	s_and_saveexec_b32 s17, s13
	s_cbranch_execnz .LBB6_14207
	s_branch .LBB6_14208
.LBB6_15110:                            ;   in Loop: Header=BB6_12675 Depth=3
	s_mov_b32 s13, -1
	s_mov_b32 s31, exec_lo
                                        ; implicit-def: $sgpr17
	v_cmpx_eq_u16_e32 0x80, v26
; %bb.15111:                            ;   in Loop: Header=BB6_12675 Depth=3
	s_mov_b32 s17, 0x7f800001
	s_xor_b32 s13, exec_lo, -1
; %bb.15112:                            ;   in Loop: Header=BB6_12675 Depth=3
	s_or_b32 exec_lo, exec_lo, s31
	s_delay_alu instid0(SALU_CYCLE_1)
	s_and_b32 s13, s13, exec_lo
	s_or_saveexec_b32 s30, s30
	v_mov_b32_e32 v36, s17
	s_xor_b32 exec_lo, exec_lo, s30
	s_cbranch_execz .LBB6_14210
.LBB6_15113:                            ;   in Loop: Header=BB6_12675 Depth=3
	v_cmp_ne_u16_e32 vcc_lo, 0, v26
	v_mov_b32_e32 v36, 0
	s_and_not1_b32 s13, s13, exec_lo
	s_and_b32 s17, vcc_lo, exec_lo
	s_delay_alu instid0(SALU_CYCLE_1)
	s_or_b32 s13, s13, s17
	s_or_b32 exec_lo, exec_lo, s30
	s_and_saveexec_b32 s17, s13
	s_cbranch_execnz .LBB6_14211
	s_branch .LBB6_14212
.LBB6_15114:                            ;   in Loop: Header=BB6_12675 Depth=3
	s_mov_b32 s13, -1
	s_mov_b32 s31, exec_lo
                                        ; implicit-def: $sgpr17
	v_cmpx_eq_u16_e32 0x80, v27
; %bb.15115:                            ;   in Loop: Header=BB6_12675 Depth=3
	s_mov_b32 s17, 0x7f800001
	s_xor_b32 s13, exec_lo, -1
; %bb.15116:                            ;   in Loop: Header=BB6_12675 Depth=3
	s_or_b32 exec_lo, exec_lo, s31
	s_delay_alu instid0(SALU_CYCLE_1)
	s_and_b32 s13, s13, exec_lo
                                        ; implicit-def: $vgpr27
	s_or_saveexec_b32 s30, s30
	v_mov_b32_e32 v26, s17
	s_xor_b32 exec_lo, exec_lo, s30
	s_cbranch_execz .LBB6_14222
.LBB6_15117:                            ;   in Loop: Header=BB6_12675 Depth=3
	v_cmp_ne_u16_e32 vcc_lo, 0, v27
	v_mov_b32_e32 v26, 0
	s_and_not1_b32 s13, s13, exec_lo
	s_and_b32 s17, vcc_lo, exec_lo
	s_delay_alu instid0(SALU_CYCLE_1)
	s_or_b32 s13, s13, s17
	s_or_b32 exec_lo, exec_lo, s30
	s_and_saveexec_b32 s17, s13
	s_cbranch_execnz .LBB6_14223
	s_branch .LBB6_14224
.LBB6_15118:                            ;   in Loop: Header=BB6_12675 Depth=3
	s_mov_b32 s13, -1
	s_mov_b32 s31, exec_lo
                                        ; implicit-def: $sgpr17
	v_cmpx_eq_u16_e32 0x80, v36
; %bb.15119:                            ;   in Loop: Header=BB6_12675 Depth=3
	s_mov_b32 s17, 0x7f800001
	s_xor_b32 s13, exec_lo, -1
; %bb.15120:                            ;   in Loop: Header=BB6_12675 Depth=3
	s_or_b32 exec_lo, exec_lo, s31
	s_delay_alu instid0(SALU_CYCLE_1)
	s_and_b32 s13, s13, exec_lo
                                        ; implicit-def: $vgpr36
	s_or_saveexec_b32 s30, s30
	v_mov_b32_e32 v27, s17
	s_xor_b32 exec_lo, exec_lo, s30
	s_cbranch_execz .LBB6_14226
.LBB6_15121:                            ;   in Loop: Header=BB6_12675 Depth=3
	v_cmp_ne_u16_e32 vcc_lo, 0, v36
	v_mov_b32_e32 v27, 0
	s_and_not1_b32 s13, s13, exec_lo
	s_and_b32 s17, vcc_lo, exec_lo
	s_delay_alu instid0(SALU_CYCLE_1)
	s_or_b32 s13, s13, s17
	s_or_b32 exec_lo, exec_lo, s30
	s_and_saveexec_b32 s17, s13
	s_cbranch_execnz .LBB6_14227
	s_branch .LBB6_14228
.LBB6_15122:                            ;   in Loop: Header=BB6_12675 Depth=3
	s_mov_b32 s13, -1
	s_mov_b32 s31, exec_lo
                                        ; implicit-def: $sgpr17
	v_cmpx_eq_u16_e32 0x80, v27
; %bb.15123:                            ;   in Loop: Header=BB6_12675 Depth=3
	s_mov_b32 s17, 0x7f800001
	s_xor_b32 s13, exec_lo, -1
; %bb.15124:                            ;   in Loop: Header=BB6_12675 Depth=3
	s_or_b32 exec_lo, exec_lo, s31
	s_delay_alu instid0(SALU_CYCLE_1)
	s_and_b32 s13, s13, exec_lo
                                        ; implicit-def: $vgpr27
	s_or_saveexec_b32 s30, s30
	v_mov_b32_e32 v26, s17
	s_xor_b32 exec_lo, exec_lo, s30
	s_cbranch_execz .LBB6_14238
.LBB6_15125:                            ;   in Loop: Header=BB6_12675 Depth=3
	v_cmp_ne_u16_e32 vcc_lo, 0, v27
	v_mov_b32_e32 v26, 0
	s_and_not1_b32 s13, s13, exec_lo
	s_and_b32 s17, vcc_lo, exec_lo
	s_delay_alu instid0(SALU_CYCLE_1)
	s_or_b32 s13, s13, s17
	s_or_b32 exec_lo, exec_lo, s30
	s_and_saveexec_b32 s17, s13
	s_cbranch_execnz .LBB6_14239
	s_branch .LBB6_14240
.LBB6_15126:                            ;   in Loop: Header=BB6_12675 Depth=3
	s_mov_b32 s13, -1
	s_mov_b32 s31, exec_lo
                                        ; implicit-def: $sgpr17
	v_cmpx_eq_u16_e32 0x80, v27
; %bb.15127:                            ;   in Loop: Header=BB6_12675 Depth=3
	s_mov_b32 s17, 0x7f800001
	s_xor_b32 s13, exec_lo, -1
; %bb.15128:                            ;   in Loop: Header=BB6_12675 Depth=3
	s_or_b32 exec_lo, exec_lo, s31
	s_delay_alu instid0(SALU_CYCLE_1)
	s_and_b32 s13, s13, exec_lo
	s_or_saveexec_b32 s30, s30
	v_mov_b32_e32 v36, s17
	s_xor_b32 exec_lo, exec_lo, s30
	s_cbranch_execz .LBB6_14242
.LBB6_15129:                            ;   in Loop: Header=BB6_12675 Depth=3
	v_cmp_ne_u16_e32 vcc_lo, 0, v27
	v_mov_b32_e32 v36, 0
	s_and_not1_b32 s13, s13, exec_lo
	s_and_b32 s17, vcc_lo, exec_lo
	s_delay_alu instid0(SALU_CYCLE_1)
	s_or_b32 s13, s13, s17
	s_or_b32 exec_lo, exec_lo, s30
	s_and_saveexec_b32 s17, s13
	s_cbranch_execnz .LBB6_14243
	s_branch .LBB6_14244
.LBB6_15130:                            ;   in Loop: Header=BB6_12675 Depth=3
	s_mov_b32 s13, -1
	s_mov_b32 s31, exec_lo
                                        ; implicit-def: $sgpr17
	v_cmpx_eq_u16_e32 0x80, v27
; %bb.15131:                            ;   in Loop: Header=BB6_12675 Depth=3
	s_mov_b32 s17, 0x7f800001
	s_xor_b32 s13, exec_lo, -1
; %bb.15132:                            ;   in Loop: Header=BB6_12675 Depth=3
	s_or_b32 exec_lo, exec_lo, s31
	s_delay_alu instid0(SALU_CYCLE_1)
	s_and_b32 s13, s13, exec_lo
                                        ; implicit-def: $vgpr27
	s_or_saveexec_b32 s30, s30
	v_mov_b32_e32 v26, s17
	s_xor_b32 exec_lo, exec_lo, s30
	s_cbranch_execz .LBB6_14254
.LBB6_15133:                            ;   in Loop: Header=BB6_12675 Depth=3
	v_cmp_ne_u16_e32 vcc_lo, 0, v27
	v_mov_b32_e32 v26, 0
	s_and_not1_b32 s13, s13, exec_lo
	s_and_b32 s17, vcc_lo, exec_lo
	s_delay_alu instid0(SALU_CYCLE_1)
	s_or_b32 s13, s13, s17
	s_or_b32 exec_lo, exec_lo, s30
	s_and_saveexec_b32 s17, s13
	s_cbranch_execnz .LBB6_14255
	s_branch .LBB6_14256
.LBB6_15134:                            ;   in Loop: Header=BB6_12675 Depth=3
	s_mov_b32 s13, -1
	s_mov_b32 s31, exec_lo
                                        ; implicit-def: $sgpr17
	v_cmpx_eq_u16_e32 0x80, v37
; %bb.15135:                            ;   in Loop: Header=BB6_12675 Depth=3
	s_mov_b32 s17, 0x7f800001
	s_xor_b32 s13, exec_lo, -1
; %bb.15136:                            ;   in Loop: Header=BB6_12675 Depth=3
	s_or_b32 exec_lo, exec_lo, s31
	s_delay_alu instid0(SALU_CYCLE_1)
	s_and_b32 s13, s13, exec_lo
                                        ; implicit-def: $vgpr37
	s_or_saveexec_b32 s30, s30
	v_mov_b32_e32 v36, s17
	s_xor_b32 exec_lo, exec_lo, s30
	s_cbranch_execz .LBB6_14258
.LBB6_15137:                            ;   in Loop: Header=BB6_12675 Depth=3
	v_cmp_ne_u16_e32 vcc_lo, 0, v37
	v_mov_b32_e32 v36, 0
	s_and_not1_b32 s13, s13, exec_lo
	s_and_b32 s17, vcc_lo, exec_lo
	s_delay_alu instid0(SALU_CYCLE_1)
	s_or_b32 s13, s13, s17
	s_or_b32 exec_lo, exec_lo, s30
	s_and_saveexec_b32 s17, s13
	s_cbranch_execnz .LBB6_14259
	s_branch .LBB6_14260
.LBB6_15138:                            ;   in Loop: Header=BB6_12675 Depth=3
	s_mov_b32 s13, -1
	s_mov_b32 s31, exec_lo
                                        ; implicit-def: $sgpr17
	v_cmpx_eq_u16_e32 0x80, v27
; %bb.15139:                            ;   in Loop: Header=BB6_12675 Depth=3
	s_mov_b32 s17, 0x7f800001
	s_xor_b32 s13, exec_lo, -1
; %bb.15140:                            ;   in Loop: Header=BB6_12675 Depth=3
	s_or_b32 exec_lo, exec_lo, s31
	s_delay_alu instid0(SALU_CYCLE_1)
	s_and_b32 s13, s13, exec_lo
	s_or_saveexec_b32 s30, s30
	v_mov_b32_e32 v26, s17
	s_xor_b32 exec_lo, exec_lo, s30
	s_cbranch_execz .LBB6_14270
.LBB6_15141:                            ;   in Loop: Header=BB6_12675 Depth=3
	v_cmp_ne_u16_e32 vcc_lo, 0, v27
	v_mov_b32_e32 v26, 0
	s_and_not1_b32 s13, s13, exec_lo
	s_and_b32 s17, vcc_lo, exec_lo
	s_delay_alu instid0(SALU_CYCLE_1)
	s_or_b32 s13, s13, s17
	s_or_b32 exec_lo, exec_lo, s30
	s_and_saveexec_b32 s17, s13
	s_cbranch_execnz .LBB6_14271
	s_branch .LBB6_14272
.LBB6_15142:                            ;   in Loop: Header=BB6_12675 Depth=3
	s_mov_b32 s13, -1
	s_mov_b32 s31, exec_lo
                                        ; implicit-def: $sgpr17
	v_cmpx_eq_u16_e32 0x80, v27
; %bb.15143:                            ;   in Loop: Header=BB6_12675 Depth=3
	s_mov_b32 s17, 0x7f800001
	s_xor_b32 s13, exec_lo, -1
; %bb.15144:                            ;   in Loop: Header=BB6_12675 Depth=3
	s_or_b32 exec_lo, exec_lo, s31
	s_delay_alu instid0(SALU_CYCLE_1)
	s_and_b32 s13, s13, exec_lo
	s_or_saveexec_b32 s30, s30
	v_mov_b32_e32 v36, s17
	s_xor_b32 exec_lo, exec_lo, s30
	s_cbranch_execz .LBB6_14274
.LBB6_15145:                            ;   in Loop: Header=BB6_12675 Depth=3
	v_cmp_ne_u16_e32 vcc_lo, 0, v27
	v_mov_b32_e32 v36, 0
	s_and_not1_b32 s13, s13, exec_lo
	s_and_b32 s17, vcc_lo, exec_lo
	s_delay_alu instid0(SALU_CYCLE_1)
	s_or_b32 s13, s13, s17
	s_or_b32 exec_lo, exec_lo, s30
	s_and_saveexec_b32 s17, s13
	s_cbranch_execnz .LBB6_14275
	s_branch .LBB6_14276
.LBB6_15146:                            ;   in Loop: Header=BB6_12675 Depth=3
	s_mov_b32 s13, -1
	s_mov_b32 s31, exec_lo
                                        ; implicit-def: $sgpr17
	v_cmpx_eq_u16_e32 0x80, v36
; %bb.15147:                            ;   in Loop: Header=BB6_12675 Depth=3
	s_mov_b32 s17, 0x7f800001
	s_xor_b32 s13, exec_lo, -1
; %bb.15148:                            ;   in Loop: Header=BB6_12675 Depth=3
	s_or_b32 exec_lo, exec_lo, s31
	s_delay_alu instid0(SALU_CYCLE_1)
	s_and_b32 s13, s13, exec_lo
                                        ; implicit-def: $vgpr36
	s_or_saveexec_b32 s30, s30
	v_mov_b32_e32 v27, s17
	s_xor_b32 exec_lo, exec_lo, s30
	s_cbranch_execz .LBB6_14286
.LBB6_15149:                            ;   in Loop: Header=BB6_12675 Depth=3
	v_cmp_ne_u16_e32 vcc_lo, 0, v36
	v_mov_b32_e32 v27, 0
	s_and_not1_b32 s13, s13, exec_lo
	s_and_b32 s17, vcc_lo, exec_lo
	s_delay_alu instid0(SALU_CYCLE_1)
	s_or_b32 s13, s13, s17
	s_or_b32 exec_lo, exec_lo, s30
	s_and_saveexec_b32 s17, s13
	s_cbranch_execnz .LBB6_14287
	s_branch .LBB6_14288
.LBB6_15150:                            ;   in Loop: Header=BB6_12675 Depth=3
	s_mov_b32 s13, -1
	s_mov_b32 s31, exec_lo
                                        ; implicit-def: $sgpr17
	v_cmpx_eq_u16_e32 0x80, v37
; %bb.15151:                            ;   in Loop: Header=BB6_12675 Depth=3
	s_mov_b32 s17, 0x7f800001
	s_xor_b32 s13, exec_lo, -1
; %bb.15152:                            ;   in Loop: Header=BB6_12675 Depth=3
	s_or_b32 exec_lo, exec_lo, s31
	s_delay_alu instid0(SALU_CYCLE_1)
	s_and_b32 s13, s13, exec_lo
                                        ; implicit-def: $vgpr37
	s_or_saveexec_b32 s30, s30
	v_mov_b32_e32 v36, s17
	s_xor_b32 exec_lo, exec_lo, s30
	s_cbranch_execz .LBB6_14290
.LBB6_15153:                            ;   in Loop: Header=BB6_12675 Depth=3
	v_cmp_ne_u16_e32 vcc_lo, 0, v37
	v_mov_b32_e32 v36, 0
	s_and_not1_b32 s13, s13, exec_lo
	s_and_b32 s17, vcc_lo, exec_lo
	s_delay_alu instid0(SALU_CYCLE_1)
	s_or_b32 s13, s13, s17
	s_or_b32 exec_lo, exec_lo, s30
	s_and_saveexec_b32 s17, s13
	s_cbranch_execnz .LBB6_14291
	s_branch .LBB6_14292
.LBB6_15154:                            ;   in Loop: Header=BB6_12675 Depth=3
	s_mov_b32 s13, -1
	s_mov_b32 s31, exec_lo
                                        ; implicit-def: $sgpr17
	v_cmpx_eq_u16_e32 0x80, v36
; %bb.15155:                            ;   in Loop: Header=BB6_12675 Depth=3
	s_mov_b32 s17, 0x7f800001
	s_xor_b32 s13, exec_lo, -1
; %bb.15156:                            ;   in Loop: Header=BB6_12675 Depth=3
	s_or_b32 exec_lo, exec_lo, s31
	s_delay_alu instid0(SALU_CYCLE_1)
	s_and_b32 s13, s13, exec_lo
	s_or_saveexec_b32 s30, s30
	v_mov_b32_e32 v27, s17
	s_xor_b32 exec_lo, exec_lo, s30
	s_cbranch_execz .LBB6_14302
.LBB6_15157:                            ;   in Loop: Header=BB6_12675 Depth=3
	v_cmp_ne_u16_e32 vcc_lo, 0, v36
	v_mov_b32_e32 v27, 0
	s_and_not1_b32 s13, s13, exec_lo
	s_and_b32 s17, vcc_lo, exec_lo
	s_delay_alu instid0(SALU_CYCLE_1)
	s_or_b32 s13, s13, s17
	s_or_b32 exec_lo, exec_lo, s30
	s_and_saveexec_b32 s17, s13
	s_cbranch_execnz .LBB6_14303
	s_branch .LBB6_14304
.LBB6_15158:                            ;   in Loop: Header=BB6_12675 Depth=3
	s_mov_b32 s13, -1
	s_mov_b32 s31, exec_lo
                                        ; implicit-def: $sgpr17
	v_cmpx_eq_u16_e32 0x80, v36
; %bb.15159:                            ;   in Loop: Header=BB6_12675 Depth=3
	s_mov_b32 s17, 0x7f800001
	s_xor_b32 s13, exec_lo, -1
; %bb.15160:                            ;   in Loop: Header=BB6_12675 Depth=3
	s_or_b32 exec_lo, exec_lo, s31
	s_delay_alu instid0(SALU_CYCLE_1)
	s_and_b32 s13, s13, exec_lo
	s_or_saveexec_b32 s30, s30
	v_mov_b32_e32 v37, s17
	s_xor_b32 exec_lo, exec_lo, s30
	s_cbranch_execz .LBB6_14306
.LBB6_15161:                            ;   in Loop: Header=BB6_12675 Depth=3
	v_cmp_ne_u16_e32 vcc_lo, 0, v36
	v_mov_b32_e32 v37, 0
	s_and_not1_b32 s13, s13, exec_lo
	s_and_b32 s17, vcc_lo, exec_lo
	s_delay_alu instid0(SALU_CYCLE_1)
	s_or_b32 s13, s13, s17
	s_or_b32 exec_lo, exec_lo, s30
	s_and_saveexec_b32 s17, s13
	s_cbranch_execnz .LBB6_14307
	s_branch .LBB6_14308
.LBB6_15162:                            ;   in Loop: Header=BB6_12675 Depth=3
	s_mov_b32 s13, -1
	s_mov_b32 s31, exec_lo
                                        ; implicit-def: $sgpr17
	v_cmpx_eq_u16_e32 0x80, v37
; %bb.15163:                            ;   in Loop: Header=BB6_12675 Depth=3
	s_mov_b32 s17, 0x7f800001
	s_xor_b32 s13, exec_lo, -1
; %bb.15164:                            ;   in Loop: Header=BB6_12675 Depth=3
	s_or_b32 exec_lo, exec_lo, s31
	s_delay_alu instid0(SALU_CYCLE_1)
	s_and_b32 s13, s13, exec_lo
                                        ; implicit-def: $vgpr37
	s_or_saveexec_b32 s30, s30
	v_mov_b32_e32 v27, s17
	s_xor_b32 exec_lo, exec_lo, s30
	s_cbranch_execz .LBB6_14318
.LBB6_15165:                            ;   in Loop: Header=BB6_12675 Depth=3
	v_cmp_ne_u16_e32 vcc_lo, 0, v37
	v_mov_b32_e32 v27, 0
	s_and_not1_b32 s13, s13, exec_lo
	s_and_b32 s17, vcc_lo, exec_lo
	s_delay_alu instid0(SALU_CYCLE_1)
	s_or_b32 s13, s13, s17
	s_or_b32 exec_lo, exec_lo, s30
	v_lshl_or_b32 v26, v36, 16, v26
	s_and_saveexec_b32 s17, s13
	s_cbranch_execnz .LBB6_14319
	s_branch .LBB6_14320
.LBB6_15166:                            ;   in Loop: Header=BB6_12675 Depth=3
	s_mov_b32 s13, -1
	s_mov_b32 s31, exec_lo
                                        ; implicit-def: $sgpr17
	v_cmpx_eq_u16_e32 0x80, v38
; %bb.15167:                            ;   in Loop: Header=BB6_12675 Depth=3
	s_mov_b32 s17, 0x7f800001
	s_xor_b32 s13, exec_lo, -1
; %bb.15168:                            ;   in Loop: Header=BB6_12675 Depth=3
	s_or_b32 exec_lo, exec_lo, s31
	s_delay_alu instid0(SALU_CYCLE_1)
	s_and_b32 s13, s13, exec_lo
                                        ; implicit-def: $vgpr38
	s_or_saveexec_b32 s30, s30
	v_mov_b32_e32 v37, s17
	s_xor_b32 exec_lo, exec_lo, s30
	s_cbranch_execz .LBB6_14322
.LBB6_15169:                            ;   in Loop: Header=BB6_12675 Depth=3
	v_cmp_ne_u16_e32 vcc_lo, 0, v38
	v_mov_b32_e32 v37, 0
	s_and_not1_b32 s13, s13, exec_lo
	s_and_b32 s17, vcc_lo, exec_lo
	s_delay_alu instid0(SALU_CYCLE_1)
	s_or_b32 s13, s13, s17
	s_or_b32 exec_lo, exec_lo, s30
	s_and_saveexec_b32 s17, s13
	s_cbranch_execnz .LBB6_14323
	s_branch .LBB6_14324
.LBB6_15170:                            ;   in Loop: Header=BB6_12675 Depth=3
	s_mov_b32 s13, -1
	s_mov_b32 s31, exec_lo
                                        ; implicit-def: $sgpr17
	v_cmpx_eq_u16_e32 0x80, v36
; %bb.15171:                            ;   in Loop: Header=BB6_12675 Depth=3
	s_mov_b32 s17, 0x7f800001
	s_xor_b32 s13, exec_lo, -1
; %bb.15172:                            ;   in Loop: Header=BB6_12675 Depth=3
	s_or_b32 exec_lo, exec_lo, s31
	s_delay_alu instid0(SALU_CYCLE_1)
	s_and_b32 s13, s13, exec_lo
	s_or_saveexec_b32 s30, s30
	v_mov_b32_e32 v27, s17
	s_xor_b32 exec_lo, exec_lo, s30
	s_cbranch_execz .LBB6_14334
.LBB6_15173:                            ;   in Loop: Header=BB6_12675 Depth=3
	v_cmp_ne_u16_e32 vcc_lo, 0, v36
	v_mov_b32_e32 v27, 0
	s_and_not1_b32 s13, s13, exec_lo
	s_and_b32 s17, vcc_lo, exec_lo
	s_delay_alu instid0(SALU_CYCLE_1)
	s_or_b32 s13, s13, s17
	s_or_b32 exec_lo, exec_lo, s30
	s_and_saveexec_b32 s17, s13
	s_cbranch_execnz .LBB6_14335
	s_branch .LBB6_14336
.LBB6_15174:                            ;   in Loop: Header=BB6_12675 Depth=3
	s_mov_b32 s13, -1
	s_mov_b32 s31, exec_lo
                                        ; implicit-def: $sgpr17
	v_cmpx_eq_u16_e32 0x80, v26
; %bb.15175:                            ;   in Loop: Header=BB6_12675 Depth=3
	s_mov_b32 s17, 0x7f800001
	s_xor_b32 s13, exec_lo, -1
; %bb.15176:                            ;   in Loop: Header=BB6_12675 Depth=3
	s_or_b32 exec_lo, exec_lo, s31
	s_delay_alu instid0(SALU_CYCLE_1)
	s_and_b32 s13, s13, exec_lo
	s_or_saveexec_b32 s30, s30
	v_mov_b32_e32 v36, s17
	s_xor_b32 exec_lo, exec_lo, s30
	s_cbranch_execz .LBB6_14338
.LBB6_15177:                            ;   in Loop: Header=BB6_12675 Depth=3
	v_cmp_ne_u16_e32 vcc_lo, 0, v26
	v_mov_b32_e32 v36, 0
	s_and_not1_b32 s13, s13, exec_lo
	s_and_b32 s17, vcc_lo, exec_lo
	s_delay_alu instid0(SALU_CYCLE_1)
	s_or_b32 s13, s13, s17
	s_or_b32 exec_lo, exec_lo, s30
	s_and_saveexec_b32 s17, s13
	s_cbranch_execnz .LBB6_14339
	s_branch .LBB6_14340
.LBB6_15178:                            ;   in Loop: Header=BB6_12675 Depth=3
	s_mov_b32 s13, -1
	s_mov_b32 s31, exec_lo
                                        ; implicit-def: $sgpr17
	v_cmpx_eq_u16_e32 0x80, v27
; %bb.15179:                            ;   in Loop: Header=BB6_12675 Depth=3
	s_mov_b32 s17, 0x7f800001
	s_xor_b32 s13, exec_lo, -1
; %bb.15180:                            ;   in Loop: Header=BB6_12675 Depth=3
	s_or_b32 exec_lo, exec_lo, s31
	s_delay_alu instid0(SALU_CYCLE_1)
	s_and_b32 s13, s13, exec_lo
                                        ; implicit-def: $vgpr27
	s_or_saveexec_b32 s30, s30
	v_mov_b32_e32 v26, s17
	s_xor_b32 exec_lo, exec_lo, s30
	s_cbranch_execz .LBB6_14350
.LBB6_15181:                            ;   in Loop: Header=BB6_12675 Depth=3
	v_cmp_ne_u16_e32 vcc_lo, 0, v27
	v_mov_b32_e32 v26, 0
	s_and_not1_b32 s13, s13, exec_lo
	s_and_b32 s17, vcc_lo, exec_lo
	s_delay_alu instid0(SALU_CYCLE_1)
	s_or_b32 s13, s13, s17
	s_or_b32 exec_lo, exec_lo, s30
	s_and_saveexec_b32 s17, s13
	s_cbranch_execnz .LBB6_14351
	s_branch .LBB6_14352
.LBB6_15182:                            ;   in Loop: Header=BB6_12675 Depth=3
	s_mov_b32 s13, -1
	s_mov_b32 s31, exec_lo
                                        ; implicit-def: $sgpr17
	v_cmpx_eq_u16_e32 0x80, v36
; %bb.15183:                            ;   in Loop: Header=BB6_12675 Depth=3
	s_mov_b32 s17, 0x7f800001
	s_xor_b32 s13, exec_lo, -1
; %bb.15184:                            ;   in Loop: Header=BB6_12675 Depth=3
	s_or_b32 exec_lo, exec_lo, s31
	s_delay_alu instid0(SALU_CYCLE_1)
	s_and_b32 s13, s13, exec_lo
                                        ; implicit-def: $vgpr36
	s_or_saveexec_b32 s30, s30
	v_mov_b32_e32 v27, s17
	s_xor_b32 exec_lo, exec_lo, s30
	s_cbranch_execz .LBB6_14354
.LBB6_15185:                            ;   in Loop: Header=BB6_12675 Depth=3
	v_cmp_ne_u16_e32 vcc_lo, 0, v36
	v_mov_b32_e32 v27, 0
	s_and_not1_b32 s13, s13, exec_lo
	s_and_b32 s17, vcc_lo, exec_lo
	s_delay_alu instid0(SALU_CYCLE_1)
	s_or_b32 s13, s13, s17
	s_or_b32 exec_lo, exec_lo, s30
	s_and_saveexec_b32 s17, s13
	s_cbranch_execnz .LBB6_14355
	s_branch .LBB6_14356
.LBB6_15186:                            ;   in Loop: Header=BB6_12675 Depth=3
	s_mov_b32 s13, -1
	s_mov_b32 s31, exec_lo
                                        ; implicit-def: $sgpr17
	v_cmpx_eq_u16_e32 0x80, v27
; %bb.15187:                            ;   in Loop: Header=BB6_12675 Depth=3
	s_mov_b32 s17, 0x7f800001
	s_xor_b32 s13, exec_lo, -1
; %bb.15188:                            ;   in Loop: Header=BB6_12675 Depth=3
	s_or_b32 exec_lo, exec_lo, s31
	s_delay_alu instid0(SALU_CYCLE_1)
	s_and_b32 s13, s13, exec_lo
                                        ; implicit-def: $vgpr27
	s_or_saveexec_b32 s30, s30
	v_mov_b32_e32 v26, s17
	s_xor_b32 exec_lo, exec_lo, s30
	s_cbranch_execz .LBB6_14366
.LBB6_15189:                            ;   in Loop: Header=BB6_12675 Depth=3
	v_cmp_ne_u16_e32 vcc_lo, 0, v27
	v_mov_b32_e32 v26, 0
	s_and_not1_b32 s13, s13, exec_lo
	s_and_b32 s17, vcc_lo, exec_lo
	s_delay_alu instid0(SALU_CYCLE_1)
	s_or_b32 s13, s13, s17
	s_or_b32 exec_lo, exec_lo, s30
	s_and_saveexec_b32 s17, s13
	s_cbranch_execnz .LBB6_14367
	s_branch .LBB6_14368
.LBB6_15190:                            ;   in Loop: Header=BB6_12675 Depth=3
	s_mov_b32 s13, -1
	s_mov_b32 s31, exec_lo
                                        ; implicit-def: $sgpr17
	v_cmpx_eq_u16_e32 0x80, v27
; %bb.15191:                            ;   in Loop: Header=BB6_12675 Depth=3
	s_mov_b32 s17, 0x7f800001
	s_xor_b32 s13, exec_lo, -1
; %bb.15192:                            ;   in Loop: Header=BB6_12675 Depth=3
	s_or_b32 exec_lo, exec_lo, s31
	s_delay_alu instid0(SALU_CYCLE_1)
	s_and_b32 s13, s13, exec_lo
	s_or_saveexec_b32 s30, s30
	v_mov_b32_e32 v36, s17
	s_xor_b32 exec_lo, exec_lo, s30
	s_cbranch_execz .LBB6_14370
.LBB6_15193:                            ;   in Loop: Header=BB6_12675 Depth=3
	v_cmp_ne_u16_e32 vcc_lo, 0, v27
	v_mov_b32_e32 v36, 0
	s_and_not1_b32 s13, s13, exec_lo
	s_and_b32 s17, vcc_lo, exec_lo
	s_delay_alu instid0(SALU_CYCLE_1)
	s_or_b32 s13, s13, s17
	s_or_b32 exec_lo, exec_lo, s30
	s_and_saveexec_b32 s17, s13
	s_cbranch_execnz .LBB6_14371
	s_branch .LBB6_14372
.LBB6_15194:                            ;   in Loop: Header=BB6_12675 Depth=3
	s_mov_b32 s13, -1
	s_mov_b32 s31, exec_lo
                                        ; implicit-def: $sgpr17
	v_cmpx_eq_u16_e32 0x80, v36
; %bb.15195:                            ;   in Loop: Header=BB6_12675 Depth=3
	s_mov_b32 s17, 0x7f800001
	s_xor_b32 s13, exec_lo, -1
; %bb.15196:                            ;   in Loop: Header=BB6_12675 Depth=3
	s_or_b32 exec_lo, exec_lo, s31
	s_delay_alu instid0(SALU_CYCLE_1)
	s_and_b32 s13, s13, exec_lo
                                        ; implicit-def: $vgpr36
	s_or_saveexec_b32 s30, s30
	v_mov_b32_e32 v27, s17
	s_xor_b32 exec_lo, exec_lo, s30
	s_cbranch_execz .LBB6_14382
.LBB6_15197:                            ;   in Loop: Header=BB6_12675 Depth=3
	v_cmp_ne_u16_e32 vcc_lo, 0, v36
	v_mov_b32_e32 v27, 0
	s_and_not1_b32 s13, s13, exec_lo
	s_and_b32 s17, vcc_lo, exec_lo
	s_delay_alu instid0(SALU_CYCLE_1)
	s_or_b32 s13, s13, s17
	s_or_b32 exec_lo, exec_lo, s30
	s_and_saveexec_b32 s17, s13
	s_cbranch_execnz .LBB6_14383
	s_branch .LBB6_14384
.LBB6_15198:                            ;   in Loop: Header=BB6_12675 Depth=3
	s_mov_b32 s13, -1
	s_mov_b32 s31, exec_lo
                                        ; implicit-def: $sgpr17
	v_cmpx_eq_u16_e32 0x80, v38
; %bb.15199:                            ;   in Loop: Header=BB6_12675 Depth=3
	s_mov_b32 s17, 0x7f800001
	s_xor_b32 s13, exec_lo, -1
; %bb.15200:                            ;   in Loop: Header=BB6_12675 Depth=3
	s_or_b32 exec_lo, exec_lo, s31
	s_delay_alu instid0(SALU_CYCLE_1)
	s_and_b32 s13, s13, exec_lo
                                        ; implicit-def: $vgpr38
	s_or_saveexec_b32 s30, s30
	v_mov_b32_e32 v37, s17
	s_xor_b32 exec_lo, exec_lo, s30
	s_cbranch_execz .LBB6_14386
.LBB6_15201:                            ;   in Loop: Header=BB6_12675 Depth=3
	v_cmp_ne_u16_e32 vcc_lo, 0, v38
	v_mov_b32_e32 v37, 0
	s_and_not1_b32 s13, s13, exec_lo
	s_and_b32 s17, vcc_lo, exec_lo
	s_delay_alu instid0(SALU_CYCLE_1)
	s_or_b32 s13, s13, s17
	s_or_b32 exec_lo, exec_lo, s30
	s_and_saveexec_b32 s17, s13
	s_cbranch_execnz .LBB6_14387
	s_branch .LBB6_14388
.LBB6_15202:                            ;   in Loop: Header=BB6_12675 Depth=3
	s_mov_b32 s13, -1
	s_mov_b32 s31, exec_lo
                                        ; implicit-def: $sgpr17
	v_cmpx_eq_u16_e32 0x80, v37
; %bb.15203:                            ;   in Loop: Header=BB6_12675 Depth=3
	s_mov_b32 s17, 0x7f800001
	s_xor_b32 s13, exec_lo, -1
; %bb.15204:                            ;   in Loop: Header=BB6_12675 Depth=3
	s_or_b32 exec_lo, exec_lo, s31
	s_delay_alu instid0(SALU_CYCLE_1)
	s_and_b32 s13, s13, exec_lo
	s_or_saveexec_b32 s30, s30
	v_mov_b32_e32 v36, s17
	s_xor_b32 exec_lo, exec_lo, s30
	s_cbranch_execz .LBB6_14398
.LBB6_15205:                            ;   in Loop: Header=BB6_12675 Depth=3
	v_cmp_ne_u16_e32 vcc_lo, 0, v37
	v_mov_b32_e32 v36, 0
	s_and_not1_b32 s13, s13, exec_lo
	s_and_b32 s17, vcc_lo, exec_lo
	s_delay_alu instid0(SALU_CYCLE_1)
	s_or_b32 s13, s13, s17
	s_or_b32 exec_lo, exec_lo, s30
	s_and_saveexec_b32 s17, s13
	s_cbranch_execnz .LBB6_14399
	s_branch .LBB6_14400
.LBB6_15206:                            ;   in Loop: Header=BB6_12675 Depth=3
	s_mov_b32 s13, -1
	s_mov_b32 s31, exec_lo
                                        ; implicit-def: $sgpr17
	v_cmpx_eq_u16_e32 0x80, v37
; %bb.15207:                            ;   in Loop: Header=BB6_12675 Depth=3
	s_mov_b32 s17, 0x7f800001
	s_xor_b32 s13, exec_lo, -1
; %bb.15208:                            ;   in Loop: Header=BB6_12675 Depth=3
	s_or_b32 exec_lo, exec_lo, s31
	s_delay_alu instid0(SALU_CYCLE_1)
	s_and_b32 s13, s13, exec_lo
	s_or_saveexec_b32 s30, s30
	v_mov_b32_e32 v38, s17
	s_xor_b32 exec_lo, exec_lo, s30
	s_cbranch_execz .LBB6_14402
.LBB6_15209:                            ;   in Loop: Header=BB6_12675 Depth=3
	v_cmp_ne_u16_e32 vcc_lo, 0, v37
	v_mov_b32_e32 v38, 0
	s_and_not1_b32 s13, s13, exec_lo
	s_and_b32 s17, vcc_lo, exec_lo
	s_delay_alu instid0(SALU_CYCLE_1)
	s_or_b32 s13, s13, s17
	s_or_b32 exec_lo, exec_lo, s30
	s_and_saveexec_b32 s17, s13
	s_cbranch_execnz .LBB6_14403
	s_branch .LBB6_14404
.LBB6_15210:                            ;   in Loop: Header=BB6_12675 Depth=3
	s_mov_b32 s13, -1
	s_mov_b32 s31, exec_lo
                                        ; implicit-def: $sgpr17
	v_cmpx_eq_u16_e32 0x80, v37
; %bb.15211:                            ;   in Loop: Header=BB6_12675 Depth=3
	s_mov_b32 s17, 0x7f800001
	s_xor_b32 s13, exec_lo, -1
; %bb.15212:                            ;   in Loop: Header=BB6_12675 Depth=3
	s_or_b32 exec_lo, exec_lo, s31
	s_delay_alu instid0(SALU_CYCLE_1)
	s_and_b32 s13, s13, exec_lo
                                        ; implicit-def: $vgpr37
	s_or_saveexec_b32 s30, s30
	v_mov_b32_e32 v36, s17
	s_xor_b32 exec_lo, exec_lo, s30
	s_cbranch_execz .LBB6_14414
.LBB6_15213:                            ;   in Loop: Header=BB6_12675 Depth=3
	v_cmp_ne_u16_e32 vcc_lo, 0, v37
	v_mov_b32_e32 v36, 0
	s_and_not1_b32 s13, s13, exec_lo
	s_and_b32 s17, vcc_lo, exec_lo
	s_delay_alu instid0(SALU_CYCLE_1)
	s_or_b32 s13, s13, s17
	s_or_b32 exec_lo, exec_lo, s30
	s_and_saveexec_b32 s17, s13
	s_cbranch_execnz .LBB6_14415
	s_branch .LBB6_14416
.LBB6_15214:                            ;   in Loop: Header=BB6_12675 Depth=3
	s_mov_b32 s13, -1
	s_mov_b32 s31, exec_lo
                                        ; implicit-def: $sgpr17
	v_cmpx_eq_u16_e32 0x80, v39
; %bb.15215:                            ;   in Loop: Header=BB6_12675 Depth=3
	s_mov_b32 s17, 0x7f800001
	s_xor_b32 s13, exec_lo, -1
; %bb.15216:                            ;   in Loop: Header=BB6_12675 Depth=3
	s_or_b32 exec_lo, exec_lo, s31
	s_delay_alu instid0(SALU_CYCLE_1)
	s_and_b32 s13, s13, exec_lo
                                        ; implicit-def: $vgpr39
	s_or_saveexec_b32 s30, s30
	v_mov_b32_e32 v37, s17
	s_xor_b32 exec_lo, exec_lo, s30
	s_cbranch_execz .LBB6_14418
.LBB6_15217:                            ;   in Loop: Header=BB6_12675 Depth=3
	v_cmp_ne_u16_e32 vcc_lo, 0, v39
	v_mov_b32_e32 v37, 0
	s_and_not1_b32 s13, s13, exec_lo
	s_and_b32 s17, vcc_lo, exec_lo
	s_delay_alu instid0(SALU_CYCLE_1)
	s_or_b32 s13, s13, s17
	s_or_b32 exec_lo, exec_lo, s30
	s_and_saveexec_b32 s17, s13
	s_cbranch_execnz .LBB6_14419
	s_branch .LBB6_14420
.LBB6_15218:                            ;   in Loop: Header=BB6_12675 Depth=3
	s_mov_b32 s13, -1
	s_mov_b32 s31, exec_lo
                                        ; implicit-def: $sgpr17
	v_cmpx_eq_u16_e32 0x80, v39
; %bb.15219:                            ;   in Loop: Header=BB6_12675 Depth=3
	s_mov_b32 s17, 0x7f800001
	s_xor_b32 s13, exec_lo, -1
; %bb.15220:                            ;   in Loop: Header=BB6_12675 Depth=3
	s_or_b32 exec_lo, exec_lo, s31
	s_delay_alu instid0(SALU_CYCLE_1)
	s_and_b32 s13, s13, exec_lo
	s_or_saveexec_b32 s30, s30
	v_mov_b32_e32 v37, s17
	s_xor_b32 exec_lo, exec_lo, s30
	s_cbranch_execz .LBB6_14430
.LBB6_15221:                            ;   in Loop: Header=BB6_12675 Depth=3
	v_cmp_ne_u16_e32 vcc_lo, 0, v39
	v_mov_b32_e32 v37, 0
	s_and_not1_b32 s13, s13, exec_lo
	s_and_b32 s17, vcc_lo, exec_lo
	s_delay_alu instid0(SALU_CYCLE_1)
	s_or_b32 s13, s13, s17
	s_or_b32 exec_lo, exec_lo, s30
	s_and_saveexec_b32 s17, s13
	s_cbranch_execnz .LBB6_14431
	s_branch .LBB6_14432
.LBB6_15222:                            ;   in Loop: Header=BB6_12675 Depth=3
	s_mov_b32 s13, -1
	s_mov_b32 s31, exec_lo
                                        ; implicit-def: $sgpr17
	v_cmpx_eq_u16_e32 0x80, v39
; %bb.15223:                            ;   in Loop: Header=BB6_12675 Depth=3
	s_mov_b32 s17, 0x7f800001
	s_xor_b32 s13, exec_lo, -1
; %bb.15224:                            ;   in Loop: Header=BB6_12675 Depth=3
	s_or_b32 exec_lo, exec_lo, s31
	s_delay_alu instid0(SALU_CYCLE_1)
	s_and_b32 s13, s13, exec_lo
	s_or_saveexec_b32 s30, s30
	v_mov_b32_e32 v48, s17
	s_xor_b32 exec_lo, exec_lo, s30
	s_cbranch_execz .LBB6_14434
.LBB6_15225:                            ;   in Loop: Header=BB6_12675 Depth=3
	v_cmp_ne_u16_e32 vcc_lo, 0, v39
	v_mov_b32_e32 v48, 0
	s_and_not1_b32 s13, s13, exec_lo
	s_and_b32 s17, vcc_lo, exec_lo
	s_delay_alu instid0(SALU_CYCLE_1)
	s_or_b32 s13, s13, s17
	s_or_b32 exec_lo, exec_lo, s30
	s_and_saveexec_b32 s17, s13
	s_cbranch_execnz .LBB6_14435
	s_branch .LBB6_14436
.LBB6_15226:                            ;   in Loop: Header=BB6_12675 Depth=3
	s_mov_b32 s13, -1
	s_mov_b32 s31, exec_lo
                                        ; implicit-def: $sgpr17
	v_cmpx_eq_u16_e32 0x80, v49
; %bb.15227:                            ;   in Loop: Header=BB6_12675 Depth=3
	s_mov_b32 s17, 0x7f800001
	s_xor_b32 s13, exec_lo, -1
; %bb.15228:                            ;   in Loop: Header=BB6_12675 Depth=3
	s_or_b32 exec_lo, exec_lo, s31
	s_delay_alu instid0(SALU_CYCLE_1)
	s_and_b32 s13, s13, exec_lo
                                        ; implicit-def: $vgpr49
	s_or_saveexec_b32 s30, s30
	v_mov_b32_e32 v48, s17
	s_xor_b32 exec_lo, exec_lo, s30
	s_cbranch_execz .LBB6_14446
.LBB6_15229:                            ;   in Loop: Header=BB6_12675 Depth=3
	v_cmp_ne_u16_e32 vcc_lo, 0, v49
	v_mov_b32_e32 v48, 0
	s_and_not1_b32 s13, s13, exec_lo
	s_and_b32 s17, vcc_lo, exec_lo
	s_delay_alu instid0(SALU_CYCLE_1)
	s_or_b32 s13, s13, s17
	s_or_b32 exec_lo, exec_lo, s30
	v_lshl_or_b32 v39, v39, 16, v38
	s_and_saveexec_b32 s17, s13
	s_cbranch_execnz .LBB6_14447
	s_branch .LBB6_14448
.LBB6_15230:                            ;   in Loop: Header=BB6_12675 Depth=3
	s_mov_b32 s13, -1
	s_mov_b32 s31, exec_lo
                                        ; implicit-def: $sgpr17
	v_cmpx_eq_u16_e32 0x80, v53
; %bb.15231:                            ;   in Loop: Header=BB6_12675 Depth=3
	s_mov_b32 s17, 0x7f800001
	s_xor_b32 s13, exec_lo, -1
; %bb.15232:                            ;   in Loop: Header=BB6_12675 Depth=3
	s_or_b32 exec_lo, exec_lo, s31
	s_delay_alu instid0(SALU_CYCLE_1)
	s_and_b32 s13, s13, exec_lo
                                        ; implicit-def: $vgpr53
	s_or_saveexec_b32 s30, s30
	v_mov_b32_e32 v49, s17
	s_xor_b32 exec_lo, exec_lo, s30
	s_cbranch_execz .LBB6_14450
.LBB6_15233:                            ;   in Loop: Header=BB6_12675 Depth=3
	v_cmp_ne_u16_e32 vcc_lo, 0, v53
	v_mov_b32_e32 v49, 0
	s_and_not1_b32 s13, s13, exec_lo
	s_and_b32 s17, vcc_lo, exec_lo
	s_delay_alu instid0(SALU_CYCLE_1)
	s_or_b32 s13, s13, s17
	s_or_b32 exec_lo, exec_lo, s30
	s_and_saveexec_b32 s17, s13
	s_cbranch_execnz .LBB6_14451
	s_branch .LBB6_14452
.LBB6_15234:                            ;   in Loop: Header=BB6_12675 Depth=3
	s_mov_b32 s13, -1
	s_mov_b32 s31, exec_lo
                                        ; implicit-def: $sgpr17
	v_cmpx_eq_u16_e32 0x80, v49
; %bb.15235:                            ;   in Loop: Header=BB6_12675 Depth=3
	s_mov_b32 s17, 0x7f800001
	s_xor_b32 s13, exec_lo, -1
; %bb.15236:                            ;   in Loop: Header=BB6_12675 Depth=3
	s_or_b32 exec_lo, exec_lo, s31
	s_delay_alu instid0(SALU_CYCLE_1)
	s_and_b32 s13, s13, exec_lo
	s_or_saveexec_b32 s30, s30
	v_mov_b32_e32 v48, s17
	s_xor_b32 exec_lo, exec_lo, s30
	s_cbranch_execz .LBB6_14462
.LBB6_15237:                            ;   in Loop: Header=BB6_12675 Depth=3
	v_cmp_ne_u16_e32 vcc_lo, 0, v49
	v_mov_b32_e32 v48, 0
	s_and_not1_b32 s13, s13, exec_lo
	s_and_b32 s17, vcc_lo, exec_lo
	s_delay_alu instid0(SALU_CYCLE_1)
	s_or_b32 s13, s13, s17
	s_or_b32 exec_lo, exec_lo, s30
	s_and_saveexec_b32 s17, s13
	s_cbranch_execnz .LBB6_14463
	s_branch .LBB6_14464
.LBB6_15238:                            ;   in Loop: Header=BB6_12675 Depth=3
	s_mov_b32 s13, -1
	s_mov_b32 s31, exec_lo
                                        ; implicit-def: $sgpr17
	v_cmpx_eq_u16_e32 0x80, v39
; %bb.15239:                            ;   in Loop: Header=BB6_12675 Depth=3
	s_mov_b32 s17, 0x7f800001
	s_xor_b32 s13, exec_lo, -1
; %bb.15240:                            ;   in Loop: Header=BB6_12675 Depth=3
	s_or_b32 exec_lo, exec_lo, s31
	s_delay_alu instid0(SALU_CYCLE_1)
	s_and_b32 s13, s13, exec_lo
	s_or_saveexec_b32 s30, s30
	v_mov_b32_e32 v49, s17
	s_xor_b32 exec_lo, exec_lo, s30
	s_cbranch_execz .LBB6_14466
.LBB6_15241:                            ;   in Loop: Header=BB6_12675 Depth=3
	v_cmp_ne_u16_e32 vcc_lo, 0, v39
	v_mov_b32_e32 v49, 0
	s_and_not1_b32 s13, s13, exec_lo
	s_and_b32 s17, vcc_lo, exec_lo
	s_delay_alu instid0(SALU_CYCLE_1)
	s_or_b32 s13, s13, s17
	s_or_b32 exec_lo, exec_lo, s30
	s_and_saveexec_b32 s17, s13
	s_cbranch_execnz .LBB6_14467
	s_branch .LBB6_14468
.LBB6_15242:                            ;   in Loop: Header=BB6_7988 Depth=2
	s_or_b32 exec_lo, exec_lo, s15
.LBB6_15243:                            ;   in Loop: Header=BB6_7988 Depth=2
	s_delay_alu instid0(SALU_CYCLE_1) | instskip(SKIP_3) | instid1(VALU_DEP_1)
	s_or_b32 exec_lo, exec_lo, s14
	v_dual_mov_b32 v16, 0 :: v_dual_lshlrev_b32 v19, 11, v84
	s_mov_b32 s13, 0
	s_mov_b32 s15, exec_lo
                                        ; implicit-def: $vgpr17
                                        ; implicit-def: $vgpr18
                                        ; implicit-def: $vgpr8
	v_cmpx_ne_u32_e64 v150, v19
	s_cbranch_execz .LBB6_15901
; %bb.15244:                            ;   in Loop: Header=BB6_7988 Depth=2
	v_lshlrev_b32_e32 v2, 5, v2
	v_sub_nc_u32_e32 v9, v150, v19
	s_mov_b32 s16, exec_lo
	s_delay_alu instid0(VALU_DEP_2) | instskip(NEXT) | instid1(VALU_DEP_2)
	v_sub_nc_u32_e32 v2, v157, v2
	v_ashrrev_i32_e32 v10, 31, v9
	s_delay_alu instid0(VALU_DEP_2) | instskip(NEXT) | instid1(VALU_DEP_2)
	v_ashrrev_i32_e32 v8, 31, v2
	v_lshrrev_b32_e32 v10, 23, v10
	s_delay_alu instid0(VALU_DEP_2) | instskip(NEXT) | instid1(VALU_DEP_2)
	v_lshrrev_b32_e32 v8, 27, v8
	v_add_nc_u32_e32 v10, v9, v10
	s_delay_alu instid0(VALU_DEP_2) | instskip(NEXT) | instid1(VALU_DEP_1)
	v_add_nc_u32_e32 v8, v2, v8
	v_and_b32_e32 v11, 0xffffffe0, v8
	s_delay_alu instid0(VALU_DEP_1) | instskip(NEXT) | instid1(VALU_DEP_4)
	v_sub_nc_u32_e32 v20, v2, v11
	v_and_b32_e32 v2, 0xfffffe00, v10
	v_ashrrev_i32_e32 v11, 5, v8
	v_ashrrev_i32_e32 v10, 9, v10
	s_delay_alu instid0(VALU_DEP_4) | instskip(NEXT) | instid1(VALU_DEP_4)
	v_lshlrev_b32_e32 v8, 4, v20
	v_sub_nc_u32_e32 v21, v9, v2
	s_delay_alu instid0(VALU_DEP_2) | instskip(NEXT) | instid1(VALU_DEP_2)
	v_lshl_add_u32 v8, v11, 9, v8
	v_cmp_lt_i32_e64 s13, 15, v21
	s_delay_alu instid0(VALU_DEP_2) | instskip(NEXT) | instid1(VALU_DEP_2)
	v_sub_nc_u32_e32 v18, v9, v8
	v_add_co_ci_u32_e64 v10, vcc_lo, 0, v10, s13
	s_delay_alu instid0(VALU_DEP_1) | instskip(NEXT) | instid1(VALU_DEP_3)
	v_sub_nc_u32_e32 v22, v10, v11
	v_cmpx_lt_i32_e32 15, v18
	s_cbranch_execz .LBB6_15898
; %bb.15245:                            ;   in Loop: Header=BB6_7988 Depth=2
	s_cbranch_execnz .LBB6_18399
; %bb.15246:                            ;   in Loop: Header=BB6_7988 Depth=2
	ds_load_b64 v[9:10], v0
	ds_load_b128 v[12:15], v0
	v_add_nc_u32_e32 v8, v8, v19
	s_delay_alu instid0(VALU_DEP_1)
	v_ashrrev_i32_e32 v11, 31, v8
	s_waitcnt lgkmcnt(1)
	v_readfirstlane_b32 s14, v9
	s_waitcnt lgkmcnt(0)
	v_add_co_u32 v12, vcc_lo, v12, v8
	v_add_co_ci_u32_e32 v13, vcc_lo, v13, v11, vcc_lo
	s_delay_alu instid0(VALU_DEP_3)
	s_and_b32 s17, s14, 3
	v_add_co_u32 v14, vcc_lo, v14, v8
	s_clz_i32_u32 s30, s17
	v_add_co_ci_u32_e32 v15, vcc_lo, v15, v11, vcc_lo
	s_min_u32 s30, s30, 32
	s_bfe_u32 s31, s14, 0x50002
	s_sub_i32 vcc_lo, s30, 29
	s_sub_i32 s30, 30, s30
	s_lshl_b32 vcc_lo, s14, vcc_lo
	v_and_b32_e32 v23, 0xff, v9
	s_and_b32 s34, vcc_lo, 3
	v_add_co_u32 v16, vcc_lo, v9, v8
	s_cmp_eq_u32 s31, 0
	v_add_co_ci_u32_e32 v17, vcc_lo, v10, v11, vcc_lo
	s_cselect_b32 vcc_lo, s30, s31
	s_cselect_b32 s17, s34, s17
	s_lshl_b32 s14, s14, 24
	s_lshl_b32 s30, s17, 21
	s_lshl_b32 s17, vcc_lo, 23
	s_and_b32 s14, s14, 0x80000000
	s_add_i32 s17, s17, 0x37800000
	s_delay_alu instid0(SALU_CYCLE_1)
	s_or_b32 s14, s14, s17
	s_mov_b32 s17, 0
	s_or_b32 s30, s14, s30
	s_branch .LBB6_15250
.LBB6_15247:                            ;   in Loop: Header=BB6_15250 Depth=3
	s_or_b32 exec_lo, exec_lo, s14
	s_delay_alu instid0(VALU_DEP_1) | instskip(NEXT) | instid1(VALU_DEP_2)
	v_lshrrev_b32_e32 v49, 21, v49
	v_cmp_gt_i32_e32 vcc_lo, 32, v48
	v_min_i32_e32 v50, 31, v48
	v_lshrrev_b32_e32 v11, 24, v11
	s_delay_alu instid0(VALU_DEP_2) | instskip(NEXT) | instid1(VALU_DEP_2)
	v_dual_cndmask_b32 v49, 3, v49 :: v_dual_lshlrev_b32 v50, 2, v50
	v_and_b32_e32 v11, 0x80, v11
	s_delay_alu instid0(VALU_DEP_2) | instskip(NEXT) | instid1(VALU_DEP_3)
	v_or_b32_e32 v48, v48, v49
	v_and_b32_e32 v50, 0xfc, v50
	s_delay_alu instid0(VALU_DEP_2) | instskip(SKIP_1) | instid1(VALU_DEP_1)
	v_cmp_ne_u32_e32 vcc_lo, 0, v48
	v_and_b32_e32 v51, 3, v49
	v_or3_b32 v11, v11, v50, v51
	s_delay_alu instid0(VALU_DEP_1) | instskip(NEXT) | instid1(VALU_DEP_1)
	v_lshlrev_b32_e32 v11, 8, v11
	v_cndmask_b32_e32 v48, 0, v11, vcc_lo
.LBB6_15248:                            ;   in Loop: Header=BB6_15250 Depth=3
	s_or_b32 exec_lo, exec_lo, s34
.LBB6_15249:                            ;   in Loop: Header=BB6_15250 Depth=3
	s_delay_alu instid0(SALU_CYCLE_1)
	s_or_b32 exec_lo, exec_lo, s31
	v_or_b32_e32 v9, v9, v129
	v_and_b32_e32 v11, 0xff, v133
	v_lshlrev_b32_e32 v50, 8, v82
	v_and_b32_e32 v27, 0xff, v27
	v_lshlrev_b32_e32 v26, 8, v26
	v_or_b32_e32 v38, v48, v38
	v_and_b32_e32 v49, 0xff, v132
	v_lshlrev_b32_e32 v8, 24, v8
	v_lshlrev_b32_e32 v9, 16, v9
	;; [unrolled: 1-line block ×3, first 2 shown]
	v_perm_b32 v50, v50, v69, 0xc0c0500
	v_lshlrev_b32_e32 v10, 24, v10
	v_lshlrev_b32_e32 v27, 16, v27
	v_perm_b32 v26, v26, v36, 0xc0c0500
	v_and_b32_e32 v36, 0xff, v37
	v_lshlrev_b32_e32 v37, 16, v38
	v_or3_b32 v9, v115, v49, v9
	v_or3_b32 v8, v8, v11, v50
	;; [unrolled: 1-line block ×3, first 2 shown]
	v_sub_nc_u32_e32 v18, v18, v158
	v_or3_b32 v11, v39, v36, v37
	v_sub_nc_u32_e32 v22, v22, v97
	global_store_b128 v[16:17], v[8:11], off glc slc dlc
	v_dual_mov_b32 v9, v173 :: v_dual_mov_b32 v8, v172
	s_delay_alu instid0(VALU_DEP_1) | instskip(NEXT) | instid1(VALU_DEP_2)
	v_add_co_u32 v12, vcc_lo, v12, v8
	v_add_co_ci_u32_e32 v13, vcc_lo, v13, v9, vcc_lo
	v_add_co_u32 v14, vcc_lo, v14, v8
	v_add_co_ci_u32_e32 v15, vcc_lo, v15, v9, vcc_lo
	v_cmp_gt_i32_e32 vcc_lo, 16, v18
	v_add_co_u32 v16, s14, v16, v8
	s_delay_alu instid0(VALU_DEP_1) | instskip(SKIP_1) | instid1(SALU_CYCLE_1)
	v_add_co_ci_u32_e64 v17, s14, v17, v9, s14
	s_or_b32 s17, vcc_lo, s17
	s_and_not1_b32 exec_lo, exec_lo, s17
	s_cbranch_execz .LBB6_15897
.LBB6_15250:                            ;   Parent Loop BB6_51 Depth=1
                                        ;     Parent Loop BB6_7988 Depth=2
                                        ; =>    This Inner Loop Header: Depth=3
	v_cmp_gt_i16_e32 vcc_lo, 0x80, v23
	s_cbranch_vccnz .LBB6_15254
; %bb.15251:                            ;   in Loop: Header=BB6_15250 Depth=3
	v_cmp_eq_u16_e32 vcc_lo, 0x80, v23
	s_mov_b32 s14, -1
                                        ; implicit-def: $sgpr31
	s_cbranch_vccz .LBB6_15253
; %bb.15252:                            ;   in Loop: Header=BB6_15250 Depth=3
	s_mov_b32 s14, 0
	s_mov_b32 s31, 0x7f800001
.LBB6_15253:                            ;   in Loop: Header=BB6_15250 Depth=3
	s_mov_b32 vcc_lo, 0
	s_branch .LBB6_15255
.LBB6_15254:                            ;   in Loop: Header=BB6_15250 Depth=3
	s_mov_b32 vcc_lo, -1
	s_mov_b32 s14, 0
                                        ; implicit-def: $sgpr31
.LBB6_15255:                            ;   in Loop: Header=BB6_15250 Depth=3
	s_and_b32 vcc_lo, exec_lo, vcc_lo
	s_cbranch_vccz .LBB6_15257
; %bb.15256:                            ;   in Loop: Header=BB6_15250 Depth=3
	v_cmp_ne_u16_e64 s14, 0, v23
	s_mov_b32 s31, 0
.LBB6_15257:                            ;   in Loop: Header=BB6_15250 Depth=3
	s_delay_alu instid0(VALU_DEP_1)
	s_and_not1_b32 vcc_lo, exec_lo, s14
	s_cbranch_vccnz .LBB6_15259
; %bb.15258:                            ;   in Loop: Header=BB6_15250 Depth=3
	s_mov_b32 s31, s30
.LBB6_15259:                            ;   in Loop: Header=BB6_15250 Depth=3
	global_load_b128 v[8:11], v[12:13], off slc dlc
	s_mov_b32 s14, 0
	s_mov_b32 s35, exec_lo
                                        ; implicit-def: $sgpr34
	s_waitcnt vmcnt(0)
	v_and_b32_e32 v27, 0xff, v8
	s_delay_alu instid0(VALU_DEP_1)
	v_cmpx_lt_i16_e32 0x7f, v27
	s_xor_b32 s35, exec_lo, s35
	s_cbranch_execnz .LBB6_15705
; %bb.15260:                            ;   in Loop: Header=BB6_15250 Depth=3
	s_or_saveexec_b32 s35, s35
	v_mov_b32_e32 v26, s34
	s_xor_b32 exec_lo, exec_lo, s35
	s_cbranch_execnz .LBB6_15708
.LBB6_15261:                            ;   in Loop: Header=BB6_15250 Depth=3
	s_or_b32 exec_lo, exec_lo, s35
	s_and_saveexec_b32 s34, s14
	s_cbranch_execz .LBB6_15263
.LBB6_15262:                            ;   in Loop: Header=BB6_15250 Depth=3
	v_bfe_u32 v37, v8, 2, 5
	v_lshlrev_b32_e32 v38, 24, v8
	s_delay_alu instid0(VALU_DEP_2) | instskip(SKIP_1) | instid1(VALU_DEP_1)
	v_cmp_eq_u32_e32 vcc_lo, 0, v37
	v_and_b32_e32 v26, 3, v8
	v_clz_i32_u32_e32 v27, v26
	s_delay_alu instid0(VALU_DEP_1) | instskip(NEXT) | instid1(VALU_DEP_1)
	v_min_u32_e32 v27, 32, v27
	v_subrev_nc_u32_e32 v36, 29, v27
	v_sub_nc_u32_e32 v27, 30, v27
	s_delay_alu instid0(VALU_DEP_1) | instskip(NEXT) | instid1(VALU_DEP_1)
	v_dual_cndmask_b32 v27, v37, v27 :: v_dual_lshlrev_b32 v36, v36, v8
	v_and_b32_e32 v36, 3, v36
	s_delay_alu instid0(VALU_DEP_2) | instskip(NEXT) | instid1(VALU_DEP_2)
	v_lshl_add_u32 v27, v27, 23, 0x37800000
	v_cndmask_b32_e32 v26, v26, v36, vcc_lo
	v_and_b32_e32 v36, 0x80000000, v38
	s_delay_alu instid0(VALU_DEP_2) | instskip(NEXT) | instid1(VALU_DEP_1)
	v_lshlrev_b32_e32 v26, 21, v26
	v_or3_b32 v26, v36, v27, v26
.LBB6_15263:                            ;   in Loop: Header=BB6_15250 Depth=3
	s_or_b32 exec_lo, exec_lo, s34
	s_delay_alu instid0(VALU_DEP_1) | instskip(SKIP_1) | instid1(VALU_DEP_1)
	v_dual_mul_f32 v26, s31, v26 :: v_dual_mov_b32 v69, 0x80
	s_mov_b32 s34, exec_lo
	v_and_b32_e32 v27, 0x7f800000, v26
	s_delay_alu instid0(VALU_DEP_1)
	v_cmpx_ne_u32_e32 0x7f800000, v27
	s_cbranch_execz .LBB6_15271
; %bb.15264:                            ;   in Loop: Header=BB6_15250 Depth=3
	v_mov_b32_e32 v69, 0
	s_mov_b32 s35, exec_lo
	v_cmpx_ne_u32_e32 0, v26
	s_cbranch_execz .LBB6_15270
; %bb.15265:                            ;   in Loop: Header=BB6_15250 Depth=3
	v_bfe_u32 v27, v26, 23, 8
	s_delay_alu instid0(VALU_DEP_1) | instskip(SKIP_1) | instid1(VALU_DEP_2)
	v_sub_nc_u32_e32 v37, 0x70, v27
	v_cmp_gt_u32_e32 vcc_lo, 0x71, v27
	v_dual_cndmask_b32 v37, 0, v37 :: v_dual_and_b32 v36, 0x7fffff, v26
	s_delay_alu instid0(VALU_DEP_1) | instskip(SKIP_2) | instid1(VALU_DEP_4)
	v_or_b32_e32 v38, 0x800000, v36
	v_cmp_eq_u32_e32 vcc_lo, 0, v27
	v_add_nc_u32_e32 v27, 0xffffff91, v27
	v_cndmask_b32_e64 v37, v37, 0x6f, vcc_lo
	s_delay_alu instid0(VALU_DEP_4) | instskip(NEXT) | instid1(VALU_DEP_3)
	v_cndmask_b32_e32 v36, v38, v36, vcc_lo
	v_cndmask_b32_e64 v27, v27, 0xffffff92, vcc_lo
	s_delay_alu instid0(VALU_DEP_3) | instskip(NEXT) | instid1(VALU_DEP_3)
	v_lshl_add_u32 v38, 0x200000, v37, -1
	v_lshrrev_b32_e32 v39, v37, v36
	v_lshlrev_b32_e64 v49, v37, 0x100000
	s_delay_alu instid0(VALU_DEP_4) | instskip(NEXT) | instid1(VALU_DEP_4)
	v_add_nc_u32_e32 v37, v37, v27
	v_and_b32_e32 v36, v38, v36
	s_delay_alu instid0(VALU_DEP_4) | instskip(NEXT) | instid1(VALU_DEP_2)
	v_bfe_u32 v48, v39, 21, 1
	v_cmp_eq_u32_e64 s14, v36, v49
	s_delay_alu instid0(VALU_DEP_2) | instskip(NEXT) | instid1(VALU_DEP_1)
	v_add_nc_u32_e32 v38, -1, v48
	v_cndmask_b32_e64 v36, 0, v38, s14
	v_lshrrev_b32_e32 v38, 23, v39
	s_mov_b32 s14, exec_lo
	s_delay_alu instid0(VALU_DEP_2) | instskip(NEXT) | instid1(VALU_DEP_2)
	v_add_nc_u32_e32 v36, v36, v39
	v_xor_b32_e32 v38, 1, v38
	s_delay_alu instid0(VALU_DEP_2) | instskip(NEXT) | instid1(VALU_DEP_1)
	v_and_b32_e32 v27, 0x1fffff, v36
	v_add_nc_u32_e32 v36, v27, v39
                                        ; implicit-def: $vgpr27
	s_delay_alu instid0(VALU_DEP_3)
	v_cmpx_ne_u32_e64 v37, v38
	s_xor_b32 s14, exec_lo, s14
; %bb.15266:                            ;   in Loop: Header=BB6_15250 Depth=3
	s_delay_alu instid0(VALU_DEP_2) | instskip(SKIP_2) | instid1(VALU_DEP_2)
	v_cmp_lt_u32_e32 vcc_lo, 0xffffff, v36
	v_sub_nc_u32_e32 v27, v37, v38
	v_cndmask_b32_e64 v37, 0, 1, vcc_lo
	v_add_co_ci_u32_e32 v27, vcc_lo, 0, v27, vcc_lo
	s_delay_alu instid0(VALU_DEP_2)
	v_lshrrev_b32_e32 v36, v37, v36
; %bb.15267:                            ;   in Loop: Header=BB6_15250 Depth=3
	s_and_not1_saveexec_b32 s14, s14
; %bb.15268:                            ;   in Loop: Header=BB6_15250 Depth=3
	s_delay_alu instid0(VALU_DEP_1)
	v_bfe_u32 v27, v36, 23, 1
; %bb.15269:                            ;   in Loop: Header=BB6_15250 Depth=3
	s_or_b32 exec_lo, exec_lo, s14
	v_lshrrev_b32_e32 v36, 21, v36
	s_delay_alu instid0(VALU_DEP_2) | instskip(SKIP_2) | instid1(VALU_DEP_2)
	v_cmp_gt_i32_e32 vcc_lo, 32, v27
	v_min_i32_e32 v37, 31, v27
	v_lshrrev_b32_e32 v26, 24, v26
	v_dual_cndmask_b32 v36, 3, v36 :: v_dual_lshlrev_b32 v37, 2, v37
	s_delay_alu instid0(VALU_DEP_2) | instskip(NEXT) | instid1(VALU_DEP_2)
	v_and_b32_e32 v26, 0x80, v26
	v_or_b32_e32 v27, v27, v36
	s_delay_alu instid0(VALU_DEP_1) | instskip(SKIP_1) | instid1(VALU_DEP_1)
	v_cmp_ne_u32_e32 vcc_lo, 0, v27
	v_and_b32_e32 v38, 3, v36
	v_or3_b32 v26, v37, v26, v38
	s_delay_alu instid0(VALU_DEP_1)
	v_cndmask_b32_e32 v69, 0, v26, vcc_lo
.LBB6_15270:                            ;   in Loop: Header=BB6_15250 Depth=3
	s_or_b32 exec_lo, exec_lo, s35
.LBB6_15271:                            ;   in Loop: Header=BB6_15250 Depth=3
	s_delay_alu instid0(SALU_CYCLE_1) | instskip(SKIP_3) | instid1(VALU_DEP_1)
	s_or_b32 exec_lo, exec_lo, s34
	v_lshrrev_b16 v26, 8, v8
	s_mov_b32 s14, 0
	s_mov_b32 s35, exec_lo
                                        ; implicit-def: $sgpr34
	v_cmpx_lt_i16_e32 0x7f, v26
	s_xor_b32 s35, exec_lo, s35
	s_cbranch_execnz .LBB6_15709
; %bb.15272:                            ;   in Loop: Header=BB6_15250 Depth=3
	s_or_saveexec_b32 s35, s35
	v_mov_b32_e32 v27, s34
	s_xor_b32 exec_lo, exec_lo, s35
	s_cbranch_execnz .LBB6_15712
.LBB6_15273:                            ;   in Loop: Header=BB6_15250 Depth=3
	s_or_b32 exec_lo, exec_lo, s35
	s_and_saveexec_b32 s34, s14
	s_cbranch_execz .LBB6_15275
.LBB6_15274:                            ;   in Loop: Header=BB6_15250 Depth=3
	v_and_b32_e32 v27, 0xffff, v26
	v_lshlrev_b32_e32 v26, 24, v26
	s_delay_alu instid0(VALU_DEP_2) | instskip(NEXT) | instid1(VALU_DEP_2)
	v_and_b32_e32 v36, 3, v27
	v_and_b32_e32 v26, 0x80000000, v26
	s_delay_alu instid0(VALU_DEP_2) | instskip(NEXT) | instid1(VALU_DEP_1)
	v_clz_i32_u32_e32 v37, v36
	v_min_u32_e32 v37, 32, v37
	s_delay_alu instid0(VALU_DEP_1) | instskip(SKIP_1) | instid1(VALU_DEP_2)
	v_subrev_nc_u32_e32 v38, 29, v37
	v_sub_nc_u32_e32 v37, 30, v37
	v_lshlrev_b32_e32 v38, v38, v27
	v_bfe_u32 v27, v27, 2, 5
	s_delay_alu instid0(VALU_DEP_2) | instskip(NEXT) | instid1(VALU_DEP_2)
	v_and_b32_e32 v38, 3, v38
	v_cmp_eq_u32_e32 vcc_lo, 0, v27
	s_delay_alu instid0(VALU_DEP_2) | instskip(NEXT) | instid1(VALU_DEP_1)
	v_dual_cndmask_b32 v27, v27, v37 :: v_dual_cndmask_b32 v36, v36, v38
	v_lshl_add_u32 v27, v27, 23, 0x37800000
	s_delay_alu instid0(VALU_DEP_2) | instskip(NEXT) | instid1(VALU_DEP_1)
	v_lshlrev_b32_e32 v36, 21, v36
	v_or3_b32 v27, v26, v27, v36
.LBB6_15275:                            ;   in Loop: Header=BB6_15250 Depth=3
	s_or_b32 exec_lo, exec_lo, s34
	s_delay_alu instid0(VALU_DEP_1) | instskip(SKIP_2) | instid1(VALU_DEP_2)
	v_mul_f32_e32 v26, s31, v27
	v_mov_b32_e32 v82, 0x80
	s_mov_b32 s34, exec_lo
	v_and_b32_e32 v27, 0x7f800000, v26
	s_delay_alu instid0(VALU_DEP_1)
	v_cmpx_ne_u32_e32 0x7f800000, v27
	s_cbranch_execz .LBB6_15283
; %bb.15276:                            ;   in Loop: Header=BB6_15250 Depth=3
	v_mov_b32_e32 v82, 0
	s_mov_b32 s35, exec_lo
	v_cmpx_ne_u32_e32 0, v26
	s_cbranch_execz .LBB6_15282
; %bb.15277:                            ;   in Loop: Header=BB6_15250 Depth=3
	v_bfe_u32 v27, v26, 23, 8
	s_delay_alu instid0(VALU_DEP_1) | instskip(SKIP_1) | instid1(VALU_DEP_2)
	v_sub_nc_u32_e32 v37, 0x70, v27
	v_cmp_gt_u32_e32 vcc_lo, 0x71, v27
	v_dual_cndmask_b32 v37, 0, v37 :: v_dual_and_b32 v36, 0x7fffff, v26
	s_delay_alu instid0(VALU_DEP_1) | instskip(SKIP_2) | instid1(VALU_DEP_4)
	v_or_b32_e32 v38, 0x800000, v36
	v_cmp_eq_u32_e32 vcc_lo, 0, v27
	v_add_nc_u32_e32 v27, 0xffffff91, v27
	v_cndmask_b32_e64 v37, v37, 0x6f, vcc_lo
	s_delay_alu instid0(VALU_DEP_4) | instskip(NEXT) | instid1(VALU_DEP_3)
	v_cndmask_b32_e32 v36, v38, v36, vcc_lo
	v_cndmask_b32_e64 v27, v27, 0xffffff92, vcc_lo
	s_delay_alu instid0(VALU_DEP_3) | instskip(NEXT) | instid1(VALU_DEP_3)
	v_lshl_add_u32 v38, 0x200000, v37, -1
	v_lshrrev_b32_e32 v39, v37, v36
	v_lshlrev_b32_e64 v49, v37, 0x100000
	s_delay_alu instid0(VALU_DEP_4) | instskip(NEXT) | instid1(VALU_DEP_4)
	v_add_nc_u32_e32 v37, v37, v27
	v_and_b32_e32 v36, v38, v36
	s_delay_alu instid0(VALU_DEP_4) | instskip(NEXT) | instid1(VALU_DEP_2)
	v_bfe_u32 v48, v39, 21, 1
	v_cmp_eq_u32_e64 s14, v36, v49
	s_delay_alu instid0(VALU_DEP_2) | instskip(NEXT) | instid1(VALU_DEP_1)
	v_add_nc_u32_e32 v38, -1, v48
	v_cndmask_b32_e64 v36, 0, v38, s14
	v_lshrrev_b32_e32 v38, 23, v39
	s_mov_b32 s14, exec_lo
	s_delay_alu instid0(VALU_DEP_2) | instskip(NEXT) | instid1(VALU_DEP_2)
	v_add_nc_u32_e32 v36, v36, v39
	v_xor_b32_e32 v38, 1, v38
	s_delay_alu instid0(VALU_DEP_2) | instskip(NEXT) | instid1(VALU_DEP_1)
	v_and_b32_e32 v27, 0x1fffff, v36
	v_add_nc_u32_e32 v36, v27, v39
                                        ; implicit-def: $vgpr27
	s_delay_alu instid0(VALU_DEP_3)
	v_cmpx_ne_u32_e64 v37, v38
	s_xor_b32 s14, exec_lo, s14
; %bb.15278:                            ;   in Loop: Header=BB6_15250 Depth=3
	s_delay_alu instid0(VALU_DEP_2) | instskip(SKIP_2) | instid1(VALU_DEP_2)
	v_cmp_lt_u32_e32 vcc_lo, 0xffffff, v36
	v_sub_nc_u32_e32 v27, v37, v38
	v_cndmask_b32_e64 v37, 0, 1, vcc_lo
	v_add_co_ci_u32_e32 v27, vcc_lo, 0, v27, vcc_lo
	s_delay_alu instid0(VALU_DEP_2)
	v_lshrrev_b32_e32 v36, v37, v36
; %bb.15279:                            ;   in Loop: Header=BB6_15250 Depth=3
	s_and_not1_saveexec_b32 s14, s14
; %bb.15280:                            ;   in Loop: Header=BB6_15250 Depth=3
	s_delay_alu instid0(VALU_DEP_1)
	v_bfe_u32 v27, v36, 23, 1
; %bb.15281:                            ;   in Loop: Header=BB6_15250 Depth=3
	s_or_b32 exec_lo, exec_lo, s14
	v_lshrrev_b32_e32 v36, 21, v36
	s_delay_alu instid0(VALU_DEP_2) | instskip(SKIP_2) | instid1(VALU_DEP_4)
	v_cmp_gt_i32_e32 vcc_lo, 32, v27
	v_lshrrev_b32_e32 v26, 24, v26
	v_min_i32_e32 v37, 31, v27
	v_cndmask_b32_e32 v36, 3, v36, vcc_lo
	s_delay_alu instid0(VALU_DEP_3) | instskip(NEXT) | instid1(VALU_DEP_3)
	v_and_b32_e32 v26, 0x80, v26
	v_lshlrev_b32_e32 v37, 2, v37
	s_delay_alu instid0(VALU_DEP_3) | instskip(SKIP_1) | instid1(VALU_DEP_2)
	v_and_b32_e32 v38, 3, v36
	v_or_b32_e32 v27, v27, v36
	v_or3_b32 v26, v37, v26, v38
	s_delay_alu instid0(VALU_DEP_2) | instskip(NEXT) | instid1(VALU_DEP_2)
	v_cmp_ne_u32_e32 vcc_lo, 0, v27
	v_cndmask_b32_e32 v82, 0, v26, vcc_lo
.LBB6_15282:                            ;   in Loop: Header=BB6_15250 Depth=3
	s_or_b32 exec_lo, exec_lo, s35
.LBB6_15283:                            ;   in Loop: Header=BB6_15250 Depth=3
	s_delay_alu instid0(SALU_CYCLE_1) | instskip(SKIP_3) | instid1(VALU_DEP_1)
	s_or_b32 exec_lo, exec_lo, s34
	v_lshrrev_b32_e32 v26, 16, v8
	s_mov_b32 s14, 0
	s_mov_b32 s35, exec_lo
                                        ; implicit-def: $sgpr34
	v_and_b32_e32 v36, 0xff, v26
	s_delay_alu instid0(VALU_DEP_1)
	v_cmpx_lt_i16_e32 0x7f, v36
	s_xor_b32 s35, exec_lo, s35
	s_cbranch_execnz .LBB6_15713
; %bb.15284:                            ;   in Loop: Header=BB6_15250 Depth=3
	s_or_saveexec_b32 s35, s35
	v_mov_b32_e32 v27, s34
	s_xor_b32 exec_lo, exec_lo, s35
	s_cbranch_execnz .LBB6_15716
.LBB6_15285:                            ;   in Loop: Header=BB6_15250 Depth=3
	s_or_b32 exec_lo, exec_lo, s35
	s_and_saveexec_b32 s34, s14
	s_cbranch_execz .LBB6_15287
.LBB6_15286:                            ;   in Loop: Header=BB6_15250 Depth=3
	v_bfe_u32 v27, v8, 16, 2
	v_lshlrev_b32_e32 v38, 8, v8
	s_delay_alu instid0(VALU_DEP_2) | instskip(NEXT) | instid1(VALU_DEP_1)
	v_clz_i32_u32_e32 v36, v27
	v_min_u32_e32 v36, 32, v36
	s_delay_alu instid0(VALU_DEP_1) | instskip(SKIP_1) | instid1(VALU_DEP_2)
	v_subrev_nc_u32_e32 v37, 29, v36
	v_sub_nc_u32_e32 v36, 30, v36
	v_lshlrev_b32_e32 v26, v37, v26
	v_bfe_u32 v37, v8, 18, 5
	s_delay_alu instid0(VALU_DEP_2) | instskip(NEXT) | instid1(VALU_DEP_2)
	v_and_b32_e32 v26, 3, v26
	v_cmp_eq_u32_e32 vcc_lo, 0, v37
	v_cndmask_b32_e32 v36, v37, v36, vcc_lo
	s_delay_alu instid0(VALU_DEP_3) | instskip(SKIP_1) | instid1(VALU_DEP_3)
	v_cndmask_b32_e32 v26, v27, v26, vcc_lo
	v_and_b32_e32 v27, 0x80000000, v38
	v_lshl_add_u32 v36, v36, 23, 0x37800000
	s_delay_alu instid0(VALU_DEP_3) | instskip(NEXT) | instid1(VALU_DEP_1)
	v_lshlrev_b32_e32 v26, 21, v26
	v_or3_b32 v27, v27, v36, v26
.LBB6_15287:                            ;   in Loop: Header=BB6_15250 Depth=3
	s_or_b32 exec_lo, exec_lo, s34
	s_delay_alu instid0(VALU_DEP_1) | instskip(SKIP_2) | instid1(VALU_DEP_2)
	v_mul_f32_e32 v26, s31, v27
	v_mov_b32_e32 v132, 0x80
	s_mov_b32 s34, exec_lo
	v_and_b32_e32 v27, 0x7f800000, v26
	s_delay_alu instid0(VALU_DEP_1)
	v_cmpx_ne_u32_e32 0x7f800000, v27
	s_cbranch_execz .LBB6_15295
; %bb.15288:                            ;   in Loop: Header=BB6_15250 Depth=3
	v_mov_b32_e32 v132, 0
	s_mov_b32 s35, exec_lo
	v_cmpx_ne_u32_e32 0, v26
	s_cbranch_execz .LBB6_15294
; %bb.15289:                            ;   in Loop: Header=BB6_15250 Depth=3
	v_bfe_u32 v27, v26, 23, 8
	s_delay_alu instid0(VALU_DEP_1) | instskip(SKIP_1) | instid1(VALU_DEP_2)
	v_sub_nc_u32_e32 v37, 0x70, v27
	v_cmp_gt_u32_e32 vcc_lo, 0x71, v27
	v_dual_cndmask_b32 v37, 0, v37 :: v_dual_and_b32 v36, 0x7fffff, v26
	s_delay_alu instid0(VALU_DEP_1) | instskip(SKIP_2) | instid1(VALU_DEP_4)
	v_or_b32_e32 v38, 0x800000, v36
	v_cmp_eq_u32_e32 vcc_lo, 0, v27
	v_add_nc_u32_e32 v27, 0xffffff91, v27
	v_cndmask_b32_e64 v37, v37, 0x6f, vcc_lo
	s_delay_alu instid0(VALU_DEP_4) | instskip(NEXT) | instid1(VALU_DEP_3)
	v_cndmask_b32_e32 v36, v38, v36, vcc_lo
	v_cndmask_b32_e64 v27, v27, 0xffffff92, vcc_lo
	s_delay_alu instid0(VALU_DEP_3) | instskip(NEXT) | instid1(VALU_DEP_3)
	v_lshl_add_u32 v38, 0x200000, v37, -1
	v_lshrrev_b32_e32 v39, v37, v36
	v_lshlrev_b32_e64 v49, v37, 0x100000
	s_delay_alu instid0(VALU_DEP_4) | instskip(NEXT) | instid1(VALU_DEP_4)
	v_add_nc_u32_e32 v37, v37, v27
	v_and_b32_e32 v36, v38, v36
	s_delay_alu instid0(VALU_DEP_4) | instskip(NEXT) | instid1(VALU_DEP_2)
	v_bfe_u32 v48, v39, 21, 1
	v_cmp_eq_u32_e64 s14, v36, v49
	s_delay_alu instid0(VALU_DEP_2) | instskip(NEXT) | instid1(VALU_DEP_1)
	v_add_nc_u32_e32 v38, -1, v48
	v_cndmask_b32_e64 v36, 0, v38, s14
	v_lshrrev_b32_e32 v38, 23, v39
	s_mov_b32 s14, exec_lo
	s_delay_alu instid0(VALU_DEP_2) | instskip(NEXT) | instid1(VALU_DEP_2)
	v_add_nc_u32_e32 v36, v36, v39
	v_xor_b32_e32 v38, 1, v38
	s_delay_alu instid0(VALU_DEP_2) | instskip(NEXT) | instid1(VALU_DEP_1)
	v_and_b32_e32 v27, 0x1fffff, v36
	v_add_nc_u32_e32 v36, v27, v39
                                        ; implicit-def: $vgpr27
	s_delay_alu instid0(VALU_DEP_3)
	v_cmpx_ne_u32_e64 v37, v38
	s_xor_b32 s14, exec_lo, s14
; %bb.15290:                            ;   in Loop: Header=BB6_15250 Depth=3
	s_delay_alu instid0(VALU_DEP_2) | instskip(SKIP_2) | instid1(VALU_DEP_2)
	v_cmp_lt_u32_e32 vcc_lo, 0xffffff, v36
	v_sub_nc_u32_e32 v27, v37, v38
	v_cndmask_b32_e64 v37, 0, 1, vcc_lo
	v_add_co_ci_u32_e32 v27, vcc_lo, 0, v27, vcc_lo
	s_delay_alu instid0(VALU_DEP_2)
	v_lshrrev_b32_e32 v36, v37, v36
; %bb.15291:                            ;   in Loop: Header=BB6_15250 Depth=3
	s_and_not1_saveexec_b32 s14, s14
; %bb.15292:                            ;   in Loop: Header=BB6_15250 Depth=3
	s_delay_alu instid0(VALU_DEP_1)
	v_bfe_u32 v27, v36, 23, 1
; %bb.15293:                            ;   in Loop: Header=BB6_15250 Depth=3
	s_or_b32 exec_lo, exec_lo, s14
	v_lshrrev_b32_e32 v36, 21, v36
	s_delay_alu instid0(VALU_DEP_2) | instskip(SKIP_2) | instid1(VALU_DEP_4)
	v_cmp_gt_i32_e32 vcc_lo, 32, v27
	v_lshrrev_b32_e32 v26, 24, v26
	v_min_i32_e32 v37, 31, v27
	v_cndmask_b32_e32 v36, 3, v36, vcc_lo
	s_delay_alu instid0(VALU_DEP_3) | instskip(NEXT) | instid1(VALU_DEP_3)
	v_and_b32_e32 v26, 0x80, v26
	v_lshlrev_b32_e32 v37, 2, v37
	s_delay_alu instid0(VALU_DEP_3) | instskip(SKIP_1) | instid1(VALU_DEP_2)
	v_and_b32_e32 v38, 3, v36
	v_or_b32_e32 v27, v27, v36
	v_or3_b32 v26, v37, v26, v38
	s_delay_alu instid0(VALU_DEP_2) | instskip(NEXT) | instid1(VALU_DEP_2)
	v_cmp_ne_u32_e32 vcc_lo, 0, v27
	v_cndmask_b32_e32 v132, 0, v26, vcc_lo
.LBB6_15294:                            ;   in Loop: Header=BB6_15250 Depth=3
	s_or_b32 exec_lo, exec_lo, s35
.LBB6_15295:                            ;   in Loop: Header=BB6_15250 Depth=3
	s_delay_alu instid0(SALU_CYCLE_1) | instskip(SKIP_3) | instid1(VALU_DEP_1)
	s_or_b32 exec_lo, exec_lo, s34
	v_lshrrev_b32_e32 v26, 24, v8
	s_mov_b32 s14, 0
	s_mov_b32 s35, exec_lo
                                        ; implicit-def: $sgpr34
	v_cmpx_lt_i16_e32 0x7f, v26
	s_xor_b32 s35, exec_lo, s35
	s_cbranch_execnz .LBB6_15717
; %bb.15296:                            ;   in Loop: Header=BB6_15250 Depth=3
	s_or_saveexec_b32 s35, s35
	v_mov_b32_e32 v27, s34
	s_xor_b32 exec_lo, exec_lo, s35
	s_cbranch_execnz .LBB6_15720
.LBB6_15297:                            ;   in Loop: Header=BB6_15250 Depth=3
	s_or_b32 exec_lo, exec_lo, s35
	s_and_saveexec_b32 s34, s14
	s_cbranch_execz .LBB6_15299
.LBB6_15298:                            ;   in Loop: Header=BB6_15250 Depth=3
	v_bfe_u32 v27, v8, 24, 2
	s_delay_alu instid0(VALU_DEP_1) | instskip(NEXT) | instid1(VALU_DEP_1)
	v_clz_i32_u32_e32 v36, v27
	v_min_u32_e32 v36, 32, v36
	s_delay_alu instid0(VALU_DEP_1) | instskip(SKIP_1) | instid1(VALU_DEP_2)
	v_subrev_nc_u32_e32 v37, 29, v36
	v_sub_nc_u32_e32 v36, 30, v36
	v_lshlrev_b32_e32 v26, v37, v26
	v_bfe_u32 v37, v8, 26, 5
	v_and_b32_e32 v8, 0x80000000, v8
	s_delay_alu instid0(VALU_DEP_3) | instskip(NEXT) | instid1(VALU_DEP_3)
	v_and_b32_e32 v26, 3, v26
	v_cmp_eq_u32_e32 vcc_lo, 0, v37
	v_cndmask_b32_e32 v36, v37, v36, vcc_lo
	s_delay_alu instid0(VALU_DEP_3) | instskip(NEXT) | instid1(VALU_DEP_2)
	v_cndmask_b32_e32 v26, v27, v26, vcc_lo
	v_lshl_add_u32 v27, v36, 23, 0x37800000
	s_delay_alu instid0(VALU_DEP_2) | instskip(NEXT) | instid1(VALU_DEP_1)
	v_lshlrev_b32_e32 v26, 21, v26
	v_or3_b32 v27, v8, v27, v26
.LBB6_15299:                            ;   in Loop: Header=BB6_15250 Depth=3
	s_or_b32 exec_lo, exec_lo, s34
	s_delay_alu instid0(VALU_DEP_1) | instskip(SKIP_1) | instid1(VALU_DEP_1)
	v_dual_mul_f32 v8, s31, v27 :: v_dual_mov_b32 v151, 0x80
	s_mov_b32 s34, exec_lo
	v_and_b32_e32 v26, 0x7f800000, v8
	s_delay_alu instid0(VALU_DEP_1)
	v_cmpx_ne_u32_e32 0x7f800000, v26
	s_cbranch_execz .LBB6_15307
; %bb.15300:                            ;   in Loop: Header=BB6_15250 Depth=3
	v_mov_b32_e32 v151, 0
	s_mov_b32 s35, exec_lo
	v_cmpx_ne_u32_e32 0, v8
	s_cbranch_execz .LBB6_15306
; %bb.15301:                            ;   in Loop: Header=BB6_15250 Depth=3
	v_bfe_u32 v26, v8, 23, 8
	v_and_b32_e32 v27, 0x7fffff, v8
	s_delay_alu instid0(VALU_DEP_2) | instskip(SKIP_1) | instid1(VALU_DEP_3)
	v_sub_nc_u32_e32 v36, 0x70, v26
	v_cmp_gt_u32_e32 vcc_lo, 0x71, v26
	v_or_b32_e32 v37, 0x800000, v27
	s_delay_alu instid0(VALU_DEP_3) | instskip(SKIP_1) | instid1(VALU_DEP_3)
	v_cndmask_b32_e32 v36, 0, v36, vcc_lo
	v_cmp_eq_u32_e32 vcc_lo, 0, v26
	v_dual_cndmask_b32 v27, v37, v27 :: v_dual_add_nc_u32 v26, 0xffffff91, v26
	s_delay_alu instid0(VALU_DEP_3) | instskip(NEXT) | instid1(VALU_DEP_2)
	v_cndmask_b32_e64 v36, v36, 0x6f, vcc_lo
	v_cndmask_b32_e64 v26, v26, 0xffffff92, vcc_lo
	s_delay_alu instid0(VALU_DEP_2) | instskip(SKIP_2) | instid1(VALU_DEP_4)
	v_lshrrev_b32_e32 v38, v36, v27
	v_lshl_add_u32 v37, 0x200000, v36, -1
	v_lshlrev_b32_e64 v48, v36, 0x100000
	v_add_nc_u32_e32 v36, v36, v26
	s_delay_alu instid0(VALU_DEP_4) | instskip(NEXT) | instid1(VALU_DEP_4)
	v_bfe_u32 v39, v38, 21, 1
	v_and_b32_e32 v27, v37, v27
	s_delay_alu instid0(VALU_DEP_2) | instskip(NEXT) | instid1(VALU_DEP_2)
	v_add_nc_u32_e32 v37, -1, v39
	v_cmp_eq_u32_e64 s14, v27, v48
	s_delay_alu instid0(VALU_DEP_1) | instskip(SKIP_2) | instid1(VALU_DEP_2)
	v_cndmask_b32_e64 v27, 0, v37, s14
	v_lshrrev_b32_e32 v37, 23, v38
	s_mov_b32 s14, exec_lo
	v_add_nc_u32_e32 v27, v27, v38
	s_delay_alu instid0(VALU_DEP_2) | instskip(NEXT) | instid1(VALU_DEP_2)
	v_xor_b32_e32 v37, 1, v37
	v_and_b32_e32 v26, 0x1fffff, v27
	s_delay_alu instid0(VALU_DEP_1) | instskip(NEXT) | instid1(VALU_DEP_3)
	v_add_nc_u32_e32 v27, v26, v38
                                        ; implicit-def: $vgpr26
	v_cmpx_ne_u32_e64 v36, v37
	s_xor_b32 s14, exec_lo, s14
; %bb.15302:                            ;   in Loop: Header=BB6_15250 Depth=3
	s_delay_alu instid0(VALU_DEP_2) | instskip(SKIP_2) | instid1(VALU_DEP_2)
	v_cmp_lt_u32_e32 vcc_lo, 0xffffff, v27
	v_sub_nc_u32_e32 v26, v36, v37
	v_cndmask_b32_e64 v36, 0, 1, vcc_lo
	v_add_co_ci_u32_e32 v26, vcc_lo, 0, v26, vcc_lo
	s_delay_alu instid0(VALU_DEP_2)
	v_lshrrev_b32_e32 v27, v36, v27
; %bb.15303:                            ;   in Loop: Header=BB6_15250 Depth=3
	s_and_not1_saveexec_b32 s14, s14
; %bb.15304:                            ;   in Loop: Header=BB6_15250 Depth=3
	s_delay_alu instid0(VALU_DEP_1)
	v_bfe_u32 v26, v27, 23, 1
; %bb.15305:                            ;   in Loop: Header=BB6_15250 Depth=3
	s_or_b32 exec_lo, exec_lo, s14
	v_lshrrev_b32_e32 v27, 21, v27
	s_delay_alu instid0(VALU_DEP_2) | instskip(SKIP_2) | instid1(VALU_DEP_2)
	v_cmp_gt_i32_e32 vcc_lo, 32, v26
	v_lshrrev_b32_e32 v8, 24, v8
	v_min_i32_e32 v36, 31, v26
	v_dual_cndmask_b32 v27, 3, v27 :: v_dual_and_b32 v8, 0x80, v8
	s_delay_alu instid0(VALU_DEP_2) | instskip(NEXT) | instid1(VALU_DEP_2)
	v_lshlrev_b32_e32 v36, 2, v36
	v_and_b32_e32 v37, 3, v27
	v_or_b32_e32 v26, v26, v27
	s_delay_alu instid0(VALU_DEP_2) | instskip(NEXT) | instid1(VALU_DEP_2)
	v_or3_b32 v8, v36, v8, v37
	v_cmp_ne_u32_e32 vcc_lo, 0, v26
	s_delay_alu instid0(VALU_DEP_2)
	v_cndmask_b32_e32 v151, 0, v8, vcc_lo
.LBB6_15306:                            ;   in Loop: Header=BB6_15250 Depth=3
	s_or_b32 exec_lo, exec_lo, s35
.LBB6_15307:                            ;   in Loop: Header=BB6_15250 Depth=3
	s_delay_alu instid0(SALU_CYCLE_1) | instskip(SKIP_3) | instid1(VALU_DEP_1)
	s_or_b32 exec_lo, exec_lo, s34
	v_and_b32_e32 v26, 0xff, v9
	s_mov_b32 s14, 0
	s_mov_b32 s35, exec_lo
                                        ; implicit-def: $sgpr34
	v_cmpx_lt_i16_e32 0x7f, v26
	s_xor_b32 s35, exec_lo, s35
	s_cbranch_execnz .LBB6_15721
; %bb.15308:                            ;   in Loop: Header=BB6_15250 Depth=3
	s_or_saveexec_b32 s35, s35
	v_mov_b32_e32 v8, s34
	s_xor_b32 exec_lo, exec_lo, s35
	s_cbranch_execnz .LBB6_15724
.LBB6_15309:                            ;   in Loop: Header=BB6_15250 Depth=3
	s_or_b32 exec_lo, exec_lo, s35
	s_and_saveexec_b32 s34, s14
	s_cbranch_execz .LBB6_15311
.LBB6_15310:                            ;   in Loop: Header=BB6_15250 Depth=3
	v_and_b32_e32 v8, 3, v9
	v_bfe_u32 v36, v9, 2, 5
	s_delay_alu instid0(VALU_DEP_2) | instskip(NEXT) | instid1(VALU_DEP_2)
	v_clz_i32_u32_e32 v26, v8
	v_cmp_eq_u32_e32 vcc_lo, 0, v36
	s_delay_alu instid0(VALU_DEP_2) | instskip(NEXT) | instid1(VALU_DEP_1)
	v_min_u32_e32 v26, 32, v26
	v_subrev_nc_u32_e32 v27, 29, v26
	v_sub_nc_u32_e32 v26, 30, v26
	s_delay_alu instid0(VALU_DEP_1) | instskip(NEXT) | instid1(VALU_DEP_1)
	v_dual_cndmask_b32 v26, v36, v26 :: v_dual_lshlrev_b32 v27, v27, v9
	v_and_b32_e32 v27, 3, v27
	v_lshlrev_b32_e32 v37, 24, v9
	s_delay_alu instid0(VALU_DEP_3) | instskip(NEXT) | instid1(VALU_DEP_2)
	v_lshl_add_u32 v26, v26, 23, 0x37800000
	v_dual_cndmask_b32 v8, v8, v27 :: v_dual_and_b32 v27, 0x80000000, v37
	s_delay_alu instid0(VALU_DEP_1) | instskip(NEXT) | instid1(VALU_DEP_1)
	v_lshlrev_b32_e32 v8, 21, v8
	v_or3_b32 v8, v27, v26, v8
.LBB6_15311:                            ;   in Loop: Header=BB6_15250 Depth=3
	s_or_b32 exec_lo, exec_lo, s34
	s_delay_alu instid0(VALU_DEP_1) | instskip(SKIP_2) | instid1(VALU_DEP_2)
	v_mul_f32_e32 v8, s31, v8
	v_mov_b32_e32 v144, 0x80
	s_mov_b32 s34, exec_lo
	v_and_b32_e32 v26, 0x7f800000, v8
	s_delay_alu instid0(VALU_DEP_1)
	v_cmpx_ne_u32_e32 0x7f800000, v26
	s_cbranch_execz .LBB6_15319
; %bb.15312:                            ;   in Loop: Header=BB6_15250 Depth=3
	v_mov_b32_e32 v144, 0
	s_mov_b32 s35, exec_lo
	v_cmpx_ne_u32_e32 0, v8
	s_cbranch_execz .LBB6_15318
; %bb.15313:                            ;   in Loop: Header=BB6_15250 Depth=3
	v_bfe_u32 v26, v8, 23, 8
	v_and_b32_e32 v27, 0x7fffff, v8
	s_delay_alu instid0(VALU_DEP_2) | instskip(SKIP_1) | instid1(VALU_DEP_3)
	v_sub_nc_u32_e32 v36, 0x70, v26
	v_cmp_gt_u32_e32 vcc_lo, 0x71, v26
	v_or_b32_e32 v37, 0x800000, v27
	s_delay_alu instid0(VALU_DEP_3) | instskip(SKIP_1) | instid1(VALU_DEP_3)
	v_cndmask_b32_e32 v36, 0, v36, vcc_lo
	v_cmp_eq_u32_e32 vcc_lo, 0, v26
	v_dual_cndmask_b32 v27, v37, v27 :: v_dual_add_nc_u32 v26, 0xffffff91, v26
	s_delay_alu instid0(VALU_DEP_3) | instskip(NEXT) | instid1(VALU_DEP_2)
	v_cndmask_b32_e64 v36, v36, 0x6f, vcc_lo
	v_cndmask_b32_e64 v26, v26, 0xffffff92, vcc_lo
	s_delay_alu instid0(VALU_DEP_2) | instskip(SKIP_2) | instid1(VALU_DEP_4)
	v_lshrrev_b32_e32 v38, v36, v27
	v_lshl_add_u32 v37, 0x200000, v36, -1
	v_lshlrev_b32_e64 v48, v36, 0x100000
	v_add_nc_u32_e32 v36, v36, v26
	s_delay_alu instid0(VALU_DEP_4) | instskip(NEXT) | instid1(VALU_DEP_4)
	v_bfe_u32 v39, v38, 21, 1
	v_and_b32_e32 v27, v37, v27
	s_delay_alu instid0(VALU_DEP_2) | instskip(NEXT) | instid1(VALU_DEP_2)
	v_add_nc_u32_e32 v37, -1, v39
	v_cmp_eq_u32_e64 s14, v27, v48
	s_delay_alu instid0(VALU_DEP_1) | instskip(SKIP_2) | instid1(VALU_DEP_2)
	v_cndmask_b32_e64 v27, 0, v37, s14
	v_lshrrev_b32_e32 v37, 23, v38
	s_mov_b32 s14, exec_lo
	v_add_nc_u32_e32 v27, v27, v38
	s_delay_alu instid0(VALU_DEP_2) | instskip(NEXT) | instid1(VALU_DEP_2)
	v_xor_b32_e32 v37, 1, v37
	v_and_b32_e32 v26, 0x1fffff, v27
	s_delay_alu instid0(VALU_DEP_1) | instskip(NEXT) | instid1(VALU_DEP_3)
	v_add_nc_u32_e32 v27, v26, v38
                                        ; implicit-def: $vgpr26
	v_cmpx_ne_u32_e64 v36, v37
	s_xor_b32 s14, exec_lo, s14
; %bb.15314:                            ;   in Loop: Header=BB6_15250 Depth=3
	s_delay_alu instid0(VALU_DEP_2) | instskip(SKIP_2) | instid1(VALU_DEP_2)
	v_cmp_lt_u32_e32 vcc_lo, 0xffffff, v27
	v_sub_nc_u32_e32 v26, v36, v37
	v_cndmask_b32_e64 v36, 0, 1, vcc_lo
	v_add_co_ci_u32_e32 v26, vcc_lo, 0, v26, vcc_lo
	s_delay_alu instid0(VALU_DEP_2)
	v_lshrrev_b32_e32 v27, v36, v27
; %bb.15315:                            ;   in Loop: Header=BB6_15250 Depth=3
	s_and_not1_saveexec_b32 s14, s14
; %bb.15316:                            ;   in Loop: Header=BB6_15250 Depth=3
	s_delay_alu instid0(VALU_DEP_1)
	v_bfe_u32 v26, v27, 23, 1
; %bb.15317:                            ;   in Loop: Header=BB6_15250 Depth=3
	s_or_b32 exec_lo, exec_lo, s14
	v_lshrrev_b32_e32 v27, 21, v27
	s_delay_alu instid0(VALU_DEP_2) | instskip(SKIP_2) | instid1(VALU_DEP_2)
	v_cmp_gt_i32_e32 vcc_lo, 32, v26
	v_min_i32_e32 v36, 31, v26
	v_lshrrev_b32_e32 v8, 24, v8
	v_dual_cndmask_b32 v27, 3, v27 :: v_dual_lshlrev_b32 v36, 2, v36
	s_delay_alu instid0(VALU_DEP_2) | instskip(NEXT) | instid1(VALU_DEP_2)
	v_and_b32_e32 v8, 0x80, v8
	v_or_b32_e32 v26, v26, v27
	s_delay_alu instid0(VALU_DEP_3) | instskip(NEXT) | instid1(VALU_DEP_2)
	v_and_b32_e32 v36, 0xfc, v36
	v_cmp_ne_u32_e32 vcc_lo, 0, v26
	v_and_b32_e32 v37, 3, v27
	s_delay_alu instid0(VALU_DEP_1) | instskip(NEXT) | instid1(VALU_DEP_1)
	v_or3_b32 v8, v36, v8, v37
	v_cndmask_b32_e32 v144, 0, v8, vcc_lo
.LBB6_15318:                            ;   in Loop: Header=BB6_15250 Depth=3
	s_or_b32 exec_lo, exec_lo, s35
.LBB6_15319:                            ;   in Loop: Header=BB6_15250 Depth=3
	s_delay_alu instid0(SALU_CYCLE_1) | instskip(SKIP_3) | instid1(VALU_DEP_1)
	s_or_b32 exec_lo, exec_lo, s34
	v_lshrrev_b16 v8, 8, v9
	s_mov_b32 s14, 0
	s_mov_b32 s35, exec_lo
                                        ; implicit-def: $sgpr34
	v_cmpx_lt_i16_e32 0x7f, v8
	s_xor_b32 s35, exec_lo, s35
	s_cbranch_execnz .LBB6_15725
; %bb.15320:                            ;   in Loop: Header=BB6_15250 Depth=3
	s_or_saveexec_b32 s35, s35
	v_mov_b32_e32 v26, s34
	s_xor_b32 exec_lo, exec_lo, s35
	s_cbranch_execnz .LBB6_15728
.LBB6_15321:                            ;   in Loop: Header=BB6_15250 Depth=3
	s_or_b32 exec_lo, exec_lo, s35
	s_and_saveexec_b32 s34, s14
	s_cbranch_execz .LBB6_15323
.LBB6_15322:                            ;   in Loop: Header=BB6_15250 Depth=3
	v_and_b32_e32 v26, 0xffff, v8
	v_lshlrev_b32_e32 v8, 24, v8
	s_delay_alu instid0(VALU_DEP_2) | instskip(NEXT) | instid1(VALU_DEP_2)
	v_and_b32_e32 v27, 3, v26
	v_and_b32_e32 v8, 0x80000000, v8
	s_delay_alu instid0(VALU_DEP_2) | instskip(NEXT) | instid1(VALU_DEP_1)
	v_clz_i32_u32_e32 v36, v27
	v_min_u32_e32 v36, 32, v36
	s_delay_alu instid0(VALU_DEP_1) | instskip(SKIP_1) | instid1(VALU_DEP_2)
	v_subrev_nc_u32_e32 v37, 29, v36
	v_sub_nc_u32_e32 v36, 30, v36
	v_lshlrev_b32_e32 v37, v37, v26
	v_bfe_u32 v26, v26, 2, 5
	s_delay_alu instid0(VALU_DEP_2) | instskip(NEXT) | instid1(VALU_DEP_2)
	v_and_b32_e32 v37, 3, v37
	v_cmp_eq_u32_e32 vcc_lo, 0, v26
	s_delay_alu instid0(VALU_DEP_2) | instskip(NEXT) | instid1(VALU_DEP_1)
	v_dual_cndmask_b32 v26, v26, v36 :: v_dual_cndmask_b32 v27, v27, v37
	v_lshl_add_u32 v26, v26, 23, 0x37800000
	s_delay_alu instid0(VALU_DEP_2) | instskip(NEXT) | instid1(VALU_DEP_1)
	v_lshlrev_b32_e32 v27, 21, v27
	v_or3_b32 v26, v8, v26, v27
.LBB6_15323:                            ;   in Loop: Header=BB6_15250 Depth=3
	s_or_b32 exec_lo, exec_lo, s34
	s_delay_alu instid0(VALU_DEP_1) | instskip(SKIP_1) | instid1(VALU_DEP_1)
	v_dual_mul_f32 v8, s31, v26 :: v_dual_mov_b32 v161, 0x8000
	s_mov_b32 s34, exec_lo
	v_and_b32_e32 v26, 0x7f800000, v8
	s_delay_alu instid0(VALU_DEP_1)
	v_cmpx_ne_u32_e32 0x7f800000, v26
	s_cbranch_execz .LBB6_15331
; %bb.15324:                            ;   in Loop: Header=BB6_15250 Depth=3
	v_mov_b32_e32 v161, 0
	s_mov_b32 s35, exec_lo
	v_cmpx_ne_u32_e32 0, v8
	s_cbranch_execz .LBB6_15330
; %bb.15325:                            ;   in Loop: Header=BB6_15250 Depth=3
	v_bfe_u32 v26, v8, 23, 8
	v_and_b32_e32 v27, 0x7fffff, v8
	s_delay_alu instid0(VALU_DEP_2) | instskip(SKIP_1) | instid1(VALU_DEP_3)
	v_sub_nc_u32_e32 v36, 0x70, v26
	v_cmp_gt_u32_e32 vcc_lo, 0x71, v26
	v_or_b32_e32 v37, 0x800000, v27
	s_delay_alu instid0(VALU_DEP_3) | instskip(SKIP_1) | instid1(VALU_DEP_3)
	v_cndmask_b32_e32 v36, 0, v36, vcc_lo
	v_cmp_eq_u32_e32 vcc_lo, 0, v26
	v_dual_cndmask_b32 v27, v37, v27 :: v_dual_add_nc_u32 v26, 0xffffff91, v26
	s_delay_alu instid0(VALU_DEP_3) | instskip(NEXT) | instid1(VALU_DEP_2)
	v_cndmask_b32_e64 v36, v36, 0x6f, vcc_lo
	v_cndmask_b32_e64 v26, v26, 0xffffff92, vcc_lo
	s_delay_alu instid0(VALU_DEP_2) | instskip(SKIP_2) | instid1(VALU_DEP_4)
	v_lshrrev_b32_e32 v38, v36, v27
	v_lshl_add_u32 v37, 0x200000, v36, -1
	v_lshlrev_b32_e64 v48, v36, 0x100000
	v_add_nc_u32_e32 v36, v36, v26
	s_delay_alu instid0(VALU_DEP_4) | instskip(NEXT) | instid1(VALU_DEP_4)
	v_bfe_u32 v39, v38, 21, 1
	v_and_b32_e32 v27, v37, v27
	s_delay_alu instid0(VALU_DEP_2) | instskip(NEXT) | instid1(VALU_DEP_2)
	v_add_nc_u32_e32 v37, -1, v39
	v_cmp_eq_u32_e64 s14, v27, v48
	s_delay_alu instid0(VALU_DEP_1) | instskip(SKIP_2) | instid1(VALU_DEP_2)
	v_cndmask_b32_e64 v27, 0, v37, s14
	v_lshrrev_b32_e32 v37, 23, v38
	s_mov_b32 s14, exec_lo
	v_add_nc_u32_e32 v27, v27, v38
	s_delay_alu instid0(VALU_DEP_2) | instskip(NEXT) | instid1(VALU_DEP_2)
	v_xor_b32_e32 v37, 1, v37
	v_and_b32_e32 v26, 0x1fffff, v27
	s_delay_alu instid0(VALU_DEP_1) | instskip(NEXT) | instid1(VALU_DEP_3)
	v_add_nc_u32_e32 v27, v26, v38
                                        ; implicit-def: $vgpr26
	v_cmpx_ne_u32_e64 v36, v37
	s_xor_b32 s14, exec_lo, s14
; %bb.15326:                            ;   in Loop: Header=BB6_15250 Depth=3
	s_delay_alu instid0(VALU_DEP_2) | instskip(SKIP_2) | instid1(VALU_DEP_2)
	v_cmp_lt_u32_e32 vcc_lo, 0xffffff, v27
	v_sub_nc_u32_e32 v26, v36, v37
	v_cndmask_b32_e64 v36, 0, 1, vcc_lo
	v_add_co_ci_u32_e32 v26, vcc_lo, 0, v26, vcc_lo
	s_delay_alu instid0(VALU_DEP_2)
	v_lshrrev_b32_e32 v27, v36, v27
; %bb.15327:                            ;   in Loop: Header=BB6_15250 Depth=3
	s_and_not1_saveexec_b32 s14, s14
; %bb.15328:                            ;   in Loop: Header=BB6_15250 Depth=3
	s_delay_alu instid0(VALU_DEP_1)
	v_bfe_u32 v26, v27, 23, 1
; %bb.15329:                            ;   in Loop: Header=BB6_15250 Depth=3
	s_or_b32 exec_lo, exec_lo, s14
	v_lshrrev_b32_e32 v27, 21, v27
	s_delay_alu instid0(VALU_DEP_2) | instskip(SKIP_2) | instid1(VALU_DEP_3)
	v_min_i32_e32 v36, 31, v26
	v_cmp_gt_i32_e32 vcc_lo, 32, v26
	v_lshrrev_b32_e32 v8, 24, v8
	v_dual_cndmask_b32 v27, 3, v27 :: v_dual_lshlrev_b32 v36, 2, v36
	s_delay_alu instid0(VALU_DEP_2) | instskip(NEXT) | instid1(VALU_DEP_2)
	v_and_b32_e32 v8, 0x80, v8
	v_and_b32_e32 v36, 0xfc, v36
	s_delay_alu instid0(VALU_DEP_3) | instskip(SKIP_1) | instid1(VALU_DEP_2)
	v_and_b32_e32 v37, 3, v27
	v_or_b32_e32 v26, v26, v27
	v_or3_b32 v8, v8, v36, v37
	s_delay_alu instid0(VALU_DEP_2) | instskip(NEXT) | instid1(VALU_DEP_2)
	v_cmp_ne_u32_e32 vcc_lo, 0, v26
	v_lshlrev_b32_e32 v8, 8, v8
	s_delay_alu instid0(VALU_DEP_1)
	v_cndmask_b32_e32 v161, 0, v8, vcc_lo
.LBB6_15330:                            ;   in Loop: Header=BB6_15250 Depth=3
	s_or_b32 exec_lo, exec_lo, s35
.LBB6_15331:                            ;   in Loop: Header=BB6_15250 Depth=3
	s_delay_alu instid0(SALU_CYCLE_1) | instskip(SKIP_3) | instid1(VALU_DEP_1)
	s_or_b32 exec_lo, exec_lo, s34
	v_lshrrev_b32_e32 v8, 16, v9
	s_mov_b32 s14, 0
	s_mov_b32 s35, exec_lo
                                        ; implicit-def: $sgpr34
	v_and_b32_e32 v27, 0xff, v8
	s_delay_alu instid0(VALU_DEP_1)
	v_cmpx_lt_i16_e32 0x7f, v27
	s_xor_b32 s35, exec_lo, s35
	s_cbranch_execnz .LBB6_15729
; %bb.15332:                            ;   in Loop: Header=BB6_15250 Depth=3
	s_or_saveexec_b32 s35, s35
	v_mov_b32_e32 v26, s34
	s_xor_b32 exec_lo, exec_lo, s35
	s_cbranch_execnz .LBB6_15732
.LBB6_15333:                            ;   in Loop: Header=BB6_15250 Depth=3
	s_or_b32 exec_lo, exec_lo, s35
	s_and_saveexec_b32 s34, s14
	s_cbranch_execz .LBB6_15335
.LBB6_15334:                            ;   in Loop: Header=BB6_15250 Depth=3
	v_bfe_u32 v26, v9, 16, 2
	s_delay_alu instid0(VALU_DEP_1) | instskip(NEXT) | instid1(VALU_DEP_1)
	v_clz_i32_u32_e32 v27, v26
	v_min_u32_e32 v27, 32, v27
	s_delay_alu instid0(VALU_DEP_1) | instskip(SKIP_1) | instid1(VALU_DEP_2)
	v_subrev_nc_u32_e32 v36, 29, v27
	v_sub_nc_u32_e32 v27, 30, v27
	v_lshlrev_b32_e32 v8, v36, v8
	v_bfe_u32 v36, v9, 18, 5
	s_delay_alu instid0(VALU_DEP_1) | instskip(NEXT) | instid1(VALU_DEP_3)
	v_cmp_eq_u32_e32 vcc_lo, 0, v36
	v_dual_cndmask_b32 v27, v36, v27 :: v_dual_and_b32 v8, 3, v8
	s_delay_alu instid0(VALU_DEP_1) | instskip(NEXT) | instid1(VALU_DEP_2)
	v_dual_cndmask_b32 v8, v26, v8 :: v_dual_lshlrev_b32 v37, 8, v9
	v_lshl_add_u32 v27, v27, 23, 0x37800000
	s_delay_alu instid0(VALU_DEP_2) | instskip(NEXT) | instid1(VALU_DEP_3)
	v_and_b32_e32 v26, 0x80000000, v37
	v_lshlrev_b32_e32 v8, 21, v8
	s_delay_alu instid0(VALU_DEP_1)
	v_or3_b32 v26, v26, v27, v8
.LBB6_15335:                            ;   in Loop: Header=BB6_15250 Depth=3
	s_or_b32 exec_lo, exec_lo, s34
	s_delay_alu instid0(VALU_DEP_1) | instskip(SKIP_1) | instid1(VALU_DEP_1)
	v_dual_mul_f32 v8, s31, v26 :: v_dual_mov_b32 v129, 0x80
	s_mov_b32 s34, exec_lo
	v_and_b32_e32 v26, 0x7f800000, v8
	s_delay_alu instid0(VALU_DEP_1)
	v_cmpx_ne_u32_e32 0x7f800000, v26
	s_cbranch_execz .LBB6_15343
; %bb.15336:                            ;   in Loop: Header=BB6_15250 Depth=3
	v_mov_b32_e32 v129, 0
	s_mov_b32 s35, exec_lo
	v_cmpx_ne_u32_e32 0, v8
	s_cbranch_execz .LBB6_15342
; %bb.15337:                            ;   in Loop: Header=BB6_15250 Depth=3
	v_bfe_u32 v26, v8, 23, 8
	v_and_b32_e32 v27, 0x7fffff, v8
	s_delay_alu instid0(VALU_DEP_2) | instskip(SKIP_1) | instid1(VALU_DEP_3)
	v_sub_nc_u32_e32 v36, 0x70, v26
	v_cmp_gt_u32_e32 vcc_lo, 0x71, v26
	v_or_b32_e32 v37, 0x800000, v27
	s_delay_alu instid0(VALU_DEP_3) | instskip(SKIP_1) | instid1(VALU_DEP_3)
	v_cndmask_b32_e32 v36, 0, v36, vcc_lo
	v_cmp_eq_u32_e32 vcc_lo, 0, v26
	v_dual_cndmask_b32 v27, v37, v27 :: v_dual_add_nc_u32 v26, 0xffffff91, v26
	s_delay_alu instid0(VALU_DEP_3) | instskip(NEXT) | instid1(VALU_DEP_2)
	v_cndmask_b32_e64 v36, v36, 0x6f, vcc_lo
	v_cndmask_b32_e64 v26, v26, 0xffffff92, vcc_lo
	s_delay_alu instid0(VALU_DEP_2) | instskip(SKIP_2) | instid1(VALU_DEP_4)
	v_lshrrev_b32_e32 v38, v36, v27
	v_lshl_add_u32 v37, 0x200000, v36, -1
	v_lshlrev_b32_e64 v48, v36, 0x100000
	v_add_nc_u32_e32 v36, v36, v26
	s_delay_alu instid0(VALU_DEP_4) | instskip(NEXT) | instid1(VALU_DEP_4)
	v_bfe_u32 v39, v38, 21, 1
	v_and_b32_e32 v27, v37, v27
	s_delay_alu instid0(VALU_DEP_2) | instskip(NEXT) | instid1(VALU_DEP_2)
	v_add_nc_u32_e32 v37, -1, v39
	v_cmp_eq_u32_e64 s14, v27, v48
	s_delay_alu instid0(VALU_DEP_1) | instskip(SKIP_2) | instid1(VALU_DEP_2)
	v_cndmask_b32_e64 v27, 0, v37, s14
	v_lshrrev_b32_e32 v37, 23, v38
	s_mov_b32 s14, exec_lo
	v_add_nc_u32_e32 v27, v27, v38
	s_delay_alu instid0(VALU_DEP_2) | instskip(NEXT) | instid1(VALU_DEP_2)
	v_xor_b32_e32 v37, 1, v37
	v_and_b32_e32 v26, 0x1fffff, v27
	s_delay_alu instid0(VALU_DEP_1) | instskip(NEXT) | instid1(VALU_DEP_3)
	v_add_nc_u32_e32 v27, v26, v38
                                        ; implicit-def: $vgpr26
	v_cmpx_ne_u32_e64 v36, v37
	s_xor_b32 s14, exec_lo, s14
; %bb.15338:                            ;   in Loop: Header=BB6_15250 Depth=3
	s_delay_alu instid0(VALU_DEP_2) | instskip(SKIP_2) | instid1(VALU_DEP_2)
	v_cmp_lt_u32_e32 vcc_lo, 0xffffff, v27
	v_sub_nc_u32_e32 v26, v36, v37
	v_cndmask_b32_e64 v36, 0, 1, vcc_lo
	v_add_co_ci_u32_e32 v26, vcc_lo, 0, v26, vcc_lo
	s_delay_alu instid0(VALU_DEP_2)
	v_lshrrev_b32_e32 v27, v36, v27
; %bb.15339:                            ;   in Loop: Header=BB6_15250 Depth=3
	s_and_not1_saveexec_b32 s14, s14
; %bb.15340:                            ;   in Loop: Header=BB6_15250 Depth=3
	s_delay_alu instid0(VALU_DEP_1)
	v_bfe_u32 v26, v27, 23, 1
; %bb.15341:                            ;   in Loop: Header=BB6_15250 Depth=3
	s_or_b32 exec_lo, exec_lo, s14
	v_lshrrev_b32_e32 v27, 21, v27
	s_delay_alu instid0(VALU_DEP_2) | instskip(SKIP_2) | instid1(VALU_DEP_3)
	v_min_i32_e32 v36, 31, v26
	v_cmp_gt_i32_e32 vcc_lo, 32, v26
	v_lshrrev_b32_e32 v8, 24, v8
	v_dual_cndmask_b32 v27, 3, v27 :: v_dual_lshlrev_b32 v36, 2, v36
	s_delay_alu instid0(VALU_DEP_2) | instskip(NEXT) | instid1(VALU_DEP_2)
	v_and_b32_e32 v8, 0x80, v8
	v_and_b32_e32 v36, 0xfc, v36
	s_delay_alu instid0(VALU_DEP_3) | instskip(SKIP_1) | instid1(VALU_DEP_2)
	v_and_b32_e32 v37, 3, v27
	v_or_b32_e32 v26, v26, v27
	v_or3_b32 v8, v36, v8, v37
	s_delay_alu instid0(VALU_DEP_2) | instskip(NEXT) | instid1(VALU_DEP_2)
	v_cmp_ne_u32_e32 vcc_lo, 0, v26
	v_cndmask_b32_e32 v129, 0, v8, vcc_lo
.LBB6_15342:                            ;   in Loop: Header=BB6_15250 Depth=3
	s_or_b32 exec_lo, exec_lo, s35
.LBB6_15343:                            ;   in Loop: Header=BB6_15250 Depth=3
	s_delay_alu instid0(SALU_CYCLE_1) | instskip(SKIP_3) | instid1(VALU_DEP_1)
	s_or_b32 exec_lo, exec_lo, s34
	v_lshrrev_b32_e32 v8, 24, v9
	s_mov_b32 s14, 0
	s_mov_b32 s35, exec_lo
                                        ; implicit-def: $sgpr34
	v_cmpx_lt_i16_e32 0x7f, v8
	s_xor_b32 s35, exec_lo, s35
	s_cbranch_execnz .LBB6_15733
; %bb.15344:                            ;   in Loop: Header=BB6_15250 Depth=3
	s_or_saveexec_b32 s35, s35
	v_mov_b32_e32 v26, s34
	s_xor_b32 exec_lo, exec_lo, s35
	s_cbranch_execnz .LBB6_15736
.LBB6_15345:                            ;   in Loop: Header=BB6_15250 Depth=3
	s_or_b32 exec_lo, exec_lo, s35
	s_and_saveexec_b32 s34, s14
	s_cbranch_execz .LBB6_15347
.LBB6_15346:                            ;   in Loop: Header=BB6_15250 Depth=3
	v_bfe_u32 v26, v9, 24, 2
	s_delay_alu instid0(VALU_DEP_1) | instskip(NEXT) | instid1(VALU_DEP_1)
	v_clz_i32_u32_e32 v27, v26
	v_min_u32_e32 v27, 32, v27
	s_delay_alu instid0(VALU_DEP_1) | instskip(SKIP_1) | instid1(VALU_DEP_2)
	v_subrev_nc_u32_e32 v36, 29, v27
	v_sub_nc_u32_e32 v27, 30, v27
	v_lshlrev_b32_e32 v8, v36, v8
	v_bfe_u32 v36, v9, 26, 5
	v_and_b32_e32 v9, 0x80000000, v9
	s_delay_alu instid0(VALU_DEP_2) | instskip(NEXT) | instid1(VALU_DEP_4)
	v_cmp_eq_u32_e32 vcc_lo, 0, v36
	v_dual_cndmask_b32 v27, v36, v27 :: v_dual_and_b32 v8, 3, v8
	s_delay_alu instid0(VALU_DEP_1) | instskip(NEXT) | instid1(VALU_DEP_2)
	v_cndmask_b32_e32 v8, v26, v8, vcc_lo
	v_lshl_add_u32 v26, v27, 23, 0x37800000
	s_delay_alu instid0(VALU_DEP_2) | instskip(NEXT) | instid1(VALU_DEP_1)
	v_lshlrev_b32_e32 v8, 21, v8
	v_or3_b32 v26, v9, v26, v8
.LBB6_15347:                            ;   in Loop: Header=BB6_15250 Depth=3
	s_or_b32 exec_lo, exec_lo, s34
	s_delay_alu instid0(VALU_DEP_1) | instskip(SKIP_2) | instid1(VALU_DEP_2)
	v_mul_f32_e32 v8, s31, v26
	v_mov_b32_e32 v160, 0x8000
	s_mov_b32 s34, exec_lo
	v_and_b32_e32 v9, 0x7f800000, v8
	s_delay_alu instid0(VALU_DEP_1)
	v_cmpx_ne_u32_e32 0x7f800000, v9
	s_cbranch_execz .LBB6_15355
; %bb.15348:                            ;   in Loop: Header=BB6_15250 Depth=3
	v_mov_b32_e32 v160, 0
	s_mov_b32 s35, exec_lo
	v_cmpx_ne_u32_e32 0, v8
	s_cbranch_execz .LBB6_15354
; %bb.15349:                            ;   in Loop: Header=BB6_15250 Depth=3
	v_bfe_u32 v9, v8, 23, 8
	s_delay_alu instid0(VALU_DEP_1) | instskip(SKIP_1) | instid1(VALU_DEP_2)
	v_sub_nc_u32_e32 v27, 0x70, v9
	v_cmp_gt_u32_e32 vcc_lo, 0x71, v9
	v_dual_cndmask_b32 v27, 0, v27 :: v_dual_and_b32 v26, 0x7fffff, v8
	s_delay_alu instid0(VALU_DEP_1) | instskip(SKIP_2) | instid1(VALU_DEP_4)
	v_or_b32_e32 v36, 0x800000, v26
	v_cmp_eq_u32_e32 vcc_lo, 0, v9
	v_add_nc_u32_e32 v9, 0xffffff91, v9
	v_cndmask_b32_e64 v27, v27, 0x6f, vcc_lo
	s_delay_alu instid0(VALU_DEP_4) | instskip(NEXT) | instid1(VALU_DEP_3)
	v_cndmask_b32_e32 v26, v36, v26, vcc_lo
	v_cndmask_b32_e64 v9, v9, 0xffffff92, vcc_lo
	s_delay_alu instid0(VALU_DEP_3) | instskip(NEXT) | instid1(VALU_DEP_3)
	v_lshl_add_u32 v36, 0x200000, v27, -1
	v_lshrrev_b32_e32 v37, v27, v26
	v_lshlrev_b32_e64 v39, v27, 0x100000
	s_delay_alu instid0(VALU_DEP_4) | instskip(NEXT) | instid1(VALU_DEP_4)
	v_add_nc_u32_e32 v27, v27, v9
	v_and_b32_e32 v26, v36, v26
	s_delay_alu instid0(VALU_DEP_4) | instskip(NEXT) | instid1(VALU_DEP_2)
	v_bfe_u32 v38, v37, 21, 1
	v_cmp_eq_u32_e64 s14, v26, v39
	s_delay_alu instid0(VALU_DEP_2) | instskip(NEXT) | instid1(VALU_DEP_1)
	v_add_nc_u32_e32 v36, -1, v38
	v_cndmask_b32_e64 v26, 0, v36, s14
	v_lshrrev_b32_e32 v36, 23, v37
	s_mov_b32 s14, exec_lo
	s_delay_alu instid0(VALU_DEP_2) | instskip(NEXT) | instid1(VALU_DEP_2)
	v_add_nc_u32_e32 v26, v26, v37
	v_xor_b32_e32 v36, 1, v36
	s_delay_alu instid0(VALU_DEP_2) | instskip(NEXT) | instid1(VALU_DEP_1)
	v_and_b32_e32 v9, 0x1fffff, v26
	v_add_nc_u32_e32 v26, v9, v37
                                        ; implicit-def: $vgpr9
	s_delay_alu instid0(VALU_DEP_3)
	v_cmpx_ne_u32_e64 v27, v36
	s_xor_b32 s14, exec_lo, s14
; %bb.15350:                            ;   in Loop: Header=BB6_15250 Depth=3
	s_delay_alu instid0(VALU_DEP_2) | instskip(SKIP_2) | instid1(VALU_DEP_2)
	v_cmp_lt_u32_e32 vcc_lo, 0xffffff, v26
	v_sub_nc_u32_e32 v9, v27, v36
	v_cndmask_b32_e64 v27, 0, 1, vcc_lo
	v_add_co_ci_u32_e32 v9, vcc_lo, 0, v9, vcc_lo
	s_delay_alu instid0(VALU_DEP_2)
	v_lshrrev_b32_e32 v26, v27, v26
; %bb.15351:                            ;   in Loop: Header=BB6_15250 Depth=3
	s_and_not1_saveexec_b32 s14, s14
; %bb.15352:                            ;   in Loop: Header=BB6_15250 Depth=3
	s_delay_alu instid0(VALU_DEP_1)
	v_bfe_u32 v9, v26, 23, 1
; %bb.15353:                            ;   in Loop: Header=BB6_15250 Depth=3
	s_or_b32 exec_lo, exec_lo, s14
	v_lshrrev_b32_e32 v26, 21, v26
	s_delay_alu instid0(VALU_DEP_2) | instskip(SKIP_2) | instid1(VALU_DEP_2)
	v_cmp_gt_i32_e32 vcc_lo, 32, v9
	v_min_i32_e32 v27, 31, v9
	v_lshrrev_b32_e32 v8, 24, v8
	v_dual_cndmask_b32 v26, 3, v26 :: v_dual_lshlrev_b32 v27, 2, v27
	s_delay_alu instid0(VALU_DEP_2) | instskip(NEXT) | instid1(VALU_DEP_2)
	v_and_b32_e32 v8, 0x80, v8
	v_or_b32_e32 v9, v9, v26
	v_and_b32_e32 v36, 3, v26
	s_delay_alu instid0(VALU_DEP_2) | instskip(SKIP_1) | instid1(VALU_DEP_1)
	v_cmp_ne_u32_e32 vcc_lo, 0, v9
	v_and_b32_e32 v27, 0xfc, v27
	v_or3_b32 v8, v8, v27, v36
	s_delay_alu instid0(VALU_DEP_1) | instskip(NEXT) | instid1(VALU_DEP_1)
	v_lshlrev_b32_e32 v8, 8, v8
	v_cndmask_b32_e32 v160, 0, v8, vcc_lo
.LBB6_15354:                            ;   in Loop: Header=BB6_15250 Depth=3
	s_or_b32 exec_lo, exec_lo, s35
.LBB6_15355:                            ;   in Loop: Header=BB6_15250 Depth=3
	s_delay_alu instid0(SALU_CYCLE_1) | instskip(SKIP_3) | instid1(VALU_DEP_1)
	s_or_b32 exec_lo, exec_lo, s34
	v_and_b32_e32 v9, 0xff, v10
	s_mov_b32 s14, 0
	s_mov_b32 s35, exec_lo
                                        ; implicit-def: $sgpr34
	v_cmpx_lt_i16_e32 0x7f, v9
	s_xor_b32 s35, exec_lo, s35
	s_cbranch_execnz .LBB6_15737
; %bb.15356:                            ;   in Loop: Header=BB6_15250 Depth=3
	s_or_saveexec_b32 s35, s35
	v_mov_b32_e32 v8, s34
	s_xor_b32 exec_lo, exec_lo, s35
	s_cbranch_execnz .LBB6_15740
.LBB6_15357:                            ;   in Loop: Header=BB6_15250 Depth=3
	s_or_b32 exec_lo, exec_lo, s35
	s_and_saveexec_b32 s34, s14
	s_cbranch_execz .LBB6_15359
.LBB6_15358:                            ;   in Loop: Header=BB6_15250 Depth=3
	v_bfe_u32 v27, v10, 2, 5
	v_lshlrev_b32_e32 v36, 24, v10
	s_delay_alu instid0(VALU_DEP_2) | instskip(SKIP_1) | instid1(VALU_DEP_1)
	v_cmp_eq_u32_e32 vcc_lo, 0, v27
	v_and_b32_e32 v8, 3, v10
	v_clz_i32_u32_e32 v9, v8
	s_delay_alu instid0(VALU_DEP_1) | instskip(NEXT) | instid1(VALU_DEP_1)
	v_min_u32_e32 v9, 32, v9
	v_subrev_nc_u32_e32 v26, 29, v9
	v_sub_nc_u32_e32 v9, 30, v9
	s_delay_alu instid0(VALU_DEP_1) | instskip(NEXT) | instid1(VALU_DEP_1)
	v_dual_cndmask_b32 v9, v27, v9 :: v_dual_lshlrev_b32 v26, v26, v10
	v_and_b32_e32 v26, 3, v26
	s_delay_alu instid0(VALU_DEP_2) | instskip(NEXT) | instid1(VALU_DEP_2)
	v_lshl_add_u32 v9, v9, 23, 0x37800000
	v_cndmask_b32_e32 v8, v8, v26, vcc_lo
	v_and_b32_e32 v26, 0x80000000, v36
	s_delay_alu instid0(VALU_DEP_2) | instskip(NEXT) | instid1(VALU_DEP_1)
	v_lshlrev_b32_e32 v8, 21, v8
	v_or3_b32 v8, v26, v9, v8
.LBB6_15359:                            ;   in Loop: Header=BB6_15250 Depth=3
	s_or_b32 exec_lo, exec_lo, s34
	s_delay_alu instid0(VALU_DEP_1) | instskip(SKIP_1) | instid1(VALU_DEP_1)
	v_dual_mul_f32 v8, s31, v8 :: v_dual_mov_b32 v103, 0x80
	s_mov_b32 s34, exec_lo
	v_and_b32_e32 v9, 0x7f800000, v8
	s_delay_alu instid0(VALU_DEP_1)
	v_cmpx_ne_u32_e32 0x7f800000, v9
	s_cbranch_execz .LBB6_15367
; %bb.15360:                            ;   in Loop: Header=BB6_15250 Depth=3
	v_mov_b32_e32 v103, 0
	s_mov_b32 s35, exec_lo
	v_cmpx_ne_u32_e32 0, v8
	s_cbranch_execz .LBB6_15366
; %bb.15361:                            ;   in Loop: Header=BB6_15250 Depth=3
	v_bfe_u32 v9, v8, 23, 8
	s_delay_alu instid0(VALU_DEP_1) | instskip(SKIP_1) | instid1(VALU_DEP_2)
	v_sub_nc_u32_e32 v27, 0x70, v9
	v_cmp_gt_u32_e32 vcc_lo, 0x71, v9
	v_dual_cndmask_b32 v27, 0, v27 :: v_dual_and_b32 v26, 0x7fffff, v8
	s_delay_alu instid0(VALU_DEP_1) | instskip(SKIP_2) | instid1(VALU_DEP_4)
	v_or_b32_e32 v36, 0x800000, v26
	v_cmp_eq_u32_e32 vcc_lo, 0, v9
	v_add_nc_u32_e32 v9, 0xffffff91, v9
	v_cndmask_b32_e64 v27, v27, 0x6f, vcc_lo
	s_delay_alu instid0(VALU_DEP_4) | instskip(NEXT) | instid1(VALU_DEP_3)
	v_cndmask_b32_e32 v26, v36, v26, vcc_lo
	v_cndmask_b32_e64 v9, v9, 0xffffff92, vcc_lo
	s_delay_alu instid0(VALU_DEP_3) | instskip(NEXT) | instid1(VALU_DEP_3)
	v_lshl_add_u32 v36, 0x200000, v27, -1
	v_lshrrev_b32_e32 v37, v27, v26
	v_lshlrev_b32_e64 v39, v27, 0x100000
	s_delay_alu instid0(VALU_DEP_4) | instskip(NEXT) | instid1(VALU_DEP_4)
	v_add_nc_u32_e32 v27, v27, v9
	v_and_b32_e32 v26, v36, v26
	s_delay_alu instid0(VALU_DEP_4) | instskip(NEXT) | instid1(VALU_DEP_2)
	v_bfe_u32 v38, v37, 21, 1
	v_cmp_eq_u32_e64 s14, v26, v39
	s_delay_alu instid0(VALU_DEP_2) | instskip(NEXT) | instid1(VALU_DEP_1)
	v_add_nc_u32_e32 v36, -1, v38
	v_cndmask_b32_e64 v26, 0, v36, s14
	v_lshrrev_b32_e32 v36, 23, v37
	s_mov_b32 s14, exec_lo
	s_delay_alu instid0(VALU_DEP_2) | instskip(NEXT) | instid1(VALU_DEP_2)
	v_add_nc_u32_e32 v26, v26, v37
	v_xor_b32_e32 v36, 1, v36
	s_delay_alu instid0(VALU_DEP_2) | instskip(NEXT) | instid1(VALU_DEP_1)
	v_and_b32_e32 v9, 0x1fffff, v26
	v_add_nc_u32_e32 v26, v9, v37
                                        ; implicit-def: $vgpr9
	s_delay_alu instid0(VALU_DEP_3)
	v_cmpx_ne_u32_e64 v27, v36
	s_xor_b32 s14, exec_lo, s14
; %bb.15362:                            ;   in Loop: Header=BB6_15250 Depth=3
	s_delay_alu instid0(VALU_DEP_2) | instskip(SKIP_2) | instid1(VALU_DEP_2)
	v_cmp_lt_u32_e32 vcc_lo, 0xffffff, v26
	v_sub_nc_u32_e32 v9, v27, v36
	v_cndmask_b32_e64 v27, 0, 1, vcc_lo
	v_add_co_ci_u32_e32 v9, vcc_lo, 0, v9, vcc_lo
	s_delay_alu instid0(VALU_DEP_2)
	v_lshrrev_b32_e32 v26, v27, v26
; %bb.15363:                            ;   in Loop: Header=BB6_15250 Depth=3
	s_and_not1_saveexec_b32 s14, s14
; %bb.15364:                            ;   in Loop: Header=BB6_15250 Depth=3
	s_delay_alu instid0(VALU_DEP_1)
	v_bfe_u32 v9, v26, 23, 1
; %bb.15365:                            ;   in Loop: Header=BB6_15250 Depth=3
	s_or_b32 exec_lo, exec_lo, s14
	v_lshrrev_b32_e32 v26, 21, v26
	s_delay_alu instid0(VALU_DEP_2) | instskip(SKIP_2) | instid1(VALU_DEP_2)
	v_cmp_gt_i32_e32 vcc_lo, 32, v9
	v_min_i32_e32 v27, 31, v9
	v_lshrrev_b32_e32 v8, 24, v8
	v_dual_cndmask_b32 v26, 3, v26 :: v_dual_lshlrev_b32 v27, 2, v27
	s_delay_alu instid0(VALU_DEP_2) | instskip(NEXT) | instid1(VALU_DEP_2)
	v_and_b32_e32 v8, 0x80, v8
	v_or_b32_e32 v9, v9, v26
	s_delay_alu instid0(VALU_DEP_1) | instskip(SKIP_1) | instid1(VALU_DEP_1)
	v_cmp_ne_u32_e32 vcc_lo, 0, v9
	v_and_b32_e32 v36, 3, v26
	v_or3_b32 v8, v27, v8, v36
	s_delay_alu instid0(VALU_DEP_1)
	v_cndmask_b32_e32 v103, 0, v8, vcc_lo
.LBB6_15366:                            ;   in Loop: Header=BB6_15250 Depth=3
	s_or_b32 exec_lo, exec_lo, s35
.LBB6_15367:                            ;   in Loop: Header=BB6_15250 Depth=3
	s_delay_alu instid0(SALU_CYCLE_1) | instskip(SKIP_3) | instid1(VALU_DEP_1)
	s_or_b32 exec_lo, exec_lo, s34
	v_lshrrev_b16 v8, 8, v10
	s_mov_b32 s14, 0
	s_mov_b32 s35, exec_lo
                                        ; implicit-def: $sgpr34
	v_cmpx_lt_i16_e32 0x7f, v8
	s_xor_b32 s35, exec_lo, s35
	s_cbranch_execnz .LBB6_15741
; %bb.15368:                            ;   in Loop: Header=BB6_15250 Depth=3
	s_or_saveexec_b32 s35, s35
	v_mov_b32_e32 v9, s34
	s_xor_b32 exec_lo, exec_lo, s35
	s_cbranch_execnz .LBB6_15744
.LBB6_15369:                            ;   in Loop: Header=BB6_15250 Depth=3
	s_or_b32 exec_lo, exec_lo, s35
	s_and_saveexec_b32 s34, s14
	s_cbranch_execz .LBB6_15371
.LBB6_15370:                            ;   in Loop: Header=BB6_15250 Depth=3
	v_and_b32_e32 v9, 0xffff, v8
	v_lshlrev_b32_e32 v8, 24, v8
	s_delay_alu instid0(VALU_DEP_2) | instskip(NEXT) | instid1(VALU_DEP_2)
	v_and_b32_e32 v26, 3, v9
	v_and_b32_e32 v8, 0x80000000, v8
	s_delay_alu instid0(VALU_DEP_2) | instskip(NEXT) | instid1(VALU_DEP_1)
	v_clz_i32_u32_e32 v27, v26
	v_min_u32_e32 v27, 32, v27
	s_delay_alu instid0(VALU_DEP_1) | instskip(SKIP_1) | instid1(VALU_DEP_2)
	v_subrev_nc_u32_e32 v36, 29, v27
	v_sub_nc_u32_e32 v27, 30, v27
	v_lshlrev_b32_e32 v36, v36, v9
	v_bfe_u32 v9, v9, 2, 5
	s_delay_alu instid0(VALU_DEP_2) | instskip(NEXT) | instid1(VALU_DEP_2)
	v_and_b32_e32 v36, 3, v36
	v_cmp_eq_u32_e32 vcc_lo, 0, v9
	s_delay_alu instid0(VALU_DEP_2) | instskip(NEXT) | instid1(VALU_DEP_1)
	v_dual_cndmask_b32 v9, v9, v27 :: v_dual_cndmask_b32 v26, v26, v36
	v_lshl_add_u32 v9, v9, 23, 0x37800000
	s_delay_alu instid0(VALU_DEP_2) | instskip(NEXT) | instid1(VALU_DEP_1)
	v_lshlrev_b32_e32 v26, 21, v26
	v_or3_b32 v9, v8, v9, v26
.LBB6_15371:                            ;   in Loop: Header=BB6_15250 Depth=3
	s_or_b32 exec_lo, exec_lo, s34
	s_delay_alu instid0(VALU_DEP_1) | instskip(SKIP_1) | instid1(VALU_DEP_1)
	v_dual_mul_f32 v8, s31, v9 :: v_dual_mov_b32 v85, 0x80
	s_mov_b32 s34, exec_lo
	v_and_b32_e32 v9, 0x7f800000, v8
	s_delay_alu instid0(VALU_DEP_1)
	v_cmpx_ne_u32_e32 0x7f800000, v9
	s_cbranch_execz .LBB6_15379
; %bb.15372:                            ;   in Loop: Header=BB6_15250 Depth=3
	v_mov_b32_e32 v85, 0
	s_mov_b32 s35, exec_lo
	v_cmpx_ne_u32_e32 0, v8
	s_cbranch_execz .LBB6_15378
; %bb.15373:                            ;   in Loop: Header=BB6_15250 Depth=3
	v_bfe_u32 v9, v8, 23, 8
	s_delay_alu instid0(VALU_DEP_1) | instskip(SKIP_1) | instid1(VALU_DEP_2)
	v_sub_nc_u32_e32 v27, 0x70, v9
	v_cmp_gt_u32_e32 vcc_lo, 0x71, v9
	v_dual_cndmask_b32 v27, 0, v27 :: v_dual_and_b32 v26, 0x7fffff, v8
	s_delay_alu instid0(VALU_DEP_1) | instskip(SKIP_2) | instid1(VALU_DEP_4)
	v_or_b32_e32 v36, 0x800000, v26
	v_cmp_eq_u32_e32 vcc_lo, 0, v9
	v_add_nc_u32_e32 v9, 0xffffff91, v9
	v_cndmask_b32_e64 v27, v27, 0x6f, vcc_lo
	s_delay_alu instid0(VALU_DEP_4) | instskip(NEXT) | instid1(VALU_DEP_3)
	v_cndmask_b32_e32 v26, v36, v26, vcc_lo
	v_cndmask_b32_e64 v9, v9, 0xffffff92, vcc_lo
	s_delay_alu instid0(VALU_DEP_3) | instskip(NEXT) | instid1(VALU_DEP_3)
	v_lshl_add_u32 v36, 0x200000, v27, -1
	v_lshrrev_b32_e32 v37, v27, v26
	v_lshlrev_b32_e64 v39, v27, 0x100000
	s_delay_alu instid0(VALU_DEP_4) | instskip(NEXT) | instid1(VALU_DEP_4)
	v_add_nc_u32_e32 v27, v27, v9
	v_and_b32_e32 v26, v36, v26
	s_delay_alu instid0(VALU_DEP_4) | instskip(NEXT) | instid1(VALU_DEP_2)
	v_bfe_u32 v38, v37, 21, 1
	v_cmp_eq_u32_e64 s14, v26, v39
	s_delay_alu instid0(VALU_DEP_2) | instskip(NEXT) | instid1(VALU_DEP_1)
	v_add_nc_u32_e32 v36, -1, v38
	v_cndmask_b32_e64 v26, 0, v36, s14
	v_lshrrev_b32_e32 v36, 23, v37
	s_mov_b32 s14, exec_lo
	s_delay_alu instid0(VALU_DEP_2) | instskip(NEXT) | instid1(VALU_DEP_2)
	v_add_nc_u32_e32 v26, v26, v37
	v_xor_b32_e32 v36, 1, v36
	s_delay_alu instid0(VALU_DEP_2) | instskip(NEXT) | instid1(VALU_DEP_1)
	v_and_b32_e32 v9, 0x1fffff, v26
	v_add_nc_u32_e32 v26, v9, v37
                                        ; implicit-def: $vgpr9
	s_delay_alu instid0(VALU_DEP_3)
	v_cmpx_ne_u32_e64 v27, v36
	s_xor_b32 s14, exec_lo, s14
; %bb.15374:                            ;   in Loop: Header=BB6_15250 Depth=3
	s_delay_alu instid0(VALU_DEP_2) | instskip(SKIP_2) | instid1(VALU_DEP_2)
	v_cmp_lt_u32_e32 vcc_lo, 0xffffff, v26
	v_sub_nc_u32_e32 v9, v27, v36
	v_cndmask_b32_e64 v27, 0, 1, vcc_lo
	v_add_co_ci_u32_e32 v9, vcc_lo, 0, v9, vcc_lo
	s_delay_alu instid0(VALU_DEP_2)
	v_lshrrev_b32_e32 v26, v27, v26
; %bb.15375:                            ;   in Loop: Header=BB6_15250 Depth=3
	s_and_not1_saveexec_b32 s14, s14
; %bb.15376:                            ;   in Loop: Header=BB6_15250 Depth=3
	s_delay_alu instid0(VALU_DEP_1)
	v_bfe_u32 v9, v26, 23, 1
; %bb.15377:                            ;   in Loop: Header=BB6_15250 Depth=3
	s_or_b32 exec_lo, exec_lo, s14
	v_lshrrev_b32_e32 v26, 21, v26
	s_delay_alu instid0(VALU_DEP_2) | instskip(SKIP_2) | instid1(VALU_DEP_2)
	v_cmp_gt_i32_e32 vcc_lo, 32, v9
	v_min_i32_e32 v27, 31, v9
	v_lshrrev_b32_e32 v8, 24, v8
	v_dual_cndmask_b32 v26, 3, v26 :: v_dual_lshlrev_b32 v27, 2, v27
	s_delay_alu instid0(VALU_DEP_2) | instskip(NEXT) | instid1(VALU_DEP_2)
	v_and_b32_e32 v8, 0x80, v8
	v_or_b32_e32 v9, v9, v26
	s_delay_alu instid0(VALU_DEP_1) | instskip(SKIP_1) | instid1(VALU_DEP_1)
	v_cmp_ne_u32_e32 vcc_lo, 0, v9
	v_and_b32_e32 v36, 3, v26
	v_or3_b32 v8, v27, v8, v36
	s_delay_alu instid0(VALU_DEP_1)
	v_cndmask_b32_e32 v85, 0, v8, vcc_lo
.LBB6_15378:                            ;   in Loop: Header=BB6_15250 Depth=3
	s_or_b32 exec_lo, exec_lo, s35
.LBB6_15379:                            ;   in Loop: Header=BB6_15250 Depth=3
	s_delay_alu instid0(SALU_CYCLE_1) | instskip(SKIP_3) | instid1(VALU_DEP_1)
	s_or_b32 exec_lo, exec_lo, s34
	v_lshrrev_b32_e32 v8, 16, v10
	s_mov_b32 s14, 0
	s_mov_b32 s35, exec_lo
                                        ; implicit-def: $sgpr34
	v_and_b32_e32 v26, 0xff, v8
	s_delay_alu instid0(VALU_DEP_1)
	v_cmpx_lt_i16_e32 0x7f, v26
	s_xor_b32 s35, exec_lo, s35
	s_cbranch_execnz .LBB6_15745
; %bb.15380:                            ;   in Loop: Header=BB6_15250 Depth=3
	s_or_saveexec_b32 s35, s35
	v_mov_b32_e32 v9, s34
	s_xor_b32 exec_lo, exec_lo, s35
	s_cbranch_execnz .LBB6_15748
.LBB6_15381:                            ;   in Loop: Header=BB6_15250 Depth=3
	s_or_b32 exec_lo, exec_lo, s35
	s_and_saveexec_b32 s34, s14
	s_cbranch_execz .LBB6_15383
.LBB6_15382:                            ;   in Loop: Header=BB6_15250 Depth=3
	v_bfe_u32 v9, v10, 16, 2
	v_lshlrev_b32_e32 v36, 8, v10
	s_delay_alu instid0(VALU_DEP_2) | instskip(NEXT) | instid1(VALU_DEP_1)
	v_clz_i32_u32_e32 v26, v9
	v_min_u32_e32 v26, 32, v26
	s_delay_alu instid0(VALU_DEP_1) | instskip(SKIP_1) | instid1(VALU_DEP_2)
	v_subrev_nc_u32_e32 v27, 29, v26
	v_sub_nc_u32_e32 v26, 30, v26
	v_lshlrev_b32_e32 v8, v27, v8
	v_bfe_u32 v27, v10, 18, 5
	s_delay_alu instid0(VALU_DEP_2) | instskip(NEXT) | instid1(VALU_DEP_2)
	v_and_b32_e32 v8, 3, v8
	v_cmp_eq_u32_e32 vcc_lo, 0, v27
	v_cndmask_b32_e32 v26, v27, v26, vcc_lo
	s_delay_alu instid0(VALU_DEP_3) | instskip(SKIP_1) | instid1(VALU_DEP_3)
	v_cndmask_b32_e32 v8, v9, v8, vcc_lo
	v_and_b32_e32 v9, 0x80000000, v36
	v_lshl_add_u32 v26, v26, 23, 0x37800000
	s_delay_alu instid0(VALU_DEP_3) | instskip(NEXT) | instid1(VALU_DEP_1)
	v_lshlrev_b32_e32 v8, 21, v8
	v_or3_b32 v9, v9, v26, v8
.LBB6_15383:                            ;   in Loop: Header=BB6_15250 Depth=3
	s_or_b32 exec_lo, exec_lo, s34
	s_delay_alu instid0(VALU_DEP_1) | instskip(SKIP_2) | instid1(VALU_DEP_2)
	v_mul_f32_e32 v8, s31, v9
	v_mov_b32_e32 v84, 0x80
	s_mov_b32 s34, exec_lo
	v_and_b32_e32 v9, 0x7f800000, v8
	s_delay_alu instid0(VALU_DEP_1)
	v_cmpx_ne_u32_e32 0x7f800000, v9
	s_cbranch_execz .LBB6_15391
; %bb.15384:                            ;   in Loop: Header=BB6_15250 Depth=3
	v_mov_b32_e32 v84, 0
	s_mov_b32 s35, exec_lo
	v_cmpx_ne_u32_e32 0, v8
	s_cbranch_execz .LBB6_15390
; %bb.15385:                            ;   in Loop: Header=BB6_15250 Depth=3
	v_bfe_u32 v9, v8, 23, 8
	s_delay_alu instid0(VALU_DEP_1) | instskip(SKIP_1) | instid1(VALU_DEP_2)
	v_sub_nc_u32_e32 v27, 0x70, v9
	v_cmp_gt_u32_e32 vcc_lo, 0x71, v9
	v_dual_cndmask_b32 v27, 0, v27 :: v_dual_and_b32 v26, 0x7fffff, v8
	s_delay_alu instid0(VALU_DEP_1) | instskip(SKIP_2) | instid1(VALU_DEP_4)
	v_or_b32_e32 v36, 0x800000, v26
	v_cmp_eq_u32_e32 vcc_lo, 0, v9
	v_add_nc_u32_e32 v9, 0xffffff91, v9
	v_cndmask_b32_e64 v27, v27, 0x6f, vcc_lo
	s_delay_alu instid0(VALU_DEP_4) | instskip(NEXT) | instid1(VALU_DEP_3)
	v_cndmask_b32_e32 v26, v36, v26, vcc_lo
	v_cndmask_b32_e64 v9, v9, 0xffffff92, vcc_lo
	s_delay_alu instid0(VALU_DEP_3) | instskip(NEXT) | instid1(VALU_DEP_3)
	v_lshl_add_u32 v36, 0x200000, v27, -1
	v_lshrrev_b32_e32 v37, v27, v26
	v_lshlrev_b32_e64 v39, v27, 0x100000
	s_delay_alu instid0(VALU_DEP_4) | instskip(NEXT) | instid1(VALU_DEP_4)
	v_add_nc_u32_e32 v27, v27, v9
	v_and_b32_e32 v26, v36, v26
	s_delay_alu instid0(VALU_DEP_4) | instskip(NEXT) | instid1(VALU_DEP_2)
	v_bfe_u32 v38, v37, 21, 1
	v_cmp_eq_u32_e64 s14, v26, v39
	s_delay_alu instid0(VALU_DEP_2) | instskip(NEXT) | instid1(VALU_DEP_1)
	v_add_nc_u32_e32 v36, -1, v38
	v_cndmask_b32_e64 v26, 0, v36, s14
	v_lshrrev_b32_e32 v36, 23, v37
	s_mov_b32 s14, exec_lo
	s_delay_alu instid0(VALU_DEP_2) | instskip(NEXT) | instid1(VALU_DEP_2)
	v_add_nc_u32_e32 v26, v26, v37
	v_xor_b32_e32 v36, 1, v36
	s_delay_alu instid0(VALU_DEP_2) | instskip(NEXT) | instid1(VALU_DEP_1)
	v_and_b32_e32 v9, 0x1fffff, v26
	v_add_nc_u32_e32 v26, v9, v37
                                        ; implicit-def: $vgpr9
	s_delay_alu instid0(VALU_DEP_3)
	v_cmpx_ne_u32_e64 v27, v36
	s_xor_b32 s14, exec_lo, s14
; %bb.15386:                            ;   in Loop: Header=BB6_15250 Depth=3
	s_delay_alu instid0(VALU_DEP_2) | instskip(SKIP_2) | instid1(VALU_DEP_2)
	v_cmp_lt_u32_e32 vcc_lo, 0xffffff, v26
	v_sub_nc_u32_e32 v9, v27, v36
	v_cndmask_b32_e64 v27, 0, 1, vcc_lo
	v_add_co_ci_u32_e32 v9, vcc_lo, 0, v9, vcc_lo
	s_delay_alu instid0(VALU_DEP_2)
	v_lshrrev_b32_e32 v26, v27, v26
; %bb.15387:                            ;   in Loop: Header=BB6_15250 Depth=3
	s_and_not1_saveexec_b32 s14, s14
; %bb.15388:                            ;   in Loop: Header=BB6_15250 Depth=3
	s_delay_alu instid0(VALU_DEP_1)
	v_bfe_u32 v9, v26, 23, 1
; %bb.15389:                            ;   in Loop: Header=BB6_15250 Depth=3
	s_or_b32 exec_lo, exec_lo, s14
	v_lshrrev_b32_e32 v26, 21, v26
	s_delay_alu instid0(VALU_DEP_2) | instskip(SKIP_2) | instid1(VALU_DEP_4)
	v_cmp_gt_i32_e32 vcc_lo, 32, v9
	v_lshrrev_b32_e32 v8, 24, v8
	v_min_i32_e32 v27, 31, v9
	v_cndmask_b32_e32 v26, 3, v26, vcc_lo
	s_delay_alu instid0(VALU_DEP_3) | instskip(NEXT) | instid1(VALU_DEP_3)
	v_and_b32_e32 v8, 0x80, v8
	v_lshlrev_b32_e32 v27, 2, v27
	s_delay_alu instid0(VALU_DEP_3) | instskip(SKIP_1) | instid1(VALU_DEP_2)
	v_and_b32_e32 v36, 3, v26
	v_or_b32_e32 v9, v9, v26
	v_or3_b32 v8, v27, v8, v36
	s_delay_alu instid0(VALU_DEP_2) | instskip(NEXT) | instid1(VALU_DEP_2)
	v_cmp_ne_u32_e32 vcc_lo, 0, v9
	v_cndmask_b32_e32 v84, 0, v8, vcc_lo
.LBB6_15390:                            ;   in Loop: Header=BB6_15250 Depth=3
	s_or_b32 exec_lo, exec_lo, s35
.LBB6_15391:                            ;   in Loop: Header=BB6_15250 Depth=3
	s_delay_alu instid0(SALU_CYCLE_1) | instskip(SKIP_3) | instid1(VALU_DEP_1)
	s_or_b32 exec_lo, exec_lo, s34
	v_lshrrev_b32_e32 v8, 24, v10
	s_mov_b32 s14, 0
	s_mov_b32 s35, exec_lo
                                        ; implicit-def: $sgpr34
	v_cmpx_lt_i16_e32 0x7f, v8
	s_xor_b32 s35, exec_lo, s35
	s_cbranch_execnz .LBB6_15749
; %bb.15392:                            ;   in Loop: Header=BB6_15250 Depth=3
	s_or_saveexec_b32 s35, s35
	v_mov_b32_e32 v9, s34
	s_xor_b32 exec_lo, exec_lo, s35
	s_cbranch_execnz .LBB6_15752
.LBB6_15393:                            ;   in Loop: Header=BB6_15250 Depth=3
	s_or_b32 exec_lo, exec_lo, s35
	s_and_saveexec_b32 s34, s14
	s_cbranch_execz .LBB6_15395
.LBB6_15394:                            ;   in Loop: Header=BB6_15250 Depth=3
	v_bfe_u32 v9, v10, 24, 2
	s_delay_alu instid0(VALU_DEP_1) | instskip(NEXT) | instid1(VALU_DEP_1)
	v_clz_i32_u32_e32 v26, v9
	v_min_u32_e32 v26, 32, v26
	s_delay_alu instid0(VALU_DEP_1) | instskip(SKIP_1) | instid1(VALU_DEP_2)
	v_subrev_nc_u32_e32 v27, 29, v26
	v_sub_nc_u32_e32 v26, 30, v26
	v_lshlrev_b32_e32 v8, v27, v8
	v_bfe_u32 v27, v10, 26, 5
	s_delay_alu instid0(VALU_DEP_2) | instskip(NEXT) | instid1(VALU_DEP_2)
	v_and_b32_e32 v8, 3, v8
	v_cmp_eq_u32_e32 vcc_lo, 0, v27
	v_cndmask_b32_e32 v26, v27, v26, vcc_lo
	s_delay_alu instid0(VALU_DEP_3) | instskip(NEXT) | instid1(VALU_DEP_2)
	v_dual_cndmask_b32 v8, v9, v8 :: v_dual_and_b32 v9, 0x80000000, v10
	v_lshl_add_u32 v10, v26, 23, 0x37800000
	s_delay_alu instid0(VALU_DEP_2) | instskip(NEXT) | instid1(VALU_DEP_1)
	v_lshlrev_b32_e32 v8, 21, v8
	v_or3_b32 v9, v9, v10, v8
.LBB6_15395:                            ;   in Loop: Header=BB6_15250 Depth=3
	s_or_b32 exec_lo, exec_lo, s34
	s_delay_alu instid0(VALU_DEP_1) | instskip(SKIP_1) | instid1(VALU_DEP_1)
	v_dual_mul_f32 v8, s31, v9 :: v_dual_mov_b32 v81, 0x80
	s_mov_b32 s34, exec_lo
	v_and_b32_e32 v9, 0x7f800000, v8
	s_delay_alu instid0(VALU_DEP_1)
	v_cmpx_ne_u32_e32 0x7f800000, v9
	s_cbranch_execz .LBB6_15403
; %bb.15396:                            ;   in Loop: Header=BB6_15250 Depth=3
	v_mov_b32_e32 v81, 0
	s_mov_b32 s35, exec_lo
	v_cmpx_ne_u32_e32 0, v8
	s_cbranch_execz .LBB6_15402
; %bb.15397:                            ;   in Loop: Header=BB6_15250 Depth=3
	v_bfe_u32 v9, v8, 23, 8
	v_and_b32_e32 v10, 0x7fffff, v8
	s_delay_alu instid0(VALU_DEP_2) | instskip(SKIP_1) | instid1(VALU_DEP_3)
	v_sub_nc_u32_e32 v26, 0x70, v9
	v_cmp_gt_u32_e32 vcc_lo, 0x71, v9
	v_or_b32_e32 v27, 0x800000, v10
	s_delay_alu instid0(VALU_DEP_3) | instskip(SKIP_2) | instid1(VALU_DEP_3)
	v_cndmask_b32_e32 v26, 0, v26, vcc_lo
	v_cmp_eq_u32_e32 vcc_lo, 0, v9
	v_add_nc_u32_e32 v9, 0xffffff91, v9
	v_cndmask_b32_e64 v26, v26, 0x6f, vcc_lo
	v_cndmask_b32_e32 v10, v27, v10, vcc_lo
	s_delay_alu instid0(VALU_DEP_3) | instskip(NEXT) | instid1(VALU_DEP_3)
	v_cndmask_b32_e64 v9, v9, 0xffffff92, vcc_lo
	v_lshl_add_u32 v27, 0x200000, v26, -1
	s_delay_alu instid0(VALU_DEP_3) | instskip(SKIP_1) | instid1(VALU_DEP_4)
	v_lshrrev_b32_e32 v36, v26, v10
	v_lshlrev_b32_e64 v38, v26, 0x100000
	v_add_nc_u32_e32 v26, v26, v9
	s_delay_alu instid0(VALU_DEP_4) | instskip(NEXT) | instid1(VALU_DEP_4)
	v_and_b32_e32 v10, v27, v10
	v_bfe_u32 v37, v36, 21, 1
	s_delay_alu instid0(VALU_DEP_2) | instskip(NEXT) | instid1(VALU_DEP_2)
	v_cmp_eq_u32_e64 s14, v10, v38
	v_add_nc_u32_e32 v27, -1, v37
	s_delay_alu instid0(VALU_DEP_1) | instskip(SKIP_2) | instid1(VALU_DEP_2)
	v_cndmask_b32_e64 v10, 0, v27, s14
	v_lshrrev_b32_e32 v27, 23, v36
	s_mov_b32 s14, exec_lo
	v_add_nc_u32_e32 v10, v10, v36
	s_delay_alu instid0(VALU_DEP_2) | instskip(NEXT) | instid1(VALU_DEP_2)
	v_xor_b32_e32 v27, 1, v27
	v_and_b32_e32 v9, 0x1fffff, v10
	s_delay_alu instid0(VALU_DEP_1) | instskip(NEXT) | instid1(VALU_DEP_3)
	v_add_nc_u32_e32 v10, v9, v36
                                        ; implicit-def: $vgpr9
	v_cmpx_ne_u32_e64 v26, v27
	s_xor_b32 s14, exec_lo, s14
; %bb.15398:                            ;   in Loop: Header=BB6_15250 Depth=3
	s_delay_alu instid0(VALU_DEP_2) | instskip(SKIP_2) | instid1(VALU_DEP_2)
	v_cmp_lt_u32_e32 vcc_lo, 0xffffff, v10
	v_sub_nc_u32_e32 v9, v26, v27
	v_cndmask_b32_e64 v26, 0, 1, vcc_lo
	v_add_co_ci_u32_e32 v9, vcc_lo, 0, v9, vcc_lo
	s_delay_alu instid0(VALU_DEP_2)
	v_lshrrev_b32_e32 v10, v26, v10
; %bb.15399:                            ;   in Loop: Header=BB6_15250 Depth=3
	s_and_not1_saveexec_b32 s14, s14
; %bb.15400:                            ;   in Loop: Header=BB6_15250 Depth=3
	s_delay_alu instid0(VALU_DEP_1)
	v_bfe_u32 v9, v10, 23, 1
; %bb.15401:                            ;   in Loop: Header=BB6_15250 Depth=3
	s_or_b32 exec_lo, exec_lo, s14
	v_lshrrev_b32_e32 v10, 21, v10
	s_delay_alu instid0(VALU_DEP_2) | instskip(SKIP_2) | instid1(VALU_DEP_4)
	v_cmp_gt_i32_e32 vcc_lo, 32, v9
	v_lshrrev_b32_e32 v8, 24, v8
	v_min_i32_e32 v26, 31, v9
	v_cndmask_b32_e32 v10, 3, v10, vcc_lo
	s_delay_alu instid0(VALU_DEP_3) | instskip(NEXT) | instid1(VALU_DEP_3)
	v_and_b32_e32 v8, 0x80, v8
	v_lshlrev_b32_e32 v26, 2, v26
	s_delay_alu instid0(VALU_DEP_3) | instskip(SKIP_1) | instid1(VALU_DEP_2)
	v_and_b32_e32 v27, 3, v10
	v_or_b32_e32 v9, v9, v10
	v_or3_b32 v8, v26, v8, v27
	s_delay_alu instid0(VALU_DEP_2) | instskip(NEXT) | instid1(VALU_DEP_2)
	v_cmp_ne_u32_e32 vcc_lo, 0, v9
	v_cndmask_b32_e32 v81, 0, v8, vcc_lo
.LBB6_15402:                            ;   in Loop: Header=BB6_15250 Depth=3
	s_or_b32 exec_lo, exec_lo, s35
.LBB6_15403:                            ;   in Loop: Header=BB6_15250 Depth=3
	s_delay_alu instid0(SALU_CYCLE_1) | instskip(SKIP_3) | instid1(VALU_DEP_1)
	s_or_b32 exec_lo, exec_lo, s34
	v_and_b32_e32 v9, 0xff, v11
	s_mov_b32 s14, 0
	s_mov_b32 s35, exec_lo
                                        ; implicit-def: $sgpr34
	v_cmpx_lt_i16_e32 0x7f, v9
	s_xor_b32 s35, exec_lo, s35
	s_cbranch_execnz .LBB6_15753
; %bb.15404:                            ;   in Loop: Header=BB6_15250 Depth=3
	s_or_saveexec_b32 s35, s35
	v_mov_b32_e32 v8, s34
	s_xor_b32 exec_lo, exec_lo, s35
	s_cbranch_execnz .LBB6_15756
.LBB6_15405:                            ;   in Loop: Header=BB6_15250 Depth=3
	s_or_b32 exec_lo, exec_lo, s35
	s_and_saveexec_b32 s34, s14
	s_cbranch_execz .LBB6_15407
.LBB6_15406:                            ;   in Loop: Header=BB6_15250 Depth=3
	v_bfe_u32 v26, v11, 2, 5
	s_delay_alu instid0(VALU_DEP_1) | instskip(SKIP_1) | instid1(VALU_DEP_1)
	v_cmp_eq_u32_e32 vcc_lo, 0, v26
	v_and_b32_e32 v8, 3, v11
	v_clz_i32_u32_e32 v9, v8
	s_delay_alu instid0(VALU_DEP_1) | instskip(NEXT) | instid1(VALU_DEP_1)
	v_min_u32_e32 v9, 32, v9
	v_subrev_nc_u32_e32 v10, 29, v9
	v_sub_nc_u32_e32 v9, 30, v9
	s_delay_alu instid0(VALU_DEP_2) | instskip(NEXT) | instid1(VALU_DEP_1)
	v_lshlrev_b32_e32 v10, v10, v11
	v_dual_cndmask_b32 v9, v26, v9 :: v_dual_and_b32 v10, 3, v10
	v_lshlrev_b32_e32 v27, 24, v11
	s_delay_alu instid0(VALU_DEP_2) | instskip(NEXT) | instid1(VALU_DEP_3)
	v_lshl_add_u32 v9, v9, 23, 0x37800000
	v_cndmask_b32_e32 v8, v8, v10, vcc_lo
	s_delay_alu instid0(VALU_DEP_3) | instskip(NEXT) | instid1(VALU_DEP_2)
	v_and_b32_e32 v10, 0x80000000, v27
	v_lshlrev_b32_e32 v8, 21, v8
	s_delay_alu instid0(VALU_DEP_1)
	v_or3_b32 v8, v10, v9, v8
.LBB6_15407:                            ;   in Loop: Header=BB6_15250 Depth=3
	s_or_b32 exec_lo, exec_lo, s34
	s_delay_alu instid0(VALU_DEP_1) | instskip(SKIP_2) | instid1(VALU_DEP_2)
	v_mul_f32_e32 v8, s31, v8
	v_mov_b32_e32 v80, 0x80
	s_mov_b32 s34, exec_lo
	v_and_b32_e32 v9, 0x7f800000, v8
	s_delay_alu instid0(VALU_DEP_1)
	v_cmpx_ne_u32_e32 0x7f800000, v9
	s_cbranch_execz .LBB6_15415
; %bb.15408:                            ;   in Loop: Header=BB6_15250 Depth=3
	v_mov_b32_e32 v80, 0
	s_mov_b32 s35, exec_lo
	v_cmpx_ne_u32_e32 0, v8
	s_cbranch_execz .LBB6_15414
; %bb.15409:                            ;   in Loop: Header=BB6_15250 Depth=3
	v_bfe_u32 v9, v8, 23, 8
	v_and_b32_e32 v10, 0x7fffff, v8
	s_delay_alu instid0(VALU_DEP_2) | instskip(SKIP_1) | instid1(VALU_DEP_3)
	v_sub_nc_u32_e32 v26, 0x70, v9
	v_cmp_gt_u32_e32 vcc_lo, 0x71, v9
	v_or_b32_e32 v27, 0x800000, v10
	s_delay_alu instid0(VALU_DEP_3) | instskip(SKIP_2) | instid1(VALU_DEP_3)
	v_cndmask_b32_e32 v26, 0, v26, vcc_lo
	v_cmp_eq_u32_e32 vcc_lo, 0, v9
	v_add_nc_u32_e32 v9, 0xffffff91, v9
	v_cndmask_b32_e64 v26, v26, 0x6f, vcc_lo
	v_cndmask_b32_e32 v10, v27, v10, vcc_lo
	s_delay_alu instid0(VALU_DEP_3) | instskip(NEXT) | instid1(VALU_DEP_3)
	v_cndmask_b32_e64 v9, v9, 0xffffff92, vcc_lo
	v_lshl_add_u32 v27, 0x200000, v26, -1
	s_delay_alu instid0(VALU_DEP_3) | instskip(SKIP_1) | instid1(VALU_DEP_4)
	v_lshrrev_b32_e32 v36, v26, v10
	v_lshlrev_b32_e64 v38, v26, 0x100000
	v_add_nc_u32_e32 v26, v26, v9
	s_delay_alu instid0(VALU_DEP_4) | instskip(NEXT) | instid1(VALU_DEP_4)
	v_and_b32_e32 v10, v27, v10
	v_bfe_u32 v37, v36, 21, 1
	s_delay_alu instid0(VALU_DEP_2) | instskip(NEXT) | instid1(VALU_DEP_2)
	v_cmp_eq_u32_e64 s14, v10, v38
	v_add_nc_u32_e32 v27, -1, v37
	s_delay_alu instid0(VALU_DEP_1) | instskip(SKIP_2) | instid1(VALU_DEP_2)
	v_cndmask_b32_e64 v10, 0, v27, s14
	v_lshrrev_b32_e32 v27, 23, v36
	s_mov_b32 s14, exec_lo
	v_add_nc_u32_e32 v10, v10, v36
	s_delay_alu instid0(VALU_DEP_2) | instskip(NEXT) | instid1(VALU_DEP_2)
	v_xor_b32_e32 v27, 1, v27
	v_and_b32_e32 v9, 0x1fffff, v10
	s_delay_alu instid0(VALU_DEP_1) | instskip(NEXT) | instid1(VALU_DEP_3)
	v_add_nc_u32_e32 v10, v9, v36
                                        ; implicit-def: $vgpr9
	v_cmpx_ne_u32_e64 v26, v27
	s_xor_b32 s14, exec_lo, s14
; %bb.15410:                            ;   in Loop: Header=BB6_15250 Depth=3
	s_delay_alu instid0(VALU_DEP_2) | instskip(SKIP_2) | instid1(VALU_DEP_2)
	v_cmp_lt_u32_e32 vcc_lo, 0xffffff, v10
	v_sub_nc_u32_e32 v9, v26, v27
	v_cndmask_b32_e64 v26, 0, 1, vcc_lo
	v_add_co_ci_u32_e32 v9, vcc_lo, 0, v9, vcc_lo
	s_delay_alu instid0(VALU_DEP_2)
	v_lshrrev_b32_e32 v10, v26, v10
; %bb.15411:                            ;   in Loop: Header=BB6_15250 Depth=3
	s_and_not1_saveexec_b32 s14, s14
; %bb.15412:                            ;   in Loop: Header=BB6_15250 Depth=3
	s_delay_alu instid0(VALU_DEP_1)
	v_bfe_u32 v9, v10, 23, 1
; %bb.15413:                            ;   in Loop: Header=BB6_15250 Depth=3
	s_or_b32 exec_lo, exec_lo, s14
	v_lshrrev_b32_e32 v10, 21, v10
	s_delay_alu instid0(VALU_DEP_2) | instskip(SKIP_2) | instid1(VALU_DEP_4)
	v_cmp_gt_i32_e32 vcc_lo, 32, v9
	v_min_i32_e32 v26, 31, v9
	v_lshrrev_b32_e32 v8, 24, v8
	v_cndmask_b32_e32 v10, 3, v10, vcc_lo
	s_delay_alu instid0(VALU_DEP_3) | instskip(NEXT) | instid1(VALU_DEP_3)
	v_lshlrev_b32_e32 v26, 2, v26
	v_and_b32_e32 v8, 0x80, v8
	s_delay_alu instid0(VALU_DEP_3) | instskip(NEXT) | instid1(VALU_DEP_3)
	v_or_b32_e32 v9, v9, v10
	v_and_b32_e32 v26, 0xfc, v26
	s_delay_alu instid0(VALU_DEP_2) | instskip(SKIP_1) | instid1(VALU_DEP_1)
	v_cmp_ne_u32_e32 vcc_lo, 0, v9
	v_and_b32_e32 v27, 3, v10
	v_or3_b32 v8, v26, v8, v27
	s_delay_alu instid0(VALU_DEP_1)
	v_cndmask_b32_e32 v80, 0, v8, vcc_lo
.LBB6_15414:                            ;   in Loop: Header=BB6_15250 Depth=3
	s_or_b32 exec_lo, exec_lo, s35
.LBB6_15415:                            ;   in Loop: Header=BB6_15250 Depth=3
	s_delay_alu instid0(SALU_CYCLE_1) | instskip(SKIP_3) | instid1(VALU_DEP_1)
	s_or_b32 exec_lo, exec_lo, s34
	v_lshrrev_b16 v8, 8, v11
	s_mov_b32 s14, 0
	s_mov_b32 s35, exec_lo
                                        ; implicit-def: $sgpr34
	v_cmpx_lt_i16_e32 0x7f, v8
	s_xor_b32 s35, exec_lo, s35
	s_cbranch_execnz .LBB6_15757
; %bb.15416:                            ;   in Loop: Header=BB6_15250 Depth=3
	s_or_saveexec_b32 s35, s35
	v_mov_b32_e32 v9, s34
	s_xor_b32 exec_lo, exec_lo, s35
	s_cbranch_execnz .LBB6_15760
.LBB6_15417:                            ;   in Loop: Header=BB6_15250 Depth=3
	s_or_b32 exec_lo, exec_lo, s35
	s_and_saveexec_b32 s34, s14
	s_cbranch_execz .LBB6_15419
.LBB6_15418:                            ;   in Loop: Header=BB6_15250 Depth=3
	v_and_b32_e32 v9, 0xffff, v8
	v_lshlrev_b32_e32 v8, 24, v8
	s_delay_alu instid0(VALU_DEP_2) | instskip(NEXT) | instid1(VALU_DEP_2)
	v_and_b32_e32 v10, 3, v9
	v_and_b32_e32 v8, 0x80000000, v8
	s_delay_alu instid0(VALU_DEP_2) | instskip(NEXT) | instid1(VALU_DEP_1)
	v_clz_i32_u32_e32 v26, v10
	v_min_u32_e32 v26, 32, v26
	s_delay_alu instid0(VALU_DEP_1) | instskip(SKIP_1) | instid1(VALU_DEP_2)
	v_subrev_nc_u32_e32 v27, 29, v26
	v_sub_nc_u32_e32 v26, 30, v26
	v_lshlrev_b32_e32 v27, v27, v9
	v_bfe_u32 v9, v9, 2, 5
	s_delay_alu instid0(VALU_DEP_2) | instskip(NEXT) | instid1(VALU_DEP_2)
	v_and_b32_e32 v27, 3, v27
	v_cmp_eq_u32_e32 vcc_lo, 0, v9
	s_delay_alu instid0(VALU_DEP_2) | instskip(NEXT) | instid1(VALU_DEP_1)
	v_dual_cndmask_b32 v9, v9, v26 :: v_dual_cndmask_b32 v10, v10, v27
	v_lshl_add_u32 v9, v9, 23, 0x37800000
	s_delay_alu instid0(VALU_DEP_2) | instskip(NEXT) | instid1(VALU_DEP_1)
	v_lshlrev_b32_e32 v10, 21, v10
	v_or3_b32 v9, v8, v9, v10
.LBB6_15419:                            ;   in Loop: Header=BB6_15250 Depth=3
	s_or_b32 exec_lo, exec_lo, s34
	s_delay_alu instid0(VALU_DEP_1) | instskip(SKIP_2) | instid1(VALU_DEP_2)
	v_mul_f32_e32 v8, s31, v9
	v_mov_b32_e32 v96, 0x8000
	s_mov_b32 s34, exec_lo
	v_and_b32_e32 v9, 0x7f800000, v8
	s_delay_alu instid0(VALU_DEP_1)
	v_cmpx_ne_u32_e32 0x7f800000, v9
	s_cbranch_execz .LBB6_15427
; %bb.15420:                            ;   in Loop: Header=BB6_15250 Depth=3
	v_mov_b32_e32 v96, 0
	s_mov_b32 s35, exec_lo
	v_cmpx_ne_u32_e32 0, v8
	s_cbranch_execz .LBB6_15426
; %bb.15421:                            ;   in Loop: Header=BB6_15250 Depth=3
	v_bfe_u32 v9, v8, 23, 8
	v_and_b32_e32 v10, 0x7fffff, v8
	s_delay_alu instid0(VALU_DEP_2) | instskip(SKIP_1) | instid1(VALU_DEP_3)
	v_sub_nc_u32_e32 v26, 0x70, v9
	v_cmp_gt_u32_e32 vcc_lo, 0x71, v9
	v_or_b32_e32 v27, 0x800000, v10
	s_delay_alu instid0(VALU_DEP_3) | instskip(SKIP_2) | instid1(VALU_DEP_3)
	v_cndmask_b32_e32 v26, 0, v26, vcc_lo
	v_cmp_eq_u32_e32 vcc_lo, 0, v9
	v_add_nc_u32_e32 v9, 0xffffff91, v9
	v_cndmask_b32_e64 v26, v26, 0x6f, vcc_lo
	v_cndmask_b32_e32 v10, v27, v10, vcc_lo
	s_delay_alu instid0(VALU_DEP_3) | instskip(NEXT) | instid1(VALU_DEP_3)
	v_cndmask_b32_e64 v9, v9, 0xffffff92, vcc_lo
	v_lshl_add_u32 v27, 0x200000, v26, -1
	s_delay_alu instid0(VALU_DEP_3) | instskip(SKIP_1) | instid1(VALU_DEP_4)
	v_lshrrev_b32_e32 v36, v26, v10
	v_lshlrev_b32_e64 v38, v26, 0x100000
	v_add_nc_u32_e32 v26, v26, v9
	s_delay_alu instid0(VALU_DEP_4) | instskip(NEXT) | instid1(VALU_DEP_4)
	v_and_b32_e32 v10, v27, v10
	v_bfe_u32 v37, v36, 21, 1
	s_delay_alu instid0(VALU_DEP_2) | instskip(NEXT) | instid1(VALU_DEP_2)
	v_cmp_eq_u32_e64 s14, v10, v38
	v_add_nc_u32_e32 v27, -1, v37
	s_delay_alu instid0(VALU_DEP_1) | instskip(SKIP_2) | instid1(VALU_DEP_2)
	v_cndmask_b32_e64 v10, 0, v27, s14
	v_lshrrev_b32_e32 v27, 23, v36
	s_mov_b32 s14, exec_lo
	v_add_nc_u32_e32 v10, v10, v36
	s_delay_alu instid0(VALU_DEP_2) | instskip(NEXT) | instid1(VALU_DEP_2)
	v_xor_b32_e32 v27, 1, v27
	v_and_b32_e32 v9, 0x1fffff, v10
	s_delay_alu instid0(VALU_DEP_1) | instskip(NEXT) | instid1(VALU_DEP_3)
	v_add_nc_u32_e32 v10, v9, v36
                                        ; implicit-def: $vgpr9
	v_cmpx_ne_u32_e64 v26, v27
	s_xor_b32 s14, exec_lo, s14
; %bb.15422:                            ;   in Loop: Header=BB6_15250 Depth=3
	s_delay_alu instid0(VALU_DEP_2) | instskip(SKIP_2) | instid1(VALU_DEP_2)
	v_cmp_lt_u32_e32 vcc_lo, 0xffffff, v10
	v_sub_nc_u32_e32 v9, v26, v27
	v_cndmask_b32_e64 v26, 0, 1, vcc_lo
	v_add_co_ci_u32_e32 v9, vcc_lo, 0, v9, vcc_lo
	s_delay_alu instid0(VALU_DEP_2)
	v_lshrrev_b32_e32 v10, v26, v10
; %bb.15423:                            ;   in Loop: Header=BB6_15250 Depth=3
	s_and_not1_saveexec_b32 s14, s14
; %bb.15424:                            ;   in Loop: Header=BB6_15250 Depth=3
	s_delay_alu instid0(VALU_DEP_1)
	v_bfe_u32 v9, v10, 23, 1
; %bb.15425:                            ;   in Loop: Header=BB6_15250 Depth=3
	s_or_b32 exec_lo, exec_lo, s14
	v_lshrrev_b32_e32 v10, 21, v10
	s_delay_alu instid0(VALU_DEP_2) | instskip(SKIP_2) | instid1(VALU_DEP_4)
	v_cmp_gt_i32_e32 vcc_lo, 32, v9
	v_min_i32_e32 v26, 31, v9
	v_lshrrev_b32_e32 v8, 24, v8
	v_cndmask_b32_e32 v10, 3, v10, vcc_lo
	s_delay_alu instid0(VALU_DEP_3) | instskip(NEXT) | instid1(VALU_DEP_3)
	v_lshlrev_b32_e32 v26, 2, v26
	v_and_b32_e32 v8, 0x80, v8
	s_delay_alu instid0(VALU_DEP_3) | instskip(NEXT) | instid1(VALU_DEP_3)
	v_or_b32_e32 v9, v9, v10
	v_and_b32_e32 v26, 0xfc, v26
	s_delay_alu instid0(VALU_DEP_2) | instskip(SKIP_1) | instid1(VALU_DEP_1)
	v_cmp_ne_u32_e32 vcc_lo, 0, v9
	v_and_b32_e32 v27, 3, v10
	v_or3_b32 v8, v8, v26, v27
	s_delay_alu instid0(VALU_DEP_1) | instskip(NEXT) | instid1(VALU_DEP_1)
	v_lshlrev_b32_e32 v8, 8, v8
	v_cndmask_b32_e32 v96, 0, v8, vcc_lo
.LBB6_15426:                            ;   in Loop: Header=BB6_15250 Depth=3
	s_or_b32 exec_lo, exec_lo, s35
.LBB6_15427:                            ;   in Loop: Header=BB6_15250 Depth=3
	s_delay_alu instid0(SALU_CYCLE_1) | instskip(SKIP_3) | instid1(VALU_DEP_1)
	s_or_b32 exec_lo, exec_lo, s34
	v_lshrrev_b32_e32 v8, 16, v11
	s_mov_b32 s14, 0
	s_mov_b32 s35, exec_lo
                                        ; implicit-def: $sgpr34
	v_and_b32_e32 v10, 0xff, v8
	s_delay_alu instid0(VALU_DEP_1)
	v_cmpx_lt_i16_e32 0x7f, v10
	s_xor_b32 s35, exec_lo, s35
	s_cbranch_execnz .LBB6_15761
; %bb.15428:                            ;   in Loop: Header=BB6_15250 Depth=3
	s_or_saveexec_b32 s35, s35
	v_mov_b32_e32 v9, s34
	s_xor_b32 exec_lo, exec_lo, s35
	s_cbranch_execnz .LBB6_15764
.LBB6_15429:                            ;   in Loop: Header=BB6_15250 Depth=3
	s_or_b32 exec_lo, exec_lo, s35
	s_and_saveexec_b32 s34, s14
	s_cbranch_execz .LBB6_15431
.LBB6_15430:                            ;   in Loop: Header=BB6_15250 Depth=3
	v_bfe_u32 v9, v11, 16, 2
	s_delay_alu instid0(VALU_DEP_1) | instskip(NEXT) | instid1(VALU_DEP_1)
	v_clz_i32_u32_e32 v10, v9
	v_min_u32_e32 v10, 32, v10
	s_delay_alu instid0(VALU_DEP_1) | instskip(SKIP_1) | instid1(VALU_DEP_2)
	v_subrev_nc_u32_e32 v26, 29, v10
	v_sub_nc_u32_e32 v10, 30, v10
	v_lshlrev_b32_e32 v8, v26, v8
	v_bfe_u32 v26, v11, 18, 5
	s_delay_alu instid0(VALU_DEP_2) | instskip(NEXT) | instid1(VALU_DEP_2)
	v_and_b32_e32 v8, 3, v8
	v_cmp_eq_u32_e32 vcc_lo, 0, v26
	v_dual_cndmask_b32 v10, v26, v10 :: v_dual_lshlrev_b32 v27, 8, v11
	s_delay_alu instid0(VALU_DEP_1) | instskip(NEXT) | instid1(VALU_DEP_2)
	v_dual_cndmask_b32 v8, v9, v8 :: v_dual_and_b32 v9, 0x80000000, v27
	v_lshl_add_u32 v10, v10, 23, 0x37800000
	s_delay_alu instid0(VALU_DEP_2) | instskip(NEXT) | instid1(VALU_DEP_1)
	v_lshlrev_b32_e32 v8, 21, v8
	v_or3_b32 v9, v9, v10, v8
.LBB6_15431:                            ;   in Loop: Header=BB6_15250 Depth=3
	s_or_b32 exec_lo, exec_lo, s34
	s_delay_alu instid0(VALU_DEP_1) | instskip(SKIP_2) | instid1(VALU_DEP_2)
	v_mul_f32_e32 v8, s31, v9
	v_mov_b32_e32 v70, 0x80
	s_mov_b32 s34, exec_lo
	v_and_b32_e32 v9, 0x7f800000, v8
	s_delay_alu instid0(VALU_DEP_1)
	v_cmpx_ne_u32_e32 0x7f800000, v9
	s_cbranch_execz .LBB6_15439
; %bb.15432:                            ;   in Loop: Header=BB6_15250 Depth=3
	v_mov_b32_e32 v70, 0
	s_mov_b32 s35, exec_lo
	v_cmpx_ne_u32_e32 0, v8
	s_cbranch_execz .LBB6_15438
; %bb.15433:                            ;   in Loop: Header=BB6_15250 Depth=3
	v_bfe_u32 v9, v8, 23, 8
	v_and_b32_e32 v10, 0x7fffff, v8
	s_delay_alu instid0(VALU_DEP_2) | instskip(SKIP_1) | instid1(VALU_DEP_3)
	v_sub_nc_u32_e32 v26, 0x70, v9
	v_cmp_gt_u32_e32 vcc_lo, 0x71, v9
	v_or_b32_e32 v27, 0x800000, v10
	s_delay_alu instid0(VALU_DEP_3) | instskip(SKIP_2) | instid1(VALU_DEP_3)
	v_cndmask_b32_e32 v26, 0, v26, vcc_lo
	v_cmp_eq_u32_e32 vcc_lo, 0, v9
	v_add_nc_u32_e32 v9, 0xffffff91, v9
	v_cndmask_b32_e64 v26, v26, 0x6f, vcc_lo
	v_cndmask_b32_e32 v10, v27, v10, vcc_lo
	s_delay_alu instid0(VALU_DEP_3) | instskip(NEXT) | instid1(VALU_DEP_3)
	v_cndmask_b32_e64 v9, v9, 0xffffff92, vcc_lo
	v_lshl_add_u32 v27, 0x200000, v26, -1
	s_delay_alu instid0(VALU_DEP_3) | instskip(SKIP_1) | instid1(VALU_DEP_4)
	v_lshrrev_b32_e32 v36, v26, v10
	v_lshlrev_b32_e64 v38, v26, 0x100000
	v_add_nc_u32_e32 v26, v26, v9
	s_delay_alu instid0(VALU_DEP_4) | instskip(NEXT) | instid1(VALU_DEP_4)
	v_and_b32_e32 v10, v27, v10
	v_bfe_u32 v37, v36, 21, 1
	s_delay_alu instid0(VALU_DEP_2) | instskip(NEXT) | instid1(VALU_DEP_2)
	v_cmp_eq_u32_e64 s14, v10, v38
	v_add_nc_u32_e32 v27, -1, v37
	s_delay_alu instid0(VALU_DEP_1) | instskip(SKIP_2) | instid1(VALU_DEP_2)
	v_cndmask_b32_e64 v10, 0, v27, s14
	v_lshrrev_b32_e32 v27, 23, v36
	s_mov_b32 s14, exec_lo
	v_add_nc_u32_e32 v10, v10, v36
	s_delay_alu instid0(VALU_DEP_2) | instskip(NEXT) | instid1(VALU_DEP_2)
	v_xor_b32_e32 v27, 1, v27
	v_and_b32_e32 v9, 0x1fffff, v10
	s_delay_alu instid0(VALU_DEP_1) | instskip(NEXT) | instid1(VALU_DEP_3)
	v_add_nc_u32_e32 v10, v9, v36
                                        ; implicit-def: $vgpr9
	v_cmpx_ne_u32_e64 v26, v27
	s_xor_b32 s14, exec_lo, s14
; %bb.15434:                            ;   in Loop: Header=BB6_15250 Depth=3
	s_delay_alu instid0(VALU_DEP_2) | instskip(SKIP_2) | instid1(VALU_DEP_2)
	v_cmp_lt_u32_e32 vcc_lo, 0xffffff, v10
	v_sub_nc_u32_e32 v9, v26, v27
	v_cndmask_b32_e64 v26, 0, 1, vcc_lo
	v_add_co_ci_u32_e32 v9, vcc_lo, 0, v9, vcc_lo
	s_delay_alu instid0(VALU_DEP_2)
	v_lshrrev_b32_e32 v10, v26, v10
; %bb.15435:                            ;   in Loop: Header=BB6_15250 Depth=3
	s_and_not1_saveexec_b32 s14, s14
; %bb.15436:                            ;   in Loop: Header=BB6_15250 Depth=3
	s_delay_alu instid0(VALU_DEP_1)
	v_bfe_u32 v9, v10, 23, 1
; %bb.15437:                            ;   in Loop: Header=BB6_15250 Depth=3
	s_or_b32 exec_lo, exec_lo, s14
	v_lshrrev_b32_e32 v10, 21, v10
	s_delay_alu instid0(VALU_DEP_2) | instskip(SKIP_2) | instid1(VALU_DEP_4)
	v_cmp_gt_i32_e32 vcc_lo, 32, v9
	v_min_i32_e32 v26, 31, v9
	v_lshrrev_b32_e32 v8, 24, v8
	v_cndmask_b32_e32 v10, 3, v10, vcc_lo
	s_delay_alu instid0(VALU_DEP_3) | instskip(NEXT) | instid1(VALU_DEP_3)
	v_lshlrev_b32_e32 v26, 2, v26
	v_and_b32_e32 v8, 0x80, v8
	s_delay_alu instid0(VALU_DEP_3) | instskip(NEXT) | instid1(VALU_DEP_3)
	v_or_b32_e32 v9, v9, v10
	v_and_b32_e32 v26, 0xfc, v26
	s_delay_alu instid0(VALU_DEP_2) | instskip(SKIP_1) | instid1(VALU_DEP_1)
	v_cmp_ne_u32_e32 vcc_lo, 0, v9
	v_and_b32_e32 v27, 3, v10
	v_or3_b32 v8, v26, v8, v27
	s_delay_alu instid0(VALU_DEP_1)
	v_cndmask_b32_e32 v70, 0, v8, vcc_lo
.LBB6_15438:                            ;   in Loop: Header=BB6_15250 Depth=3
	s_or_b32 exec_lo, exec_lo, s35
.LBB6_15439:                            ;   in Loop: Header=BB6_15250 Depth=3
	s_delay_alu instid0(SALU_CYCLE_1) | instskip(SKIP_3) | instid1(VALU_DEP_1)
	s_or_b32 exec_lo, exec_lo, s34
	v_lshrrev_b32_e32 v8, 24, v11
	s_mov_b32 s14, 0
	s_mov_b32 s35, exec_lo
                                        ; implicit-def: $sgpr34
	v_cmpx_lt_i16_e32 0x7f, v8
	s_xor_b32 s35, exec_lo, s35
	s_cbranch_execnz .LBB6_15765
; %bb.15440:                            ;   in Loop: Header=BB6_15250 Depth=3
	s_or_saveexec_b32 s35, s35
	v_mov_b32_e32 v9, s34
	s_xor_b32 exec_lo, exec_lo, s35
	s_cbranch_execnz .LBB6_15768
.LBB6_15441:                            ;   in Loop: Header=BB6_15250 Depth=3
	s_or_b32 exec_lo, exec_lo, s35
	s_and_saveexec_b32 s34, s14
	s_cbranch_execz .LBB6_15443
.LBB6_15442:                            ;   in Loop: Header=BB6_15250 Depth=3
	v_bfe_u32 v9, v11, 24, 2
	s_delay_alu instid0(VALU_DEP_1) | instskip(NEXT) | instid1(VALU_DEP_1)
	v_clz_i32_u32_e32 v10, v9
	v_min_u32_e32 v10, 32, v10
	s_delay_alu instid0(VALU_DEP_1) | instskip(SKIP_1) | instid1(VALU_DEP_2)
	v_subrev_nc_u32_e32 v26, 29, v10
	v_sub_nc_u32_e32 v10, 30, v10
	v_lshlrev_b32_e32 v8, v26, v8
	v_bfe_u32 v26, v11, 26, 5
	s_delay_alu instid0(VALU_DEP_2) | instskip(NEXT) | instid1(VALU_DEP_2)
	v_and_b32_e32 v8, 3, v8
	v_cmp_eq_u32_e32 vcc_lo, 0, v26
	v_cndmask_b32_e32 v10, v26, v10, vcc_lo
	s_delay_alu instid0(VALU_DEP_3) | instskip(NEXT) | instid1(VALU_DEP_2)
	v_dual_cndmask_b32 v8, v9, v8 :: v_dual_and_b32 v9, 0x80000000, v11
	v_lshl_add_u32 v10, v10, 23, 0x37800000
	s_delay_alu instid0(VALU_DEP_2) | instskip(NEXT) | instid1(VALU_DEP_1)
	v_lshlrev_b32_e32 v8, 21, v8
	v_or3_b32 v9, v9, v10, v8
.LBB6_15443:                            ;   in Loop: Header=BB6_15250 Depth=3
	s_or_b32 exec_lo, exec_lo, s34
	s_delay_alu instid0(VALU_DEP_1) | instskip(SKIP_1) | instid1(VALU_DEP_1)
	v_dual_mul_f32 v8, s31, v9 :: v_dual_mov_b32 v83, 0x8000
	s_mov_b32 s31, exec_lo
	v_and_b32_e32 v9, 0x7f800000, v8
	s_delay_alu instid0(VALU_DEP_1)
	v_cmpx_ne_u32_e32 0x7f800000, v9
	s_cbranch_execz .LBB6_15451
; %bb.15444:                            ;   in Loop: Header=BB6_15250 Depth=3
	v_mov_b32_e32 v83, 0
	s_mov_b32 s34, exec_lo
	v_cmpx_ne_u32_e32 0, v8
	s_cbranch_execz .LBB6_15450
; %bb.15445:                            ;   in Loop: Header=BB6_15250 Depth=3
	v_bfe_u32 v9, v8, 23, 8
	s_delay_alu instid0(VALU_DEP_1) | instskip(SKIP_1) | instid1(VALU_DEP_2)
	v_sub_nc_u32_e32 v11, 0x70, v9
	v_cmp_gt_u32_e32 vcc_lo, 0x71, v9
	v_dual_cndmask_b32 v11, 0, v11 :: v_dual_and_b32 v10, 0x7fffff, v8
	s_delay_alu instid0(VALU_DEP_1) | instskip(SKIP_2) | instid1(VALU_DEP_4)
	v_or_b32_e32 v26, 0x800000, v10
	v_cmp_eq_u32_e32 vcc_lo, 0, v9
	v_add_nc_u32_e32 v9, 0xffffff91, v9
	v_cndmask_b32_e64 v11, v11, 0x6f, vcc_lo
	s_delay_alu instid0(VALU_DEP_4) | instskip(NEXT) | instid1(VALU_DEP_3)
	v_cndmask_b32_e32 v10, v26, v10, vcc_lo
	v_cndmask_b32_e64 v9, v9, 0xffffff92, vcc_lo
	s_delay_alu instid0(VALU_DEP_3) | instskip(NEXT) | instid1(VALU_DEP_3)
	v_lshl_add_u32 v26, 0x200000, v11, -1
	v_lshrrev_b32_e32 v27, v11, v10
	v_lshlrev_b32_e64 v37, v11, 0x100000
	s_delay_alu instid0(VALU_DEP_4) | instskip(NEXT) | instid1(VALU_DEP_4)
	v_add_nc_u32_e32 v11, v11, v9
	v_and_b32_e32 v10, v26, v10
	s_delay_alu instid0(VALU_DEP_4) | instskip(NEXT) | instid1(VALU_DEP_2)
	v_bfe_u32 v36, v27, 21, 1
	v_cmp_eq_u32_e64 s14, v10, v37
	s_delay_alu instid0(VALU_DEP_2) | instskip(NEXT) | instid1(VALU_DEP_1)
	v_add_nc_u32_e32 v26, -1, v36
	v_cndmask_b32_e64 v10, 0, v26, s14
	v_lshrrev_b32_e32 v26, 23, v27
	s_mov_b32 s14, exec_lo
	s_delay_alu instid0(VALU_DEP_2) | instskip(NEXT) | instid1(VALU_DEP_2)
	v_add_nc_u32_e32 v10, v10, v27
	v_xor_b32_e32 v26, 1, v26
	s_delay_alu instid0(VALU_DEP_2) | instskip(NEXT) | instid1(VALU_DEP_1)
	v_and_b32_e32 v9, 0x1fffff, v10
	v_add_nc_u32_e32 v10, v9, v27
                                        ; implicit-def: $vgpr9
	s_delay_alu instid0(VALU_DEP_3)
	v_cmpx_ne_u32_e64 v11, v26
	s_xor_b32 s14, exec_lo, s14
; %bb.15446:                            ;   in Loop: Header=BB6_15250 Depth=3
	s_delay_alu instid0(VALU_DEP_2) | instskip(SKIP_2) | instid1(VALU_DEP_2)
	v_cmp_lt_u32_e32 vcc_lo, 0xffffff, v10
	v_sub_nc_u32_e32 v9, v11, v26
	v_cndmask_b32_e64 v11, 0, 1, vcc_lo
	v_add_co_ci_u32_e32 v9, vcc_lo, 0, v9, vcc_lo
	s_delay_alu instid0(VALU_DEP_2)
	v_lshrrev_b32_e32 v10, v11, v10
; %bb.15447:                            ;   in Loop: Header=BB6_15250 Depth=3
	s_and_not1_saveexec_b32 s14, s14
; %bb.15448:                            ;   in Loop: Header=BB6_15250 Depth=3
	s_delay_alu instid0(VALU_DEP_1)
	v_bfe_u32 v9, v10, 23, 1
; %bb.15449:                            ;   in Loop: Header=BB6_15250 Depth=3
	s_or_b32 exec_lo, exec_lo, s14
	v_lshrrev_b32_e32 v10, 21, v10
	s_delay_alu instid0(VALU_DEP_2) | instskip(SKIP_2) | instid1(VALU_DEP_2)
	v_cmp_gt_i32_e32 vcc_lo, 32, v9
	v_min_i32_e32 v11, 31, v9
	v_lshrrev_b32_e32 v8, 24, v8
	v_dual_cndmask_b32 v10, 3, v10 :: v_dual_lshlrev_b32 v11, 2, v11
	s_delay_alu instid0(VALU_DEP_2) | instskip(NEXT) | instid1(VALU_DEP_2)
	v_and_b32_e32 v8, 0x80, v8
	v_or_b32_e32 v9, v9, v10
	s_delay_alu instid0(VALU_DEP_3) | instskip(NEXT) | instid1(VALU_DEP_2)
	v_and_b32_e32 v11, 0xfc, v11
	v_cmp_ne_u32_e32 vcc_lo, 0, v9
	v_and_b32_e32 v26, 3, v10
	s_delay_alu instid0(VALU_DEP_1) | instskip(NEXT) | instid1(VALU_DEP_1)
	v_or3_b32 v8, v8, v11, v26
	v_lshlrev_b32_e32 v8, 8, v8
	s_delay_alu instid0(VALU_DEP_1)
	v_cndmask_b32_e32 v83, 0, v8, vcc_lo
.LBB6_15450:                            ;   in Loop: Header=BB6_15250 Depth=3
	s_or_b32 exec_lo, exec_lo, s34
.LBB6_15451:                            ;   in Loop: Header=BB6_15250 Depth=3
	s_delay_alu instid0(SALU_CYCLE_1) | instskip(SKIP_4) | instid1(VALU_DEP_1)
	s_or_b32 exec_lo, exec_lo, s31
	global_load_b128 v[8:11], v[14:15], off slc dlc
	v_and_b32_e32 v27, 0xff, v69
	s_mov_b32 s14, 0
	s_mov_b32 s34, exec_lo
                                        ; implicit-def: $sgpr31
	v_cmpx_lt_i16_e32 0x7f, v27
	s_xor_b32 s34, exec_lo, s34
	s_cbranch_execnz .LBB6_15769
; %bb.15452:                            ;   in Loop: Header=BB6_15250 Depth=3
	s_or_saveexec_b32 s34, s34
	v_mov_b32_e32 v26, s31
	s_xor_b32 exec_lo, exec_lo, s34
	s_cbranch_execnz .LBB6_15772
.LBB6_15453:                            ;   in Loop: Header=BB6_15250 Depth=3
	s_or_b32 exec_lo, exec_lo, s34
	s_and_saveexec_b32 s31, s14
	s_cbranch_execz .LBB6_15455
.LBB6_15454:                            ;   in Loop: Header=BB6_15250 Depth=3
	v_bfe_u32 v37, v69, 2, 5
	v_lshlrev_b32_e32 v38, 24, v69
	s_delay_alu instid0(VALU_DEP_2) | instskip(SKIP_1) | instid1(VALU_DEP_1)
	v_cmp_eq_u32_e32 vcc_lo, 0, v37
	v_and_b32_e32 v26, 3, v69
	v_clz_i32_u32_e32 v27, v26
	s_delay_alu instid0(VALU_DEP_1) | instskip(NEXT) | instid1(VALU_DEP_1)
	v_min_u32_e32 v27, 32, v27
	v_subrev_nc_u32_e32 v36, 29, v27
	v_sub_nc_u32_e32 v27, 30, v27
	s_delay_alu instid0(VALU_DEP_1) | instskip(NEXT) | instid1(VALU_DEP_1)
	v_dual_cndmask_b32 v27, v37, v27 :: v_dual_lshlrev_b32 v36, v36, v69
	v_and_b32_e32 v36, 3, v36
	s_delay_alu instid0(VALU_DEP_2) | instskip(NEXT) | instid1(VALU_DEP_2)
	v_lshl_add_u32 v27, v27, 23, 0x37800000
	v_cndmask_b32_e32 v26, v26, v36, vcc_lo
	v_and_b32_e32 v36, 0x80000000, v38
	s_delay_alu instid0(VALU_DEP_2) | instskip(NEXT) | instid1(VALU_DEP_1)
	v_lshlrev_b32_e32 v26, 21, v26
	v_or3_b32 v26, v36, v27, v26
.LBB6_15455:                            ;   in Loop: Header=BB6_15250 Depth=3
	s_or_b32 exec_lo, exec_lo, s31
	s_waitcnt vmcnt(0)
	v_and_b32_e32 v36, 0xff, v8
	s_mov_b32 s14, 0
	s_mov_b32 s34, exec_lo
                                        ; implicit-def: $sgpr31
	s_delay_alu instid0(VALU_DEP_1)
	v_cmpx_lt_i16_e32 0x7f, v36
	s_xor_b32 s34, exec_lo, s34
	s_cbranch_execnz .LBB6_15773
; %bb.15456:                            ;   in Loop: Header=BB6_15250 Depth=3
	s_or_saveexec_b32 s34, s34
	v_mov_b32_e32 v27, s31
	s_xor_b32 exec_lo, exec_lo, s34
	s_cbranch_execnz .LBB6_15776
.LBB6_15457:                            ;   in Loop: Header=BB6_15250 Depth=3
	s_or_b32 exec_lo, exec_lo, s34
	s_and_saveexec_b32 s31, s14
	s_cbranch_execz .LBB6_15459
.LBB6_15458:                            ;   in Loop: Header=BB6_15250 Depth=3
	v_and_b32_e32 v27, 3, v8
	v_bfe_u32 v38, v8, 2, 5
	v_lshlrev_b32_e32 v39, 24, v8
	s_delay_alu instid0(VALU_DEP_3) | instskip(NEXT) | instid1(VALU_DEP_3)
	v_clz_i32_u32_e32 v36, v27
	v_cmp_eq_u32_e32 vcc_lo, 0, v38
	s_delay_alu instid0(VALU_DEP_2) | instskip(NEXT) | instid1(VALU_DEP_1)
	v_min_u32_e32 v36, 32, v36
	v_subrev_nc_u32_e32 v37, 29, v36
	v_sub_nc_u32_e32 v36, 30, v36
	s_delay_alu instid0(VALU_DEP_2) | instskip(NEXT) | instid1(VALU_DEP_1)
	v_lshlrev_b32_e32 v37, v37, v8
	v_dual_cndmask_b32 v36, v38, v36 :: v_dual_and_b32 v37, 3, v37
	s_delay_alu instid0(VALU_DEP_1) | instskip(NEXT) | instid1(VALU_DEP_2)
	v_lshl_add_u32 v36, v36, 23, 0x37800000
	v_cndmask_b32_e32 v27, v27, v37, vcc_lo
	v_and_b32_e32 v37, 0x80000000, v39
	s_delay_alu instid0(VALU_DEP_2) | instskip(NEXT) | instid1(VALU_DEP_1)
	v_lshlrev_b32_e32 v27, 21, v27
	v_or3_b32 v27, v37, v36, v27
.LBB6_15459:                            ;   in Loop: Header=BB6_15250 Depth=3
	s_or_b32 exec_lo, exec_lo, s31
	s_delay_alu instid0(VALU_DEP_1) | instskip(SKIP_1) | instid1(VALU_DEP_1)
	v_dual_add_f32 v26, v26, v27 :: v_dual_mov_b32 v69, 0x80
	s_mov_b32 s31, exec_lo
	v_and_b32_e32 v27, 0x7f800000, v26
	s_delay_alu instid0(VALU_DEP_1)
	v_cmpx_ne_u32_e32 0x7f800000, v27
	s_cbranch_execz .LBB6_15467
; %bb.15460:                            ;   in Loop: Header=BB6_15250 Depth=3
	v_mov_b32_e32 v69, 0
	s_mov_b32 s34, exec_lo
	v_cmpx_ne_u32_e32 0, v26
	s_cbranch_execz .LBB6_15466
; %bb.15461:                            ;   in Loop: Header=BB6_15250 Depth=3
	v_bfe_u32 v27, v26, 23, 8
	s_delay_alu instid0(VALU_DEP_1) | instskip(SKIP_1) | instid1(VALU_DEP_2)
	v_sub_nc_u32_e32 v37, 0x70, v27
	v_cmp_gt_u32_e32 vcc_lo, 0x71, v27
	v_dual_cndmask_b32 v37, 0, v37 :: v_dual_and_b32 v36, 0x7fffff, v26
	s_delay_alu instid0(VALU_DEP_1) | instskip(SKIP_2) | instid1(VALU_DEP_4)
	v_or_b32_e32 v38, 0x800000, v36
	v_cmp_eq_u32_e32 vcc_lo, 0, v27
	v_add_nc_u32_e32 v27, 0xffffff91, v27
	v_cndmask_b32_e64 v37, v37, 0x6f, vcc_lo
	s_delay_alu instid0(VALU_DEP_4) | instskip(NEXT) | instid1(VALU_DEP_3)
	v_cndmask_b32_e32 v36, v38, v36, vcc_lo
	v_cndmask_b32_e64 v27, v27, 0xffffff92, vcc_lo
	s_delay_alu instid0(VALU_DEP_3) | instskip(NEXT) | instid1(VALU_DEP_3)
	v_lshl_add_u32 v38, 0x200000, v37, -1
	v_lshrrev_b32_e32 v39, v37, v36
	v_lshlrev_b32_e64 v49, v37, 0x100000
	s_delay_alu instid0(VALU_DEP_4) | instskip(NEXT) | instid1(VALU_DEP_4)
	v_add_nc_u32_e32 v37, v37, v27
	v_and_b32_e32 v36, v38, v36
	s_delay_alu instid0(VALU_DEP_4) | instskip(NEXT) | instid1(VALU_DEP_2)
	v_bfe_u32 v48, v39, 21, 1
	v_cmp_eq_u32_e64 s14, v36, v49
	s_delay_alu instid0(VALU_DEP_2) | instskip(NEXT) | instid1(VALU_DEP_1)
	v_add_nc_u32_e32 v38, -1, v48
	v_cndmask_b32_e64 v36, 0, v38, s14
	v_lshrrev_b32_e32 v38, 23, v39
	s_mov_b32 s14, exec_lo
	s_delay_alu instid0(VALU_DEP_2) | instskip(NEXT) | instid1(VALU_DEP_2)
	v_add_nc_u32_e32 v36, v36, v39
	v_xor_b32_e32 v38, 1, v38
	s_delay_alu instid0(VALU_DEP_2) | instskip(NEXT) | instid1(VALU_DEP_1)
	v_and_b32_e32 v27, 0x1fffff, v36
	v_add_nc_u32_e32 v36, v27, v39
                                        ; implicit-def: $vgpr27
	s_delay_alu instid0(VALU_DEP_3)
	v_cmpx_ne_u32_e64 v37, v38
	s_xor_b32 s14, exec_lo, s14
; %bb.15462:                            ;   in Loop: Header=BB6_15250 Depth=3
	s_delay_alu instid0(VALU_DEP_2) | instskip(SKIP_2) | instid1(VALU_DEP_2)
	v_cmp_lt_u32_e32 vcc_lo, 0xffffff, v36
	v_sub_nc_u32_e32 v27, v37, v38
	v_cndmask_b32_e64 v37, 0, 1, vcc_lo
	v_add_co_ci_u32_e32 v27, vcc_lo, 0, v27, vcc_lo
	s_delay_alu instid0(VALU_DEP_2)
	v_lshrrev_b32_e32 v36, v37, v36
; %bb.15463:                            ;   in Loop: Header=BB6_15250 Depth=3
	s_and_not1_saveexec_b32 s14, s14
; %bb.15464:                            ;   in Loop: Header=BB6_15250 Depth=3
	s_delay_alu instid0(VALU_DEP_1)
	v_bfe_u32 v27, v36, 23, 1
; %bb.15465:                            ;   in Loop: Header=BB6_15250 Depth=3
	s_or_b32 exec_lo, exec_lo, s14
	v_lshrrev_b32_e32 v36, 21, v36
	s_delay_alu instid0(VALU_DEP_2) | instskip(SKIP_2) | instid1(VALU_DEP_2)
	v_cmp_gt_i32_e32 vcc_lo, 32, v27
	v_min_i32_e32 v37, 31, v27
	v_lshrrev_b32_e32 v26, 24, v26
	v_dual_cndmask_b32 v36, 3, v36 :: v_dual_lshlrev_b32 v37, 2, v37
	s_delay_alu instid0(VALU_DEP_2) | instskip(NEXT) | instid1(VALU_DEP_2)
	v_and_b32_e32 v26, 0x80, v26
	v_or_b32_e32 v27, v27, v36
	s_delay_alu instid0(VALU_DEP_1) | instskip(SKIP_1) | instid1(VALU_DEP_1)
	v_cmp_ne_u32_e32 vcc_lo, 0, v27
	v_and_b32_e32 v38, 3, v36
	v_or3_b32 v26, v37, v26, v38
	s_delay_alu instid0(VALU_DEP_1)
	v_cndmask_b32_e32 v69, 0, v26, vcc_lo
.LBB6_15466:                            ;   in Loop: Header=BB6_15250 Depth=3
	s_or_b32 exec_lo, exec_lo, s34
.LBB6_15467:                            ;   in Loop: Header=BB6_15250 Depth=3
	s_delay_alu instid0(SALU_CYCLE_1) | instskip(SKIP_3) | instid1(VALU_DEP_1)
	s_or_b32 exec_lo, exec_lo, s31
	v_and_b32_e32 v27, 0xff, v82
	s_mov_b32 s14, 0
	s_mov_b32 s34, exec_lo
                                        ; implicit-def: $sgpr31
	v_cmpx_lt_i16_e32 0x7f, v27
	s_xor_b32 s34, exec_lo, s34
	s_cbranch_execnz .LBB6_15777
; %bb.15468:                            ;   in Loop: Header=BB6_15250 Depth=3
	s_or_saveexec_b32 s34, s34
	v_mov_b32_e32 v26, s31
	s_xor_b32 exec_lo, exec_lo, s34
	s_cbranch_execnz .LBB6_15780
.LBB6_15469:                            ;   in Loop: Header=BB6_15250 Depth=3
	s_or_b32 exec_lo, exec_lo, s34
	s_and_saveexec_b32 s31, s14
	s_cbranch_execz .LBB6_15471
.LBB6_15470:                            ;   in Loop: Header=BB6_15250 Depth=3
	v_bfe_u32 v37, v82, 2, 5
	v_lshlrev_b32_e32 v38, 24, v82
	s_delay_alu instid0(VALU_DEP_2) | instskip(SKIP_1) | instid1(VALU_DEP_1)
	v_cmp_eq_u32_e32 vcc_lo, 0, v37
	v_and_b32_e32 v26, 3, v82
	v_clz_i32_u32_e32 v27, v26
	s_delay_alu instid0(VALU_DEP_1) | instskip(NEXT) | instid1(VALU_DEP_1)
	v_min_u32_e32 v27, 32, v27
	v_subrev_nc_u32_e32 v36, 29, v27
	v_sub_nc_u32_e32 v27, 30, v27
	s_delay_alu instid0(VALU_DEP_1) | instskip(NEXT) | instid1(VALU_DEP_1)
	v_dual_cndmask_b32 v27, v37, v27 :: v_dual_lshlrev_b32 v36, v36, v82
	v_and_b32_e32 v36, 3, v36
	s_delay_alu instid0(VALU_DEP_2) | instskip(NEXT) | instid1(VALU_DEP_2)
	v_lshl_add_u32 v27, v27, 23, 0x37800000
	v_cndmask_b32_e32 v26, v26, v36, vcc_lo
	v_and_b32_e32 v36, 0x80000000, v38
	s_delay_alu instid0(VALU_DEP_2) | instskip(NEXT) | instid1(VALU_DEP_1)
	v_lshlrev_b32_e32 v26, 21, v26
	v_or3_b32 v26, v36, v27, v26
.LBB6_15471:                            ;   in Loop: Header=BB6_15250 Depth=3
	s_or_b32 exec_lo, exec_lo, s31
	v_lshrrev_b16 v27, 8, v8
	s_mov_b32 s14, 0
	s_mov_b32 s34, exec_lo
                                        ; implicit-def: $sgpr31
	s_delay_alu instid0(VALU_DEP_1)
	v_cmpx_lt_i16_e32 0x7f, v27
	s_xor_b32 s34, exec_lo, s34
	s_cbranch_execnz .LBB6_15781
; %bb.15472:                            ;   in Loop: Header=BB6_15250 Depth=3
	s_or_saveexec_b32 s34, s34
	v_mov_b32_e32 v36, s31
	s_xor_b32 exec_lo, exec_lo, s34
	s_cbranch_execnz .LBB6_15784
.LBB6_15473:                            ;   in Loop: Header=BB6_15250 Depth=3
	s_or_b32 exec_lo, exec_lo, s34
	s_and_saveexec_b32 s31, s14
	s_cbranch_execz .LBB6_15475
.LBB6_15474:                            ;   in Loop: Header=BB6_15250 Depth=3
	v_and_b32_e32 v36, 0xffff, v27
	v_lshlrev_b32_e32 v27, 24, v27
	s_delay_alu instid0(VALU_DEP_2) | instskip(NEXT) | instid1(VALU_DEP_2)
	v_and_b32_e32 v37, 3, v36
	v_and_b32_e32 v27, 0x80000000, v27
	s_delay_alu instid0(VALU_DEP_2) | instskip(NEXT) | instid1(VALU_DEP_1)
	v_clz_i32_u32_e32 v38, v37
	v_min_u32_e32 v38, 32, v38
	s_delay_alu instid0(VALU_DEP_1) | instskip(SKIP_1) | instid1(VALU_DEP_2)
	v_subrev_nc_u32_e32 v39, 29, v38
	v_sub_nc_u32_e32 v38, 30, v38
	v_lshlrev_b32_e32 v39, v39, v36
	v_bfe_u32 v36, v36, 2, 5
	s_delay_alu instid0(VALU_DEP_2) | instskip(NEXT) | instid1(VALU_DEP_2)
	v_and_b32_e32 v39, 3, v39
	v_cmp_eq_u32_e32 vcc_lo, 0, v36
	s_delay_alu instid0(VALU_DEP_2) | instskip(NEXT) | instid1(VALU_DEP_1)
	v_dual_cndmask_b32 v36, v36, v38 :: v_dual_cndmask_b32 v37, v37, v39
	v_lshl_add_u32 v36, v36, 23, 0x37800000
	s_delay_alu instid0(VALU_DEP_2) | instskip(NEXT) | instid1(VALU_DEP_1)
	v_lshlrev_b32_e32 v37, 21, v37
	v_or3_b32 v36, v27, v36, v37
.LBB6_15475:                            ;   in Loop: Header=BB6_15250 Depth=3
	s_or_b32 exec_lo, exec_lo, s31
	s_delay_alu instid0(VALU_DEP_1) | instskip(SKIP_2) | instid1(VALU_DEP_2)
	v_add_f32_e32 v26, v26, v36
	v_mov_b32_e32 v82, 0x80
	s_mov_b32 s31, exec_lo
	v_and_b32_e32 v27, 0x7f800000, v26
	s_delay_alu instid0(VALU_DEP_1)
	v_cmpx_ne_u32_e32 0x7f800000, v27
	s_cbranch_execz .LBB6_15483
; %bb.15476:                            ;   in Loop: Header=BB6_15250 Depth=3
	v_mov_b32_e32 v82, 0
	s_mov_b32 s34, exec_lo
	v_cmpx_ne_u32_e32 0, v26
	s_cbranch_execz .LBB6_15482
; %bb.15477:                            ;   in Loop: Header=BB6_15250 Depth=3
	v_bfe_u32 v27, v26, 23, 8
	s_delay_alu instid0(VALU_DEP_1) | instskip(SKIP_1) | instid1(VALU_DEP_2)
	v_sub_nc_u32_e32 v37, 0x70, v27
	v_cmp_gt_u32_e32 vcc_lo, 0x71, v27
	v_dual_cndmask_b32 v37, 0, v37 :: v_dual_and_b32 v36, 0x7fffff, v26
	s_delay_alu instid0(VALU_DEP_1) | instskip(SKIP_2) | instid1(VALU_DEP_4)
	v_or_b32_e32 v38, 0x800000, v36
	v_cmp_eq_u32_e32 vcc_lo, 0, v27
	v_add_nc_u32_e32 v27, 0xffffff91, v27
	v_cndmask_b32_e64 v37, v37, 0x6f, vcc_lo
	s_delay_alu instid0(VALU_DEP_4) | instskip(NEXT) | instid1(VALU_DEP_3)
	v_cndmask_b32_e32 v36, v38, v36, vcc_lo
	v_cndmask_b32_e64 v27, v27, 0xffffff92, vcc_lo
	s_delay_alu instid0(VALU_DEP_3) | instskip(NEXT) | instid1(VALU_DEP_3)
	v_lshl_add_u32 v38, 0x200000, v37, -1
	v_lshrrev_b32_e32 v39, v37, v36
	v_lshlrev_b32_e64 v49, v37, 0x100000
	s_delay_alu instid0(VALU_DEP_4) | instskip(NEXT) | instid1(VALU_DEP_4)
	v_add_nc_u32_e32 v37, v37, v27
	v_and_b32_e32 v36, v38, v36
	s_delay_alu instid0(VALU_DEP_4) | instskip(NEXT) | instid1(VALU_DEP_2)
	v_bfe_u32 v48, v39, 21, 1
	v_cmp_eq_u32_e64 s14, v36, v49
	s_delay_alu instid0(VALU_DEP_2) | instskip(NEXT) | instid1(VALU_DEP_1)
	v_add_nc_u32_e32 v38, -1, v48
	v_cndmask_b32_e64 v36, 0, v38, s14
	v_lshrrev_b32_e32 v38, 23, v39
	s_mov_b32 s14, exec_lo
	s_delay_alu instid0(VALU_DEP_2) | instskip(NEXT) | instid1(VALU_DEP_2)
	v_add_nc_u32_e32 v36, v36, v39
	v_xor_b32_e32 v38, 1, v38
	s_delay_alu instid0(VALU_DEP_2) | instskip(NEXT) | instid1(VALU_DEP_1)
	v_and_b32_e32 v27, 0x1fffff, v36
	v_add_nc_u32_e32 v36, v27, v39
                                        ; implicit-def: $vgpr27
	s_delay_alu instid0(VALU_DEP_3)
	v_cmpx_ne_u32_e64 v37, v38
	s_xor_b32 s14, exec_lo, s14
; %bb.15478:                            ;   in Loop: Header=BB6_15250 Depth=3
	s_delay_alu instid0(VALU_DEP_2) | instskip(SKIP_2) | instid1(VALU_DEP_2)
	v_cmp_lt_u32_e32 vcc_lo, 0xffffff, v36
	v_sub_nc_u32_e32 v27, v37, v38
	v_cndmask_b32_e64 v37, 0, 1, vcc_lo
	v_add_co_ci_u32_e32 v27, vcc_lo, 0, v27, vcc_lo
	s_delay_alu instid0(VALU_DEP_2)
	v_lshrrev_b32_e32 v36, v37, v36
; %bb.15479:                            ;   in Loop: Header=BB6_15250 Depth=3
	s_and_not1_saveexec_b32 s14, s14
; %bb.15480:                            ;   in Loop: Header=BB6_15250 Depth=3
	s_delay_alu instid0(VALU_DEP_1)
	v_bfe_u32 v27, v36, 23, 1
; %bb.15481:                            ;   in Loop: Header=BB6_15250 Depth=3
	s_or_b32 exec_lo, exec_lo, s14
	v_lshrrev_b32_e32 v36, 21, v36
	s_delay_alu instid0(VALU_DEP_2) | instskip(SKIP_2) | instid1(VALU_DEP_4)
	v_cmp_gt_i32_e32 vcc_lo, 32, v27
	v_lshrrev_b32_e32 v26, 24, v26
	v_min_i32_e32 v37, 31, v27
	v_cndmask_b32_e32 v36, 3, v36, vcc_lo
	s_delay_alu instid0(VALU_DEP_3) | instskip(NEXT) | instid1(VALU_DEP_3)
	v_and_b32_e32 v26, 0x80, v26
	v_lshlrev_b32_e32 v37, 2, v37
	s_delay_alu instid0(VALU_DEP_3) | instskip(SKIP_1) | instid1(VALU_DEP_2)
	v_and_b32_e32 v38, 3, v36
	v_or_b32_e32 v27, v27, v36
	v_or3_b32 v26, v37, v26, v38
	s_delay_alu instid0(VALU_DEP_2) | instskip(NEXT) | instid1(VALU_DEP_2)
	v_cmp_ne_u32_e32 vcc_lo, 0, v27
	v_cndmask_b32_e32 v82, 0, v26, vcc_lo
.LBB6_15482:                            ;   in Loop: Header=BB6_15250 Depth=3
	s_or_b32 exec_lo, exec_lo, s34
.LBB6_15483:                            ;   in Loop: Header=BB6_15250 Depth=3
	s_delay_alu instid0(SALU_CYCLE_1) | instskip(SKIP_3) | instid1(VALU_DEP_1)
	s_or_b32 exec_lo, exec_lo, s31
	v_and_b32_e32 v27, 0xff, v132
	s_mov_b32 s14, 0
	s_mov_b32 s34, exec_lo
                                        ; implicit-def: $sgpr31
	v_cmpx_lt_i16_e32 0x7f, v27
	s_xor_b32 s34, exec_lo, s34
	s_cbranch_execnz .LBB6_15785
; %bb.15484:                            ;   in Loop: Header=BB6_15250 Depth=3
	s_or_saveexec_b32 s34, s34
	v_mov_b32_e32 v26, s31
	s_xor_b32 exec_lo, exec_lo, s34
	s_cbranch_execnz .LBB6_15788
.LBB6_15485:                            ;   in Loop: Header=BB6_15250 Depth=3
	s_or_b32 exec_lo, exec_lo, s34
	s_and_saveexec_b32 s31, s14
	s_cbranch_execz .LBB6_15487
.LBB6_15486:                            ;   in Loop: Header=BB6_15250 Depth=3
	v_bfe_u32 v37, v132, 2, 5
	v_lshlrev_b32_e32 v38, 24, v132
	s_delay_alu instid0(VALU_DEP_2) | instskip(SKIP_1) | instid1(VALU_DEP_1)
	v_cmp_eq_u32_e32 vcc_lo, 0, v37
	v_and_b32_e32 v26, 3, v132
	v_clz_i32_u32_e32 v27, v26
	s_delay_alu instid0(VALU_DEP_1) | instskip(NEXT) | instid1(VALU_DEP_1)
	v_min_u32_e32 v27, 32, v27
	v_subrev_nc_u32_e32 v36, 29, v27
	v_sub_nc_u32_e32 v27, 30, v27
	s_delay_alu instid0(VALU_DEP_1) | instskip(NEXT) | instid1(VALU_DEP_1)
	v_dual_cndmask_b32 v27, v37, v27 :: v_dual_lshlrev_b32 v36, v36, v132
	v_and_b32_e32 v36, 3, v36
	s_delay_alu instid0(VALU_DEP_2) | instskip(NEXT) | instid1(VALU_DEP_2)
	v_lshl_add_u32 v27, v27, 23, 0x37800000
	v_cndmask_b32_e32 v26, v26, v36, vcc_lo
	v_and_b32_e32 v36, 0x80000000, v38
	s_delay_alu instid0(VALU_DEP_2) | instskip(NEXT) | instid1(VALU_DEP_1)
	v_lshlrev_b32_e32 v26, 21, v26
	v_or3_b32 v26, v36, v27, v26
.LBB6_15487:                            ;   in Loop: Header=BB6_15250 Depth=3
	s_or_b32 exec_lo, exec_lo, s31
	v_lshrrev_b32_e32 v27, 16, v8
	s_mov_b32 s14, 0
	s_mov_b32 s34, exec_lo
                                        ; implicit-def: $sgpr31
	s_delay_alu instid0(VALU_DEP_1) | instskip(NEXT) | instid1(VALU_DEP_1)
	v_and_b32_e32 v37, 0xff, v27
	v_cmpx_lt_i16_e32 0x7f, v37
	s_xor_b32 s34, exec_lo, s34
	s_cbranch_execnz .LBB6_15789
; %bb.15488:                            ;   in Loop: Header=BB6_15250 Depth=3
	s_or_saveexec_b32 s34, s34
	v_mov_b32_e32 v36, s31
	s_xor_b32 exec_lo, exec_lo, s34
	s_cbranch_execnz .LBB6_15792
.LBB6_15489:                            ;   in Loop: Header=BB6_15250 Depth=3
	s_or_b32 exec_lo, exec_lo, s34
	s_and_saveexec_b32 s31, s14
	s_cbranch_execz .LBB6_15491
.LBB6_15490:                            ;   in Loop: Header=BB6_15250 Depth=3
	v_bfe_u32 v36, v8, 16, 2
	v_lshlrev_b32_e32 v39, 8, v8
	s_delay_alu instid0(VALU_DEP_2) | instskip(NEXT) | instid1(VALU_DEP_1)
	v_clz_i32_u32_e32 v37, v36
	v_min_u32_e32 v37, 32, v37
	s_delay_alu instid0(VALU_DEP_1) | instskip(SKIP_1) | instid1(VALU_DEP_2)
	v_subrev_nc_u32_e32 v38, 29, v37
	v_sub_nc_u32_e32 v37, 30, v37
	v_lshlrev_b32_e32 v27, v38, v27
	v_bfe_u32 v38, v8, 18, 5
	s_delay_alu instid0(VALU_DEP_2) | instskip(NEXT) | instid1(VALU_DEP_2)
	v_and_b32_e32 v27, 3, v27
	v_cmp_eq_u32_e32 vcc_lo, 0, v38
	v_cndmask_b32_e32 v37, v38, v37, vcc_lo
	s_delay_alu instid0(VALU_DEP_3) | instskip(SKIP_1) | instid1(VALU_DEP_3)
	v_cndmask_b32_e32 v27, v36, v27, vcc_lo
	v_and_b32_e32 v36, 0x80000000, v39
	v_lshl_add_u32 v37, v37, 23, 0x37800000
	s_delay_alu instid0(VALU_DEP_3) | instskip(NEXT) | instid1(VALU_DEP_1)
	v_lshlrev_b32_e32 v27, 21, v27
	v_or3_b32 v36, v36, v37, v27
.LBB6_15491:                            ;   in Loop: Header=BB6_15250 Depth=3
	s_or_b32 exec_lo, exec_lo, s31
	s_delay_alu instid0(VALU_DEP_1) | instskip(SKIP_1) | instid1(VALU_DEP_1)
	v_dual_add_f32 v26, v26, v36 :: v_dual_mov_b32 v133, 0x80
	s_mov_b32 s31, exec_lo
	v_and_b32_e32 v27, 0x7f800000, v26
	s_delay_alu instid0(VALU_DEP_1)
	v_cmpx_ne_u32_e32 0x7f800000, v27
	s_cbranch_execz .LBB6_15499
; %bb.15492:                            ;   in Loop: Header=BB6_15250 Depth=3
	v_mov_b32_e32 v133, 0
	s_mov_b32 s34, exec_lo
	v_cmpx_ne_u32_e32 0, v26
	s_cbranch_execz .LBB6_15498
; %bb.15493:                            ;   in Loop: Header=BB6_15250 Depth=3
	v_bfe_u32 v27, v26, 23, 8
	s_delay_alu instid0(VALU_DEP_1) | instskip(SKIP_1) | instid1(VALU_DEP_2)
	v_sub_nc_u32_e32 v37, 0x70, v27
	v_cmp_gt_u32_e32 vcc_lo, 0x71, v27
	v_dual_cndmask_b32 v37, 0, v37 :: v_dual_and_b32 v36, 0x7fffff, v26
	s_delay_alu instid0(VALU_DEP_1) | instskip(SKIP_2) | instid1(VALU_DEP_4)
	v_or_b32_e32 v38, 0x800000, v36
	v_cmp_eq_u32_e32 vcc_lo, 0, v27
	v_add_nc_u32_e32 v27, 0xffffff91, v27
	v_cndmask_b32_e64 v37, v37, 0x6f, vcc_lo
	s_delay_alu instid0(VALU_DEP_4) | instskip(NEXT) | instid1(VALU_DEP_3)
	v_cndmask_b32_e32 v36, v38, v36, vcc_lo
	v_cndmask_b32_e64 v27, v27, 0xffffff92, vcc_lo
	s_delay_alu instid0(VALU_DEP_3) | instskip(NEXT) | instid1(VALU_DEP_3)
	v_lshl_add_u32 v38, 0x200000, v37, -1
	v_lshrrev_b32_e32 v39, v37, v36
	v_lshlrev_b32_e64 v49, v37, 0x100000
	s_delay_alu instid0(VALU_DEP_4) | instskip(NEXT) | instid1(VALU_DEP_4)
	v_add_nc_u32_e32 v37, v37, v27
	v_and_b32_e32 v36, v38, v36
	s_delay_alu instid0(VALU_DEP_4) | instskip(NEXT) | instid1(VALU_DEP_2)
	v_bfe_u32 v48, v39, 21, 1
	v_cmp_eq_u32_e64 s14, v36, v49
	s_delay_alu instid0(VALU_DEP_2) | instskip(NEXT) | instid1(VALU_DEP_1)
	v_add_nc_u32_e32 v38, -1, v48
	v_cndmask_b32_e64 v36, 0, v38, s14
	v_lshrrev_b32_e32 v38, 23, v39
	s_mov_b32 s14, exec_lo
	s_delay_alu instid0(VALU_DEP_2) | instskip(NEXT) | instid1(VALU_DEP_2)
	v_add_nc_u32_e32 v36, v36, v39
	v_xor_b32_e32 v38, 1, v38
	s_delay_alu instid0(VALU_DEP_2) | instskip(NEXT) | instid1(VALU_DEP_1)
	v_and_b32_e32 v27, 0x1fffff, v36
	v_add_nc_u32_e32 v36, v27, v39
                                        ; implicit-def: $vgpr27
	s_delay_alu instid0(VALU_DEP_3)
	v_cmpx_ne_u32_e64 v37, v38
	s_xor_b32 s14, exec_lo, s14
; %bb.15494:                            ;   in Loop: Header=BB6_15250 Depth=3
	s_delay_alu instid0(VALU_DEP_2) | instskip(SKIP_2) | instid1(VALU_DEP_2)
	v_cmp_lt_u32_e32 vcc_lo, 0xffffff, v36
	v_sub_nc_u32_e32 v27, v37, v38
	v_cndmask_b32_e64 v37, 0, 1, vcc_lo
	v_add_co_ci_u32_e32 v27, vcc_lo, 0, v27, vcc_lo
	s_delay_alu instid0(VALU_DEP_2)
	v_lshrrev_b32_e32 v36, v37, v36
; %bb.15495:                            ;   in Loop: Header=BB6_15250 Depth=3
	s_and_not1_saveexec_b32 s14, s14
; %bb.15496:                            ;   in Loop: Header=BB6_15250 Depth=3
	s_delay_alu instid0(VALU_DEP_1)
	v_bfe_u32 v27, v36, 23, 1
; %bb.15497:                            ;   in Loop: Header=BB6_15250 Depth=3
	s_or_b32 exec_lo, exec_lo, s14
	v_lshrrev_b32_e32 v36, 21, v36
	s_delay_alu instid0(VALU_DEP_2) | instskip(SKIP_2) | instid1(VALU_DEP_2)
	v_cmp_gt_i32_e32 vcc_lo, 32, v27
	v_min_i32_e32 v37, 31, v27
	v_lshrrev_b32_e32 v26, 24, v26
	v_dual_cndmask_b32 v36, 3, v36 :: v_dual_lshlrev_b32 v37, 2, v37
	s_delay_alu instid0(VALU_DEP_2) | instskip(NEXT) | instid1(VALU_DEP_2)
	v_and_b32_e32 v26, 0x80, v26
	v_or_b32_e32 v27, v27, v36
	s_delay_alu instid0(VALU_DEP_1) | instskip(SKIP_1) | instid1(VALU_DEP_1)
	v_cmp_ne_u32_e32 vcc_lo, 0, v27
	v_and_b32_e32 v38, 3, v36
	v_or3_b32 v26, v37, v26, v38
	s_delay_alu instid0(VALU_DEP_1)
	v_cndmask_b32_e32 v133, 0, v26, vcc_lo
.LBB6_15498:                            ;   in Loop: Header=BB6_15250 Depth=3
	s_or_b32 exec_lo, exec_lo, s34
.LBB6_15499:                            ;   in Loop: Header=BB6_15250 Depth=3
	s_delay_alu instid0(SALU_CYCLE_1) | instskip(SKIP_3) | instid1(VALU_DEP_1)
	s_or_b32 exec_lo, exec_lo, s31
	v_and_b32_e32 v27, 0xff, v151
	s_mov_b32 s14, 0
	s_mov_b32 s34, exec_lo
                                        ; implicit-def: $sgpr31
	v_cmpx_lt_i16_e32 0x7f, v27
	s_xor_b32 s34, exec_lo, s34
	s_cbranch_execnz .LBB6_15793
; %bb.15500:                            ;   in Loop: Header=BB6_15250 Depth=3
	s_or_saveexec_b32 s34, s34
	v_mov_b32_e32 v26, s31
	s_xor_b32 exec_lo, exec_lo, s34
	s_cbranch_execnz .LBB6_15796
.LBB6_15501:                            ;   in Loop: Header=BB6_15250 Depth=3
	s_or_b32 exec_lo, exec_lo, s34
	s_and_saveexec_b32 s31, s14
	s_cbranch_execz .LBB6_15503
.LBB6_15502:                            ;   in Loop: Header=BB6_15250 Depth=3
	v_lshlrev_b32_e32 v26, 8, v151
	s_delay_alu instid0(VALU_DEP_1) | instskip(SKIP_1) | instid1(VALU_DEP_2)
	v_and_b32_e32 v36, 0xff00, v26
	v_bfe_u32 v26, v26, 10, 5
	v_bfe_u32 v37, v36, 8, 2
	s_delay_alu instid0(VALU_DEP_2) | instskip(NEXT) | instid1(VALU_DEP_2)
	v_cmp_eq_u32_e32 vcc_lo, 0, v26
	v_clz_i32_u32_e32 v38, v37
	s_delay_alu instid0(VALU_DEP_1) | instskip(NEXT) | instid1(VALU_DEP_1)
	v_min_u32_e32 v38, 32, v38
	v_subrev_nc_u32_e32 v39, 29, v38
	v_sub_nc_u32_e32 v38, 30, v38
	s_delay_alu instid0(VALU_DEP_1) | instskip(NEXT) | instid1(VALU_DEP_1)
	v_dual_cndmask_b32 v26, v26, v38 :: v_dual_lshlrev_b32 v27, v39, v27
	v_and_b32_e32 v27, 3, v27
	s_delay_alu instid0(VALU_DEP_2) | instskip(NEXT) | instid1(VALU_DEP_2)
	v_lshl_add_u32 v26, v26, 23, 0x37800000
	v_dual_cndmask_b32 v27, v37, v27 :: v_dual_lshlrev_b32 v36, 16, v36
	s_delay_alu instid0(VALU_DEP_1) | instskip(NEXT) | instid1(VALU_DEP_2)
	v_lshlrev_b32_e32 v27, 21, v27
	v_and_b32_e32 v36, 0x80000000, v36
	s_delay_alu instid0(VALU_DEP_1)
	v_or3_b32 v26, v36, v26, v27
.LBB6_15503:                            ;   in Loop: Header=BB6_15250 Depth=3
	s_or_b32 exec_lo, exec_lo, s31
	v_lshrrev_b32_e32 v27, 24, v8
	s_mov_b32 s14, 0
	s_mov_b32 s34, exec_lo
                                        ; implicit-def: $sgpr31
	s_delay_alu instid0(VALU_DEP_1)
	v_cmpx_lt_i16_e32 0x7f, v27
	s_xor_b32 s34, exec_lo, s34
	s_cbranch_execnz .LBB6_15797
; %bb.15504:                            ;   in Loop: Header=BB6_15250 Depth=3
	s_or_saveexec_b32 s34, s34
	v_mov_b32_e32 v36, s31
	s_xor_b32 exec_lo, exec_lo, s34
	s_cbranch_execnz .LBB6_15800
.LBB6_15505:                            ;   in Loop: Header=BB6_15250 Depth=3
	s_or_b32 exec_lo, exec_lo, s34
	s_and_saveexec_b32 s31, s14
	s_cbranch_execz .LBB6_15507
.LBB6_15506:                            ;   in Loop: Header=BB6_15250 Depth=3
	v_bfe_u32 v36, v8, 24, 2
	s_delay_alu instid0(VALU_DEP_1) | instskip(NEXT) | instid1(VALU_DEP_1)
	v_clz_i32_u32_e32 v37, v36
	v_min_u32_e32 v37, 32, v37
	s_delay_alu instid0(VALU_DEP_1) | instskip(SKIP_1) | instid1(VALU_DEP_2)
	v_subrev_nc_u32_e32 v38, 29, v37
	v_sub_nc_u32_e32 v37, 30, v37
	v_lshlrev_b32_e32 v27, v38, v27
	v_bfe_u32 v38, v8, 26, 5
	v_and_b32_e32 v8, 0x80000000, v8
	s_delay_alu instid0(VALU_DEP_3) | instskip(NEXT) | instid1(VALU_DEP_3)
	v_and_b32_e32 v27, 3, v27
	v_cmp_eq_u32_e32 vcc_lo, 0, v38
	v_cndmask_b32_e32 v37, v38, v37, vcc_lo
	s_delay_alu instid0(VALU_DEP_3) | instskip(NEXT) | instid1(VALU_DEP_2)
	v_cndmask_b32_e32 v27, v36, v27, vcc_lo
	v_lshl_add_u32 v36, v37, 23, 0x37800000
	s_delay_alu instid0(VALU_DEP_2) | instskip(NEXT) | instid1(VALU_DEP_1)
	v_lshlrev_b32_e32 v27, 21, v27
	v_or3_b32 v36, v8, v36, v27
.LBB6_15507:                            ;   in Loop: Header=BB6_15250 Depth=3
	s_or_b32 exec_lo, exec_lo, s31
	s_delay_alu instid0(VALU_DEP_1) | instskip(NEXT) | instid1(VALU_DEP_1)
	v_add_f32_e32 v26, v26, v36
	v_and_b32_e32 v8, 0x7f800000, v26
	s_delay_alu instid0(VALU_DEP_1)
	v_cmp_ne_u32_e32 vcc_lo, 0x7f800000, v8
	v_mov_b32_e32 v8, 0x80
	s_and_saveexec_b32 s31, vcc_lo
	s_cbranch_execz .LBB6_15515
; %bb.15508:                            ;   in Loop: Header=BB6_15250 Depth=3
	v_mov_b32_e32 v8, 0
	s_mov_b32 s34, exec_lo
	v_cmpx_ne_u32_e32 0, v26
	s_cbranch_execz .LBB6_15514
; %bb.15509:                            ;   in Loop: Header=BB6_15250 Depth=3
	v_bfe_u32 v8, v26, 23, 8
	s_delay_alu instid0(VALU_DEP_1) | instskip(SKIP_1) | instid1(VALU_DEP_2)
	v_sub_nc_u32_e32 v36, 0x70, v8
	v_cmp_gt_u32_e32 vcc_lo, 0x71, v8
	v_dual_cndmask_b32 v36, 0, v36 :: v_dual_and_b32 v27, 0x7fffff, v26
	s_delay_alu instid0(VALU_DEP_1) | instskip(SKIP_2) | instid1(VALU_DEP_4)
	v_or_b32_e32 v37, 0x800000, v27
	v_cmp_eq_u32_e32 vcc_lo, 0, v8
	v_add_nc_u32_e32 v8, 0xffffff91, v8
	v_cndmask_b32_e64 v36, v36, 0x6f, vcc_lo
	s_delay_alu instid0(VALU_DEP_4) | instskip(NEXT) | instid1(VALU_DEP_3)
	v_cndmask_b32_e32 v27, v37, v27, vcc_lo
	v_cndmask_b32_e64 v8, v8, 0xffffff92, vcc_lo
	s_delay_alu instid0(VALU_DEP_3) | instskip(NEXT) | instid1(VALU_DEP_3)
	v_lshl_add_u32 v37, 0x200000, v36, -1
	v_lshrrev_b32_e32 v38, v36, v27
	v_lshlrev_b32_e64 v48, v36, 0x100000
	s_delay_alu instid0(VALU_DEP_4) | instskip(NEXT) | instid1(VALU_DEP_4)
	v_add_nc_u32_e32 v36, v36, v8
	v_and_b32_e32 v27, v37, v27
	s_delay_alu instid0(VALU_DEP_4) | instskip(NEXT) | instid1(VALU_DEP_2)
	v_bfe_u32 v39, v38, 21, 1
	v_cmp_eq_u32_e64 s14, v27, v48
	s_delay_alu instid0(VALU_DEP_2) | instskip(NEXT) | instid1(VALU_DEP_1)
	v_add_nc_u32_e32 v37, -1, v39
	v_cndmask_b32_e64 v27, 0, v37, s14
	v_lshrrev_b32_e32 v37, 23, v38
	s_mov_b32 s14, exec_lo
	s_delay_alu instid0(VALU_DEP_2) | instskip(NEXT) | instid1(VALU_DEP_2)
	v_add_nc_u32_e32 v27, v27, v38
	v_xor_b32_e32 v37, 1, v37
	s_delay_alu instid0(VALU_DEP_2) | instskip(NEXT) | instid1(VALU_DEP_1)
	v_and_b32_e32 v8, 0x1fffff, v27
	v_add_nc_u32_e32 v27, v8, v38
                                        ; implicit-def: $vgpr8
	s_delay_alu instid0(VALU_DEP_3)
	v_cmpx_ne_u32_e64 v36, v37
	s_xor_b32 s14, exec_lo, s14
; %bb.15510:                            ;   in Loop: Header=BB6_15250 Depth=3
	s_delay_alu instid0(VALU_DEP_2) | instskip(SKIP_2) | instid1(VALU_DEP_2)
	v_cmp_lt_u32_e32 vcc_lo, 0xffffff, v27
	v_sub_nc_u32_e32 v8, v36, v37
	v_cndmask_b32_e64 v36, 0, 1, vcc_lo
	v_add_co_ci_u32_e32 v8, vcc_lo, 0, v8, vcc_lo
	s_delay_alu instid0(VALU_DEP_2)
	v_lshrrev_b32_e32 v27, v36, v27
; %bb.15511:                            ;   in Loop: Header=BB6_15250 Depth=3
	s_and_not1_saveexec_b32 s14, s14
; %bb.15512:                            ;   in Loop: Header=BB6_15250 Depth=3
	s_delay_alu instid0(VALU_DEP_1)
	v_bfe_u32 v8, v27, 23, 1
; %bb.15513:                            ;   in Loop: Header=BB6_15250 Depth=3
	s_or_b32 exec_lo, exec_lo, s14
	v_lshrrev_b32_e32 v27, 21, v27
	s_delay_alu instid0(VALU_DEP_2) | instskip(SKIP_2) | instid1(VALU_DEP_2)
	v_cmp_gt_i32_e32 vcc_lo, 32, v8
	v_lshrrev_b32_e32 v26, 24, v26
	v_min_i32_e32 v36, 31, v8
	v_dual_cndmask_b32 v27, 3, v27 :: v_dual_and_b32 v26, 0x80, v26
	s_delay_alu instid0(VALU_DEP_2) | instskip(NEXT) | instid1(VALU_DEP_2)
	v_lshlrev_b32_e32 v36, 2, v36
	v_or_b32_e32 v8, v8, v27
	s_delay_alu instid0(VALU_DEP_1) | instskip(SKIP_1) | instid1(VALU_DEP_1)
	v_cmp_ne_u32_e32 vcc_lo, 0, v8
	v_and_b32_e32 v37, 3, v27
	v_or3_b32 v26, v36, v26, v37
	s_delay_alu instid0(VALU_DEP_1)
	v_cndmask_b32_e32 v8, 0, v26, vcc_lo
.LBB6_15514:                            ;   in Loop: Header=BB6_15250 Depth=3
	s_or_b32 exec_lo, exec_lo, s34
.LBB6_15515:                            ;   in Loop: Header=BB6_15250 Depth=3
	s_delay_alu instid0(SALU_CYCLE_1) | instskip(SKIP_3) | instid1(VALU_DEP_1)
	s_or_b32 exec_lo, exec_lo, s31
	v_or_b32_e32 v26, v161, v144
	s_mov_b32 s14, 0
	s_mov_b32 s34, exec_lo
                                        ; implicit-def: $sgpr31
	v_and_b32_e32 v36, 0xff, v26
	s_delay_alu instid0(VALU_DEP_1)
	v_cmpx_lt_i16_e32 0x7f, v36
	s_xor_b32 s34, exec_lo, s34
	s_cbranch_execnz .LBB6_15801
; %bb.15516:                            ;   in Loop: Header=BB6_15250 Depth=3
	s_or_saveexec_b32 s34, s34
	v_mov_b32_e32 v27, s31
	s_xor_b32 exec_lo, exec_lo, s34
	s_cbranch_execnz .LBB6_15804
.LBB6_15517:                            ;   in Loop: Header=BB6_15250 Depth=3
	s_or_b32 exec_lo, exec_lo, s34
	s_and_saveexec_b32 s31, s14
	s_cbranch_execz .LBB6_15519
.LBB6_15518:                            ;   in Loop: Header=BB6_15250 Depth=3
	v_bfe_u32 v38, v26, 2, 5
	v_lshlrev_b32_e32 v39, 24, v26
	s_delay_alu instid0(VALU_DEP_2) | instskip(SKIP_1) | instid1(VALU_DEP_1)
	v_cmp_eq_u32_e32 vcc_lo, 0, v38
	v_and_b32_e32 v27, 3, v26
	v_clz_i32_u32_e32 v36, v27
	s_delay_alu instid0(VALU_DEP_1) | instskip(NEXT) | instid1(VALU_DEP_1)
	v_min_u32_e32 v36, 32, v36
	v_subrev_nc_u32_e32 v37, 29, v36
	v_sub_nc_u32_e32 v36, 30, v36
	s_delay_alu instid0(VALU_DEP_1) | instskip(NEXT) | instid1(VALU_DEP_1)
	v_dual_cndmask_b32 v36, v38, v36 :: v_dual_lshlrev_b32 v37, v37, v26
	v_and_b32_e32 v37, 3, v37
	s_delay_alu instid0(VALU_DEP_2) | instskip(NEXT) | instid1(VALU_DEP_2)
	v_lshl_add_u32 v36, v36, 23, 0x37800000
	v_cndmask_b32_e32 v27, v27, v37, vcc_lo
	v_and_b32_e32 v37, 0x80000000, v39
	s_delay_alu instid0(VALU_DEP_2) | instskip(NEXT) | instid1(VALU_DEP_1)
	v_lshlrev_b32_e32 v27, 21, v27
	v_or3_b32 v27, v37, v36, v27
.LBB6_15519:                            ;   in Loop: Header=BB6_15250 Depth=3
	s_or_b32 exec_lo, exec_lo, s31
	v_and_b32_e32 v37, 0xff, v9
	s_mov_b32 s14, 0
	s_mov_b32 s34, exec_lo
                                        ; implicit-def: $sgpr31
	s_delay_alu instid0(VALU_DEP_1)
	v_cmpx_lt_i16_e32 0x7f, v37
	s_xor_b32 s34, exec_lo, s34
	s_cbranch_execnz .LBB6_15805
; %bb.15520:                            ;   in Loop: Header=BB6_15250 Depth=3
	s_or_saveexec_b32 s34, s34
	v_mov_b32_e32 v36, s31
	s_xor_b32 exec_lo, exec_lo, s34
	s_cbranch_execnz .LBB6_15808
.LBB6_15521:                            ;   in Loop: Header=BB6_15250 Depth=3
	s_or_b32 exec_lo, exec_lo, s34
	s_and_saveexec_b32 s31, s14
	s_cbranch_execz .LBB6_15523
.LBB6_15522:                            ;   in Loop: Header=BB6_15250 Depth=3
	v_and_b32_e32 v36, 3, v9
	v_bfe_u32 v39, v9, 2, 5
	v_lshlrev_b32_e32 v48, 24, v9
	s_delay_alu instid0(VALU_DEP_3) | instskip(NEXT) | instid1(VALU_DEP_3)
	v_clz_i32_u32_e32 v37, v36
	v_cmp_eq_u32_e32 vcc_lo, 0, v39
	s_delay_alu instid0(VALU_DEP_2) | instskip(NEXT) | instid1(VALU_DEP_1)
	v_min_u32_e32 v37, 32, v37
	v_subrev_nc_u32_e32 v38, 29, v37
	v_sub_nc_u32_e32 v37, 30, v37
	s_delay_alu instid0(VALU_DEP_2) | instskip(NEXT) | instid1(VALU_DEP_1)
	v_lshlrev_b32_e32 v38, v38, v9
	v_dual_cndmask_b32 v37, v39, v37 :: v_dual_and_b32 v38, 3, v38
	s_delay_alu instid0(VALU_DEP_1) | instskip(NEXT) | instid1(VALU_DEP_2)
	v_lshl_add_u32 v37, v37, 23, 0x37800000
	v_cndmask_b32_e32 v36, v36, v38, vcc_lo
	v_and_b32_e32 v38, 0x80000000, v48
	s_delay_alu instid0(VALU_DEP_2) | instskip(NEXT) | instid1(VALU_DEP_1)
	v_lshlrev_b32_e32 v36, 21, v36
	v_or3_b32 v36, v38, v37, v36
.LBB6_15523:                            ;   in Loop: Header=BB6_15250 Depth=3
	s_or_b32 exec_lo, exec_lo, s31
	s_delay_alu instid0(VALU_DEP_1) | instskip(SKIP_1) | instid1(VALU_DEP_1)
	v_dual_add_f32 v27, v27, v36 :: v_dual_mov_b32 v132, 0x80
	s_mov_b32 s31, exec_lo
	v_and_b32_e32 v36, 0x7f800000, v27
	s_delay_alu instid0(VALU_DEP_1)
	v_cmpx_ne_u32_e32 0x7f800000, v36
	s_cbranch_execz .LBB6_15531
; %bb.15524:                            ;   in Loop: Header=BB6_15250 Depth=3
	v_mov_b32_e32 v132, 0
	s_mov_b32 s34, exec_lo
	v_cmpx_ne_u32_e32 0, v27
	s_cbranch_execz .LBB6_15530
; %bb.15525:                            ;   in Loop: Header=BB6_15250 Depth=3
	v_bfe_u32 v36, v27, 23, 8
	s_delay_alu instid0(VALU_DEP_1) | instskip(SKIP_1) | instid1(VALU_DEP_2)
	v_sub_nc_u32_e32 v38, 0x70, v36
	v_cmp_gt_u32_e32 vcc_lo, 0x71, v36
	v_dual_cndmask_b32 v38, 0, v38 :: v_dual_and_b32 v37, 0x7fffff, v27
	s_delay_alu instid0(VALU_DEP_1) | instskip(SKIP_2) | instid1(VALU_DEP_4)
	v_or_b32_e32 v39, 0x800000, v37
	v_cmp_eq_u32_e32 vcc_lo, 0, v36
	v_add_nc_u32_e32 v36, 0xffffff91, v36
	v_cndmask_b32_e64 v38, v38, 0x6f, vcc_lo
	s_delay_alu instid0(VALU_DEP_4) | instskip(NEXT) | instid1(VALU_DEP_3)
	v_cndmask_b32_e32 v37, v39, v37, vcc_lo
	v_cndmask_b32_e64 v36, v36, 0xffffff92, vcc_lo
	s_delay_alu instid0(VALU_DEP_3) | instskip(NEXT) | instid1(VALU_DEP_3)
	v_lshl_add_u32 v39, 0x200000, v38, -1
	v_lshrrev_b32_e32 v48, v38, v37
	v_lshlrev_b32_e64 v50, v38, 0x100000
	s_delay_alu instid0(VALU_DEP_4) | instskip(NEXT) | instid1(VALU_DEP_4)
	v_add_nc_u32_e32 v38, v38, v36
	v_and_b32_e32 v37, v39, v37
	s_delay_alu instid0(VALU_DEP_4) | instskip(NEXT) | instid1(VALU_DEP_2)
	v_bfe_u32 v49, v48, 21, 1
	v_cmp_eq_u32_e64 s14, v37, v50
	s_delay_alu instid0(VALU_DEP_2) | instskip(NEXT) | instid1(VALU_DEP_1)
	v_add_nc_u32_e32 v39, -1, v49
	v_cndmask_b32_e64 v37, 0, v39, s14
	v_lshrrev_b32_e32 v39, 23, v48
	s_mov_b32 s14, exec_lo
	s_delay_alu instid0(VALU_DEP_2) | instskip(NEXT) | instid1(VALU_DEP_2)
	v_add_nc_u32_e32 v37, v37, v48
	v_xor_b32_e32 v39, 1, v39
	s_delay_alu instid0(VALU_DEP_2) | instskip(NEXT) | instid1(VALU_DEP_1)
	v_and_b32_e32 v36, 0x1fffff, v37
	v_add_nc_u32_e32 v37, v36, v48
                                        ; implicit-def: $vgpr36
	s_delay_alu instid0(VALU_DEP_3)
	v_cmpx_ne_u32_e64 v38, v39
	s_xor_b32 s14, exec_lo, s14
; %bb.15526:                            ;   in Loop: Header=BB6_15250 Depth=3
	s_delay_alu instid0(VALU_DEP_2) | instskip(SKIP_2) | instid1(VALU_DEP_2)
	v_cmp_lt_u32_e32 vcc_lo, 0xffffff, v37
	v_sub_nc_u32_e32 v36, v38, v39
	v_cndmask_b32_e64 v38, 0, 1, vcc_lo
	v_add_co_ci_u32_e32 v36, vcc_lo, 0, v36, vcc_lo
	s_delay_alu instid0(VALU_DEP_2)
	v_lshrrev_b32_e32 v37, v38, v37
; %bb.15527:                            ;   in Loop: Header=BB6_15250 Depth=3
	s_and_not1_saveexec_b32 s14, s14
; %bb.15528:                            ;   in Loop: Header=BB6_15250 Depth=3
	s_delay_alu instid0(VALU_DEP_1)
	v_bfe_u32 v36, v37, 23, 1
; %bb.15529:                            ;   in Loop: Header=BB6_15250 Depth=3
	s_or_b32 exec_lo, exec_lo, s14
	v_lshrrev_b32_e32 v37, 21, v37
	s_delay_alu instid0(VALU_DEP_2) | instskip(SKIP_2) | instid1(VALU_DEP_2)
	v_cmp_gt_i32_e32 vcc_lo, 32, v36
	v_min_i32_e32 v38, 31, v36
	v_lshrrev_b32_e32 v27, 24, v27
	v_dual_cndmask_b32 v37, 3, v37 :: v_dual_lshlrev_b32 v38, 2, v38
	s_delay_alu instid0(VALU_DEP_2) | instskip(NEXT) | instid1(VALU_DEP_2)
	v_and_b32_e32 v27, 0x80, v27
	v_or_b32_e32 v36, v36, v37
	s_delay_alu instid0(VALU_DEP_1) | instskip(SKIP_1) | instid1(VALU_DEP_1)
	v_cmp_ne_u32_e32 vcc_lo, 0, v36
	v_and_b32_e32 v39, 3, v37
	v_or3_b32 v27, v38, v27, v39
	s_delay_alu instid0(VALU_DEP_1)
	v_cndmask_b32_e32 v132, 0, v27, vcc_lo
.LBB6_15530:                            ;   in Loop: Header=BB6_15250 Depth=3
	s_or_b32 exec_lo, exec_lo, s34
.LBB6_15531:                            ;   in Loop: Header=BB6_15250 Depth=3
	s_delay_alu instid0(SALU_CYCLE_1) | instskip(SKIP_3) | instid1(VALU_DEP_1)
	s_or_b32 exec_lo, exec_lo, s31
	v_lshrrev_b16 v36, 8, v26
	s_mov_b32 s14, 0
	s_mov_b32 s34, exec_lo
                                        ; implicit-def: $sgpr31
	v_cmpx_lt_i16_e32 0x7f, v36
	s_xor_b32 s34, exec_lo, s34
	s_cbranch_execnz .LBB6_15809
; %bb.15532:                            ;   in Loop: Header=BB6_15250 Depth=3
	s_or_saveexec_b32 s34, s34
	v_mov_b32_e32 v27, s31
	s_xor_b32 exec_lo, exec_lo, s34
	s_cbranch_execnz .LBB6_15812
.LBB6_15533:                            ;   in Loop: Header=BB6_15250 Depth=3
	s_or_b32 exec_lo, exec_lo, s34
	s_and_saveexec_b32 s31, s14
	s_cbranch_execz .LBB6_15535
.LBB6_15534:                            ;   in Loop: Header=BB6_15250 Depth=3
	v_and_b32_e32 v27, 0xffff, v36
	s_delay_alu instid0(VALU_DEP_1) | instskip(NEXT) | instid1(VALU_DEP_1)
	v_and_b32_e32 v37, 3, v27
	v_clz_i32_u32_e32 v38, v37
	s_delay_alu instid0(VALU_DEP_1) | instskip(NEXT) | instid1(VALU_DEP_1)
	v_min_u32_e32 v38, 32, v38
	v_subrev_nc_u32_e32 v39, 29, v38
	v_sub_nc_u32_e32 v38, 30, v38
	s_delay_alu instid0(VALU_DEP_2) | instskip(SKIP_1) | instid1(VALU_DEP_2)
	v_lshlrev_b32_e32 v39, v39, v27
	v_bfe_u32 v27, v27, 2, 5
	v_and_b32_e32 v39, 3, v39
	s_delay_alu instid0(VALU_DEP_2) | instskip(SKIP_1) | instid1(VALU_DEP_1)
	v_cmp_eq_u32_e32 vcc_lo, 0, v27
	v_dual_cndmask_b32 v27, v27, v38 :: v_dual_lshlrev_b32 v36, 24, v36
	v_dual_cndmask_b32 v37, v37, v39 :: v_dual_and_b32 v36, 0x80000000, v36
	s_delay_alu instid0(VALU_DEP_2) | instskip(NEXT) | instid1(VALU_DEP_2)
	v_lshl_add_u32 v27, v27, 23, 0x37800000
	v_lshlrev_b32_e32 v37, 21, v37
	s_delay_alu instid0(VALU_DEP_1)
	v_or3_b32 v27, v36, v27, v37
.LBB6_15535:                            ;   in Loop: Header=BB6_15250 Depth=3
	s_or_b32 exec_lo, exec_lo, s31
	v_lshrrev_b16 v36, 8, v9
	s_mov_b32 s14, 0
	s_mov_b32 s34, exec_lo
                                        ; implicit-def: $sgpr31
	s_delay_alu instid0(VALU_DEP_1)
	v_cmpx_lt_i16_e32 0x7f, v36
	s_xor_b32 s34, exec_lo, s34
	s_cbranch_execnz .LBB6_15813
; %bb.15536:                            ;   in Loop: Header=BB6_15250 Depth=3
	s_or_saveexec_b32 s34, s34
	v_mov_b32_e32 v37, s31
	s_xor_b32 exec_lo, exec_lo, s34
	s_cbranch_execnz .LBB6_15816
.LBB6_15537:                            ;   in Loop: Header=BB6_15250 Depth=3
	s_or_b32 exec_lo, exec_lo, s34
	s_and_saveexec_b32 s31, s14
	s_cbranch_execz .LBB6_15539
.LBB6_15538:                            ;   in Loop: Header=BB6_15250 Depth=3
	v_and_b32_e32 v37, 0xffff, v36
	v_lshlrev_b32_e32 v36, 24, v36
	s_delay_alu instid0(VALU_DEP_2) | instskip(NEXT) | instid1(VALU_DEP_2)
	v_and_b32_e32 v38, 3, v37
	v_and_b32_e32 v36, 0x80000000, v36
	s_delay_alu instid0(VALU_DEP_2) | instskip(NEXT) | instid1(VALU_DEP_1)
	v_clz_i32_u32_e32 v39, v38
	v_min_u32_e32 v39, 32, v39
	s_delay_alu instid0(VALU_DEP_1) | instskip(SKIP_1) | instid1(VALU_DEP_2)
	v_subrev_nc_u32_e32 v48, 29, v39
	v_sub_nc_u32_e32 v39, 30, v39
	v_lshlrev_b32_e32 v48, v48, v37
	v_bfe_u32 v37, v37, 2, 5
	s_delay_alu instid0(VALU_DEP_2) | instskip(NEXT) | instid1(VALU_DEP_2)
	v_and_b32_e32 v48, 3, v48
	v_cmp_eq_u32_e32 vcc_lo, 0, v37
	s_delay_alu instid0(VALU_DEP_2) | instskip(NEXT) | instid1(VALU_DEP_1)
	v_dual_cndmask_b32 v37, v37, v39 :: v_dual_cndmask_b32 v38, v38, v48
	v_lshl_add_u32 v37, v37, 23, 0x37800000
	s_delay_alu instid0(VALU_DEP_2) | instskip(NEXT) | instid1(VALU_DEP_1)
	v_lshlrev_b32_e32 v38, 21, v38
	v_or3_b32 v37, v36, v37, v38
.LBB6_15539:                            ;   in Loop: Header=BB6_15250 Depth=3
	s_or_b32 exec_lo, exec_lo, s31
	s_delay_alu instid0(VALU_DEP_1) | instskip(SKIP_2) | instid1(VALU_DEP_2)
	v_add_f32_e32 v27, v27, v37
	v_mov_b32_e32 v115, 0x8000
	s_mov_b32 s31, exec_lo
	v_and_b32_e32 v36, 0x7f800000, v27
	s_delay_alu instid0(VALU_DEP_1)
	v_cmpx_ne_u32_e32 0x7f800000, v36
	s_cbranch_execz .LBB6_15547
; %bb.15540:                            ;   in Loop: Header=BB6_15250 Depth=3
	v_mov_b32_e32 v115, 0
	s_mov_b32 s34, exec_lo
	v_cmpx_ne_u32_e32 0, v27
	s_cbranch_execz .LBB6_15546
; %bb.15541:                            ;   in Loop: Header=BB6_15250 Depth=3
	v_bfe_u32 v36, v27, 23, 8
	s_delay_alu instid0(VALU_DEP_1) | instskip(SKIP_1) | instid1(VALU_DEP_2)
	v_sub_nc_u32_e32 v38, 0x70, v36
	v_cmp_gt_u32_e32 vcc_lo, 0x71, v36
	v_dual_cndmask_b32 v38, 0, v38 :: v_dual_and_b32 v37, 0x7fffff, v27
	s_delay_alu instid0(VALU_DEP_1) | instskip(SKIP_2) | instid1(VALU_DEP_4)
	v_or_b32_e32 v39, 0x800000, v37
	v_cmp_eq_u32_e32 vcc_lo, 0, v36
	v_add_nc_u32_e32 v36, 0xffffff91, v36
	v_cndmask_b32_e64 v38, v38, 0x6f, vcc_lo
	s_delay_alu instid0(VALU_DEP_4) | instskip(NEXT) | instid1(VALU_DEP_3)
	v_cndmask_b32_e32 v37, v39, v37, vcc_lo
	v_cndmask_b32_e64 v36, v36, 0xffffff92, vcc_lo
	s_delay_alu instid0(VALU_DEP_3) | instskip(NEXT) | instid1(VALU_DEP_3)
	v_lshl_add_u32 v39, 0x200000, v38, -1
	v_lshrrev_b32_e32 v48, v38, v37
	v_lshlrev_b32_e64 v50, v38, 0x100000
	s_delay_alu instid0(VALU_DEP_4) | instskip(NEXT) | instid1(VALU_DEP_4)
	v_add_nc_u32_e32 v38, v38, v36
	v_and_b32_e32 v37, v39, v37
	s_delay_alu instid0(VALU_DEP_4) | instskip(NEXT) | instid1(VALU_DEP_2)
	v_bfe_u32 v49, v48, 21, 1
	v_cmp_eq_u32_e64 s14, v37, v50
	s_delay_alu instid0(VALU_DEP_2) | instskip(NEXT) | instid1(VALU_DEP_1)
	v_add_nc_u32_e32 v39, -1, v49
	v_cndmask_b32_e64 v37, 0, v39, s14
	v_lshrrev_b32_e32 v39, 23, v48
	s_mov_b32 s14, exec_lo
	s_delay_alu instid0(VALU_DEP_2) | instskip(NEXT) | instid1(VALU_DEP_2)
	v_add_nc_u32_e32 v37, v37, v48
	v_xor_b32_e32 v39, 1, v39
	s_delay_alu instid0(VALU_DEP_2) | instskip(NEXT) | instid1(VALU_DEP_1)
	v_and_b32_e32 v36, 0x1fffff, v37
	v_add_nc_u32_e32 v37, v36, v48
                                        ; implicit-def: $vgpr36
	s_delay_alu instid0(VALU_DEP_3)
	v_cmpx_ne_u32_e64 v38, v39
	s_xor_b32 s14, exec_lo, s14
; %bb.15542:                            ;   in Loop: Header=BB6_15250 Depth=3
	s_delay_alu instid0(VALU_DEP_2) | instskip(SKIP_2) | instid1(VALU_DEP_2)
	v_cmp_lt_u32_e32 vcc_lo, 0xffffff, v37
	v_sub_nc_u32_e32 v36, v38, v39
	v_cndmask_b32_e64 v38, 0, 1, vcc_lo
	v_add_co_ci_u32_e32 v36, vcc_lo, 0, v36, vcc_lo
	s_delay_alu instid0(VALU_DEP_2)
	v_lshrrev_b32_e32 v37, v38, v37
; %bb.15543:                            ;   in Loop: Header=BB6_15250 Depth=3
	s_and_not1_saveexec_b32 s14, s14
; %bb.15544:                            ;   in Loop: Header=BB6_15250 Depth=3
	s_delay_alu instid0(VALU_DEP_1)
	v_bfe_u32 v36, v37, 23, 1
; %bb.15545:                            ;   in Loop: Header=BB6_15250 Depth=3
	s_or_b32 exec_lo, exec_lo, s14
	v_lshrrev_b32_e32 v37, 21, v37
	s_delay_alu instid0(VALU_DEP_2) | instskip(SKIP_2) | instid1(VALU_DEP_2)
	v_cmp_gt_i32_e32 vcc_lo, 32, v36
	v_min_i32_e32 v38, 31, v36
	v_lshrrev_b32_e32 v27, 24, v27
	v_dual_cndmask_b32 v37, 3, v37 :: v_dual_lshlrev_b32 v38, 2, v38
	s_delay_alu instid0(VALU_DEP_2) | instskip(NEXT) | instid1(VALU_DEP_2)
	v_and_b32_e32 v27, 0x80, v27
	v_or_b32_e32 v36, v36, v37
	v_and_b32_e32 v39, 3, v37
	s_delay_alu instid0(VALU_DEP_2) | instskip(SKIP_1) | instid1(VALU_DEP_1)
	v_cmp_ne_u32_e32 vcc_lo, 0, v36
	v_and_b32_e32 v38, 0xfc, v38
	v_or3_b32 v27, v27, v38, v39
	s_delay_alu instid0(VALU_DEP_1) | instskip(NEXT) | instid1(VALU_DEP_1)
	v_lshlrev_b32_e32 v27, 8, v27
	v_cndmask_b32_e32 v115, 0, v27, vcc_lo
.LBB6_15546:                            ;   in Loop: Header=BB6_15250 Depth=3
	s_or_b32 exec_lo, exec_lo, s34
.LBB6_15547:                            ;   in Loop: Header=BB6_15250 Depth=3
	s_delay_alu instid0(SALU_CYCLE_1) | instskip(SKIP_3) | instid1(VALU_DEP_1)
	s_or_b32 exec_lo, exec_lo, s31
	v_or_b32_e32 v36, v160, v129
	s_mov_b32 s14, 0
	s_mov_b32 s34, exec_lo
                                        ; implicit-def: $sgpr31
	v_and_b32_e32 v37, 0xff, v36
	s_delay_alu instid0(VALU_DEP_1)
	v_cmpx_lt_i16_e32 0x7f, v37
	s_xor_b32 s34, exec_lo, s34
	s_cbranch_execnz .LBB6_15817
; %bb.15548:                            ;   in Loop: Header=BB6_15250 Depth=3
	s_or_saveexec_b32 s34, s34
	v_mov_b32_e32 v27, s31
	s_xor_b32 exec_lo, exec_lo, s34
	s_cbranch_execnz .LBB6_15820
.LBB6_15549:                            ;   in Loop: Header=BB6_15250 Depth=3
	s_or_b32 exec_lo, exec_lo, s34
	v_lshl_or_b32 v26, v36, 16, v26
	s_and_saveexec_b32 s31, s14
	s_cbranch_execz .LBB6_15551
.LBB6_15550:                            ;   in Loop: Header=BB6_15250 Depth=3
	s_delay_alu instid0(VALU_DEP_1) | instskip(SKIP_2) | instid1(VALU_DEP_3)
	v_bfe_u32 v27, v26, 16, 2
	v_lshrrev_b32_e32 v37, 16, v26
	v_lshlrev_b32_e32 v39, 8, v26
	v_clz_i32_u32_e32 v36, v27
	s_delay_alu instid0(VALU_DEP_1) | instskip(NEXT) | instid1(VALU_DEP_1)
	v_min_u32_e32 v36, 32, v36
	v_subrev_nc_u32_e32 v38, 29, v36
	v_sub_nc_u32_e32 v36, 30, v36
	s_delay_alu instid0(VALU_DEP_2) | instskip(SKIP_1) | instid1(VALU_DEP_1)
	v_lshlrev_b32_e32 v37, v38, v37
	v_bfe_u32 v38, v26, 18, 5
	v_cmp_eq_u32_e32 vcc_lo, 0, v38
	s_delay_alu instid0(VALU_DEP_3) | instskip(NEXT) | instid1(VALU_DEP_1)
	v_dual_cndmask_b32 v36, v38, v36 :: v_dual_and_b32 v37, 3, v37
	v_cndmask_b32_e32 v27, v27, v37, vcc_lo
	v_and_b32_e32 v37, 0x80000000, v39
	s_delay_alu instid0(VALU_DEP_3) | instskip(NEXT) | instid1(VALU_DEP_3)
	v_lshl_add_u32 v36, v36, 23, 0x37800000
	v_lshlrev_b32_e32 v27, 21, v27
	s_delay_alu instid0(VALU_DEP_1)
	v_or3_b32 v27, v37, v36, v27
.LBB6_15551:                            ;   in Loop: Header=BB6_15250 Depth=3
	s_or_b32 exec_lo, exec_lo, s31
	v_lshrrev_b32_e32 v36, 16, v9
	s_mov_b32 s14, 0
	s_mov_b32 s34, exec_lo
                                        ; implicit-def: $sgpr31
	s_delay_alu instid0(VALU_DEP_1) | instskip(NEXT) | instid1(VALU_DEP_1)
	v_and_b32_e32 v38, 0xff, v36
	v_cmpx_lt_i16_e32 0x7f, v38
	s_xor_b32 s34, exec_lo, s34
	s_cbranch_execnz .LBB6_15821
; %bb.15552:                            ;   in Loop: Header=BB6_15250 Depth=3
	s_or_saveexec_b32 s34, s34
	v_mov_b32_e32 v37, s31
	s_xor_b32 exec_lo, exec_lo, s34
	s_cbranch_execnz .LBB6_15824
.LBB6_15553:                            ;   in Loop: Header=BB6_15250 Depth=3
	s_or_b32 exec_lo, exec_lo, s34
	s_and_saveexec_b32 s31, s14
	s_cbranch_execz .LBB6_15555
.LBB6_15554:                            ;   in Loop: Header=BB6_15250 Depth=3
	v_bfe_u32 v37, v9, 16, 2
	v_lshlrev_b32_e32 v48, 8, v9
	s_delay_alu instid0(VALU_DEP_2) | instskip(NEXT) | instid1(VALU_DEP_1)
	v_clz_i32_u32_e32 v38, v37
	v_min_u32_e32 v38, 32, v38
	s_delay_alu instid0(VALU_DEP_1) | instskip(SKIP_1) | instid1(VALU_DEP_2)
	v_subrev_nc_u32_e32 v39, 29, v38
	v_sub_nc_u32_e32 v38, 30, v38
	v_lshlrev_b32_e32 v36, v39, v36
	v_bfe_u32 v39, v9, 18, 5
	s_delay_alu instid0(VALU_DEP_2) | instskip(NEXT) | instid1(VALU_DEP_2)
	v_and_b32_e32 v36, 3, v36
	v_cmp_eq_u32_e32 vcc_lo, 0, v39
	v_cndmask_b32_e32 v38, v39, v38, vcc_lo
	s_delay_alu instid0(VALU_DEP_3) | instskip(SKIP_1) | instid1(VALU_DEP_3)
	v_cndmask_b32_e32 v36, v37, v36, vcc_lo
	v_and_b32_e32 v37, 0x80000000, v48
	v_lshl_add_u32 v38, v38, 23, 0x37800000
	s_delay_alu instid0(VALU_DEP_3) | instskip(NEXT) | instid1(VALU_DEP_1)
	v_lshlrev_b32_e32 v36, 21, v36
	v_or3_b32 v37, v37, v38, v36
.LBB6_15555:                            ;   in Loop: Header=BB6_15250 Depth=3
	s_or_b32 exec_lo, exec_lo, s31
	s_delay_alu instid0(VALU_DEP_1) | instskip(SKIP_2) | instid1(VALU_DEP_2)
	v_add_f32_e32 v27, v27, v37
	v_mov_b32_e32 v129, 0x80
	s_mov_b32 s31, exec_lo
	v_and_b32_e32 v36, 0x7f800000, v27
	s_delay_alu instid0(VALU_DEP_1)
	v_cmpx_ne_u32_e32 0x7f800000, v36
	s_cbranch_execz .LBB6_15563
; %bb.15556:                            ;   in Loop: Header=BB6_15250 Depth=3
	v_mov_b32_e32 v129, 0
	s_mov_b32 s34, exec_lo
	v_cmpx_ne_u32_e32 0, v27
	s_cbranch_execz .LBB6_15562
; %bb.15557:                            ;   in Loop: Header=BB6_15250 Depth=3
	v_bfe_u32 v36, v27, 23, 8
	s_delay_alu instid0(VALU_DEP_1) | instskip(SKIP_1) | instid1(VALU_DEP_2)
	v_sub_nc_u32_e32 v38, 0x70, v36
	v_cmp_gt_u32_e32 vcc_lo, 0x71, v36
	v_dual_cndmask_b32 v38, 0, v38 :: v_dual_and_b32 v37, 0x7fffff, v27
	s_delay_alu instid0(VALU_DEP_1) | instskip(SKIP_2) | instid1(VALU_DEP_4)
	v_or_b32_e32 v39, 0x800000, v37
	v_cmp_eq_u32_e32 vcc_lo, 0, v36
	v_add_nc_u32_e32 v36, 0xffffff91, v36
	v_cndmask_b32_e64 v38, v38, 0x6f, vcc_lo
	s_delay_alu instid0(VALU_DEP_4) | instskip(NEXT) | instid1(VALU_DEP_3)
	v_cndmask_b32_e32 v37, v39, v37, vcc_lo
	v_cndmask_b32_e64 v36, v36, 0xffffff92, vcc_lo
	s_delay_alu instid0(VALU_DEP_3) | instskip(NEXT) | instid1(VALU_DEP_3)
	v_lshl_add_u32 v39, 0x200000, v38, -1
	v_lshrrev_b32_e32 v48, v38, v37
	v_lshlrev_b32_e64 v50, v38, 0x100000
	s_delay_alu instid0(VALU_DEP_4) | instskip(NEXT) | instid1(VALU_DEP_4)
	v_add_nc_u32_e32 v38, v38, v36
	v_and_b32_e32 v37, v39, v37
	s_delay_alu instid0(VALU_DEP_4) | instskip(NEXT) | instid1(VALU_DEP_2)
	v_bfe_u32 v49, v48, 21, 1
	v_cmp_eq_u32_e64 s14, v37, v50
	s_delay_alu instid0(VALU_DEP_2) | instskip(NEXT) | instid1(VALU_DEP_1)
	v_add_nc_u32_e32 v39, -1, v49
	v_cndmask_b32_e64 v37, 0, v39, s14
	v_lshrrev_b32_e32 v39, 23, v48
	s_mov_b32 s14, exec_lo
	s_delay_alu instid0(VALU_DEP_2) | instskip(NEXT) | instid1(VALU_DEP_2)
	v_add_nc_u32_e32 v37, v37, v48
	v_xor_b32_e32 v39, 1, v39
	s_delay_alu instid0(VALU_DEP_2) | instskip(NEXT) | instid1(VALU_DEP_1)
	v_and_b32_e32 v36, 0x1fffff, v37
	v_add_nc_u32_e32 v37, v36, v48
                                        ; implicit-def: $vgpr36
	s_delay_alu instid0(VALU_DEP_3)
	v_cmpx_ne_u32_e64 v38, v39
	s_xor_b32 s14, exec_lo, s14
; %bb.15558:                            ;   in Loop: Header=BB6_15250 Depth=3
	s_delay_alu instid0(VALU_DEP_2) | instskip(SKIP_2) | instid1(VALU_DEP_2)
	v_cmp_lt_u32_e32 vcc_lo, 0xffffff, v37
	v_sub_nc_u32_e32 v36, v38, v39
	v_cndmask_b32_e64 v38, 0, 1, vcc_lo
	v_add_co_ci_u32_e32 v36, vcc_lo, 0, v36, vcc_lo
	s_delay_alu instid0(VALU_DEP_2)
	v_lshrrev_b32_e32 v37, v38, v37
; %bb.15559:                            ;   in Loop: Header=BB6_15250 Depth=3
	s_and_not1_saveexec_b32 s14, s14
; %bb.15560:                            ;   in Loop: Header=BB6_15250 Depth=3
	s_delay_alu instid0(VALU_DEP_1)
	v_bfe_u32 v36, v37, 23, 1
; %bb.15561:                            ;   in Loop: Header=BB6_15250 Depth=3
	s_or_b32 exec_lo, exec_lo, s14
	v_lshrrev_b32_e32 v37, 21, v37
	s_delay_alu instid0(VALU_DEP_2) | instskip(SKIP_2) | instid1(VALU_DEP_2)
	v_cmp_gt_i32_e32 vcc_lo, 32, v36
	v_min_i32_e32 v38, 31, v36
	v_lshrrev_b32_e32 v27, 24, v27
	v_dual_cndmask_b32 v37, 3, v37 :: v_dual_lshlrev_b32 v38, 2, v38
	s_delay_alu instid0(VALU_DEP_2) | instskip(NEXT) | instid1(VALU_DEP_2)
	v_and_b32_e32 v27, 0x80, v27
	v_or_b32_e32 v36, v36, v37
	v_and_b32_e32 v39, 3, v37
	s_delay_alu instid0(VALU_DEP_2) | instskip(SKIP_1) | instid1(VALU_DEP_1)
	v_cmp_ne_u32_e32 vcc_lo, 0, v36
	v_and_b32_e32 v38, 0xfc, v38
	v_or3_b32 v27, v38, v27, v39
	s_delay_alu instid0(VALU_DEP_1)
	v_cndmask_b32_e32 v129, 0, v27, vcc_lo
.LBB6_15562:                            ;   in Loop: Header=BB6_15250 Depth=3
	s_or_b32 exec_lo, exec_lo, s34
.LBB6_15563:                            ;   in Loop: Header=BB6_15250 Depth=3
	s_delay_alu instid0(SALU_CYCLE_1) | instskip(SKIP_3) | instid1(VALU_DEP_1)
	s_or_b32 exec_lo, exec_lo, s31
	v_lshrrev_b32_e32 v36, 24, v26
	s_mov_b32 s14, 0
	s_mov_b32 s34, exec_lo
                                        ; implicit-def: $sgpr31
	v_cmpx_lt_i16_e32 0x7f, v36
	s_xor_b32 s34, exec_lo, s34
	s_cbranch_execnz .LBB6_15825
; %bb.15564:                            ;   in Loop: Header=BB6_15250 Depth=3
	s_or_saveexec_b32 s34, s34
	v_mov_b32_e32 v27, s31
	s_xor_b32 exec_lo, exec_lo, s34
	s_cbranch_execnz .LBB6_15828
.LBB6_15565:                            ;   in Loop: Header=BB6_15250 Depth=3
	s_or_b32 exec_lo, exec_lo, s34
	s_and_saveexec_b32 s31, s14
	s_cbranch_execz .LBB6_15567
.LBB6_15566:                            ;   in Loop: Header=BB6_15250 Depth=3
	v_bfe_u32 v27, v26, 24, 2
	s_delay_alu instid0(VALU_DEP_1) | instskip(NEXT) | instid1(VALU_DEP_1)
	v_clz_i32_u32_e32 v37, v27
	v_min_u32_e32 v37, 32, v37
	s_delay_alu instid0(VALU_DEP_1) | instskip(SKIP_1) | instid1(VALU_DEP_2)
	v_subrev_nc_u32_e32 v38, 29, v37
	v_sub_nc_u32_e32 v37, 30, v37
	v_lshlrev_b32_e32 v36, v38, v36
	v_bfe_u32 v38, v26, 26, 5
	v_and_b32_e32 v26, 0x80000000, v26
	s_delay_alu instid0(VALU_DEP_2) | instskip(NEXT) | instid1(VALU_DEP_4)
	v_cmp_eq_u32_e32 vcc_lo, 0, v38
	v_dual_cndmask_b32 v37, v38, v37 :: v_dual_and_b32 v36, 3, v36
	s_delay_alu instid0(VALU_DEP_1) | instskip(NEXT) | instid1(VALU_DEP_2)
	v_cndmask_b32_e32 v27, v27, v36, vcc_lo
	v_lshl_add_u32 v36, v37, 23, 0x37800000
	s_delay_alu instid0(VALU_DEP_2) | instskip(NEXT) | instid1(VALU_DEP_1)
	v_lshlrev_b32_e32 v27, 21, v27
	v_or3_b32 v27, v26, v36, v27
.LBB6_15567:                            ;   in Loop: Header=BB6_15250 Depth=3
	s_or_b32 exec_lo, exec_lo, s31
	v_lshrrev_b32_e32 v26, 24, v9
	s_mov_b32 s14, 0
	s_mov_b32 s34, exec_lo
                                        ; implicit-def: $sgpr31
	s_delay_alu instid0(VALU_DEP_1)
	v_cmpx_lt_i16_e32 0x7f, v26
	s_xor_b32 s34, exec_lo, s34
	s_cbranch_execnz .LBB6_15829
; %bb.15568:                            ;   in Loop: Header=BB6_15250 Depth=3
	s_or_saveexec_b32 s34, s34
	v_mov_b32_e32 v36, s31
	s_xor_b32 exec_lo, exec_lo, s34
	s_cbranch_execnz .LBB6_15832
.LBB6_15569:                            ;   in Loop: Header=BB6_15250 Depth=3
	s_or_b32 exec_lo, exec_lo, s34
	s_and_saveexec_b32 s31, s14
	s_cbranch_execz .LBB6_15571
.LBB6_15570:                            ;   in Loop: Header=BB6_15250 Depth=3
	v_bfe_u32 v36, v9, 24, 2
	s_delay_alu instid0(VALU_DEP_1) | instskip(NEXT) | instid1(VALU_DEP_1)
	v_clz_i32_u32_e32 v37, v36
	v_min_u32_e32 v37, 32, v37
	s_delay_alu instid0(VALU_DEP_1) | instskip(SKIP_1) | instid1(VALU_DEP_2)
	v_subrev_nc_u32_e32 v38, 29, v37
	v_sub_nc_u32_e32 v37, 30, v37
	v_lshlrev_b32_e32 v26, v38, v26
	v_bfe_u32 v38, v9, 26, 5
	v_and_b32_e32 v9, 0x80000000, v9
	s_delay_alu instid0(VALU_DEP_2) | instskip(NEXT) | instid1(VALU_DEP_4)
	v_cmp_eq_u32_e32 vcc_lo, 0, v38
	v_dual_cndmask_b32 v37, v38, v37 :: v_dual_and_b32 v26, 3, v26
	s_delay_alu instid0(VALU_DEP_1) | instskip(NEXT) | instid1(VALU_DEP_2)
	v_cndmask_b32_e32 v26, v36, v26, vcc_lo
	v_lshl_add_u32 v36, v37, 23, 0x37800000
	s_delay_alu instid0(VALU_DEP_2) | instskip(NEXT) | instid1(VALU_DEP_1)
	v_lshlrev_b32_e32 v26, 21, v26
	v_or3_b32 v36, v9, v36, v26
.LBB6_15571:                            ;   in Loop: Header=BB6_15250 Depth=3
	s_or_b32 exec_lo, exec_lo, s31
	s_delay_alu instid0(VALU_DEP_1) | instskip(NEXT) | instid1(VALU_DEP_1)
	v_add_f32_e32 v26, v27, v36
	v_and_b32_e32 v9, 0x7f800000, v26
	s_delay_alu instid0(VALU_DEP_1)
	v_cmp_ne_u32_e32 vcc_lo, 0x7f800000, v9
	v_mov_b32_e32 v9, 0x8000
	s_and_saveexec_b32 s31, vcc_lo
	s_cbranch_execz .LBB6_15579
; %bb.15572:                            ;   in Loop: Header=BB6_15250 Depth=3
	v_mov_b32_e32 v9, 0
	s_mov_b32 s34, exec_lo
	v_cmpx_ne_u32_e32 0, v26
	s_cbranch_execz .LBB6_15578
; %bb.15573:                            ;   in Loop: Header=BB6_15250 Depth=3
	v_bfe_u32 v9, v26, 23, 8
	s_delay_alu instid0(VALU_DEP_1) | instskip(SKIP_1) | instid1(VALU_DEP_2)
	v_sub_nc_u32_e32 v36, 0x70, v9
	v_cmp_gt_u32_e32 vcc_lo, 0x71, v9
	v_dual_cndmask_b32 v36, 0, v36 :: v_dual_and_b32 v27, 0x7fffff, v26
	s_delay_alu instid0(VALU_DEP_1) | instskip(SKIP_2) | instid1(VALU_DEP_4)
	v_or_b32_e32 v37, 0x800000, v27
	v_cmp_eq_u32_e32 vcc_lo, 0, v9
	v_add_nc_u32_e32 v9, 0xffffff91, v9
	v_cndmask_b32_e64 v36, v36, 0x6f, vcc_lo
	s_delay_alu instid0(VALU_DEP_2) | instskip(SKIP_1) | instid1(VALU_DEP_3)
	v_cndmask_b32_e64 v9, v9, 0xffffff92, vcc_lo
	v_cndmask_b32_e32 v27, v37, v27, vcc_lo
	v_lshl_add_u32 v37, 0x200000, v36, -1
	v_lshlrev_b32_e64 v48, v36, 0x100000
	s_delay_alu instid0(VALU_DEP_3) | instskip(SKIP_1) | instid1(VALU_DEP_4)
	v_lshrrev_b32_e32 v38, v36, v27
	v_add_nc_u32_e32 v36, v36, v9
	v_and_b32_e32 v27, v37, v27
	s_delay_alu instid0(VALU_DEP_3) | instskip(NEXT) | instid1(VALU_DEP_2)
	v_bfe_u32 v39, v38, 21, 1
	v_cmp_eq_u32_e64 s14, v27, v48
	s_delay_alu instid0(VALU_DEP_2) | instskip(NEXT) | instid1(VALU_DEP_1)
	v_add_nc_u32_e32 v37, -1, v39
	v_cndmask_b32_e64 v27, 0, v37, s14
	v_lshrrev_b32_e32 v37, 23, v38
	s_mov_b32 s14, exec_lo
	s_delay_alu instid0(VALU_DEP_2) | instskip(NEXT) | instid1(VALU_DEP_2)
	v_add_nc_u32_e32 v27, v27, v38
	v_xor_b32_e32 v37, 1, v37
	s_delay_alu instid0(VALU_DEP_2) | instskip(NEXT) | instid1(VALU_DEP_1)
	v_and_b32_e32 v9, 0x1fffff, v27
	v_add_nc_u32_e32 v27, v9, v38
                                        ; implicit-def: $vgpr9
	s_delay_alu instid0(VALU_DEP_3)
	v_cmpx_ne_u32_e64 v36, v37
	s_xor_b32 s14, exec_lo, s14
; %bb.15574:                            ;   in Loop: Header=BB6_15250 Depth=3
	s_delay_alu instid0(VALU_DEP_2) | instskip(SKIP_2) | instid1(VALU_DEP_2)
	v_cmp_lt_u32_e32 vcc_lo, 0xffffff, v27
	v_sub_nc_u32_e32 v9, v36, v37
	v_cndmask_b32_e64 v36, 0, 1, vcc_lo
	v_add_co_ci_u32_e32 v9, vcc_lo, 0, v9, vcc_lo
	s_delay_alu instid0(VALU_DEP_2)
	v_lshrrev_b32_e32 v27, v36, v27
; %bb.15575:                            ;   in Loop: Header=BB6_15250 Depth=3
	s_and_not1_saveexec_b32 s14, s14
; %bb.15576:                            ;   in Loop: Header=BB6_15250 Depth=3
	s_delay_alu instid0(VALU_DEP_1)
	v_bfe_u32 v9, v27, 23, 1
; %bb.15577:                            ;   in Loop: Header=BB6_15250 Depth=3
	s_or_b32 exec_lo, exec_lo, s14
	v_lshrrev_b32_e32 v27, 21, v27
	s_delay_alu instid0(VALU_DEP_2) | instskip(SKIP_2) | instid1(VALU_DEP_2)
	v_cmp_gt_i32_e32 vcc_lo, 32, v9
	v_min_i32_e32 v36, 31, v9
	v_lshrrev_b32_e32 v26, 24, v26
	v_dual_cndmask_b32 v27, 3, v27 :: v_dual_lshlrev_b32 v36, 2, v36
	s_delay_alu instid0(VALU_DEP_2) | instskip(NEXT) | instid1(VALU_DEP_2)
	v_and_b32_e32 v26, 0x80, v26
	v_or_b32_e32 v9, v9, v27
	v_and_b32_e32 v37, 3, v27
	s_delay_alu instid0(VALU_DEP_2) | instskip(SKIP_1) | instid1(VALU_DEP_1)
	v_cmp_ne_u32_e32 vcc_lo, 0, v9
	v_and_b32_e32 v36, 0xfc, v36
	v_or3_b32 v26, v26, v36, v37
	s_delay_alu instid0(VALU_DEP_1) | instskip(NEXT) | instid1(VALU_DEP_1)
	v_lshlrev_b32_e32 v26, 8, v26
	v_cndmask_b32_e32 v9, 0, v26, vcc_lo
.LBB6_15578:                            ;   in Loop: Header=BB6_15250 Depth=3
	s_or_b32 exec_lo, exec_lo, s34
.LBB6_15579:                            ;   in Loop: Header=BB6_15250 Depth=3
	s_delay_alu instid0(SALU_CYCLE_1) | instskip(SKIP_3) | instid1(VALU_DEP_1)
	s_or_b32 exec_lo, exec_lo, s31
	v_and_b32_e32 v27, 0xff, v103
	s_mov_b32 s14, 0
	s_mov_b32 s34, exec_lo
                                        ; implicit-def: $sgpr31
	v_cmpx_lt_i16_e32 0x7f, v27
	s_xor_b32 s34, exec_lo, s34
	s_cbranch_execnz .LBB6_15833
; %bb.15580:                            ;   in Loop: Header=BB6_15250 Depth=3
	s_or_saveexec_b32 s34, s34
	v_mov_b32_e32 v26, s31
	s_xor_b32 exec_lo, exec_lo, s34
	s_cbranch_execnz .LBB6_15836
.LBB6_15581:                            ;   in Loop: Header=BB6_15250 Depth=3
	s_or_b32 exec_lo, exec_lo, s34
	s_and_saveexec_b32 s31, s14
	s_cbranch_execz .LBB6_15583
.LBB6_15582:                            ;   in Loop: Header=BB6_15250 Depth=3
	v_and_b32_e32 v26, 3, v103
	v_bfe_u32 v37, v103, 2, 5
	v_lshlrev_b32_e32 v38, 24, v103
	s_delay_alu instid0(VALU_DEP_3) | instskip(NEXT) | instid1(VALU_DEP_3)
	v_clz_i32_u32_e32 v27, v26
	v_cmp_eq_u32_e32 vcc_lo, 0, v37
	s_delay_alu instid0(VALU_DEP_2) | instskip(NEXT) | instid1(VALU_DEP_1)
	v_min_u32_e32 v27, 32, v27
	v_subrev_nc_u32_e32 v36, 29, v27
	v_sub_nc_u32_e32 v27, 30, v27
	s_delay_alu instid0(VALU_DEP_2) | instskip(NEXT) | instid1(VALU_DEP_1)
	v_lshlrev_b32_e32 v36, v36, v103
	v_dual_cndmask_b32 v27, v37, v27 :: v_dual_and_b32 v36, 3, v36
	s_delay_alu instid0(VALU_DEP_1) | instskip(NEXT) | instid1(VALU_DEP_2)
	v_lshl_add_u32 v27, v27, 23, 0x37800000
	v_cndmask_b32_e32 v26, v26, v36, vcc_lo
	v_and_b32_e32 v36, 0x80000000, v38
	s_delay_alu instid0(VALU_DEP_2) | instskip(NEXT) | instid1(VALU_DEP_1)
	v_lshlrev_b32_e32 v26, 21, v26
	v_or3_b32 v26, v36, v27, v26
.LBB6_15583:                            ;   in Loop: Header=BB6_15250 Depth=3
	s_or_b32 exec_lo, exec_lo, s31
	v_and_b32_e32 v36, 0xff, v10
	s_mov_b32 s14, 0
	s_mov_b32 s34, exec_lo
                                        ; implicit-def: $sgpr31
	s_delay_alu instid0(VALU_DEP_1)
	v_cmpx_lt_i16_e32 0x7f, v36
	s_xor_b32 s34, exec_lo, s34
	s_cbranch_execnz .LBB6_15837
; %bb.15584:                            ;   in Loop: Header=BB6_15250 Depth=3
	s_or_saveexec_b32 s34, s34
	v_mov_b32_e32 v27, s31
	s_xor_b32 exec_lo, exec_lo, s34
	s_cbranch_execnz .LBB6_15840
.LBB6_15585:                            ;   in Loop: Header=BB6_15250 Depth=3
	s_or_b32 exec_lo, exec_lo, s34
	s_and_saveexec_b32 s31, s14
	s_cbranch_execz .LBB6_15587
.LBB6_15586:                            ;   in Loop: Header=BB6_15250 Depth=3
	v_bfe_u32 v38, v10, 2, 5
	v_lshlrev_b32_e32 v39, 24, v10
	s_delay_alu instid0(VALU_DEP_2) | instskip(SKIP_1) | instid1(VALU_DEP_1)
	v_cmp_eq_u32_e32 vcc_lo, 0, v38
	v_and_b32_e32 v27, 3, v10
	v_clz_i32_u32_e32 v36, v27
	s_delay_alu instid0(VALU_DEP_1) | instskip(NEXT) | instid1(VALU_DEP_1)
	v_min_u32_e32 v36, 32, v36
	v_subrev_nc_u32_e32 v37, 29, v36
	v_sub_nc_u32_e32 v36, 30, v36
	s_delay_alu instid0(VALU_DEP_1) | instskip(NEXT) | instid1(VALU_DEP_1)
	v_dual_cndmask_b32 v36, v38, v36 :: v_dual_lshlrev_b32 v37, v37, v10
	v_and_b32_e32 v37, 3, v37
	s_delay_alu instid0(VALU_DEP_2) | instskip(NEXT) | instid1(VALU_DEP_2)
	v_lshl_add_u32 v36, v36, 23, 0x37800000
	v_cndmask_b32_e32 v27, v27, v37, vcc_lo
	v_and_b32_e32 v37, 0x80000000, v39
	s_delay_alu instid0(VALU_DEP_2) | instskip(NEXT) | instid1(VALU_DEP_1)
	v_lshlrev_b32_e32 v27, 21, v27
	v_or3_b32 v27, v37, v36, v27
.LBB6_15587:                            ;   in Loop: Header=BB6_15250 Depth=3
	s_or_b32 exec_lo, exec_lo, s31
	s_delay_alu instid0(VALU_DEP_1) | instskip(SKIP_2) | instid1(VALU_DEP_2)
	v_add_f32_e32 v26, v26, v27
	v_mov_b32_e32 v36, 0x80
	s_mov_b32 s31, exec_lo
	v_and_b32_e32 v27, 0x7f800000, v26
	s_delay_alu instid0(VALU_DEP_1)
	v_cmpx_ne_u32_e32 0x7f800000, v27
	s_cbranch_execz .LBB6_15595
; %bb.15588:                            ;   in Loop: Header=BB6_15250 Depth=3
	v_mov_b32_e32 v36, 0
	s_mov_b32 s34, exec_lo
	v_cmpx_ne_u32_e32 0, v26
	s_cbranch_execz .LBB6_15594
; %bb.15589:                            ;   in Loop: Header=BB6_15250 Depth=3
	v_bfe_u32 v27, v26, 23, 8
	s_delay_alu instid0(VALU_DEP_1) | instskip(SKIP_1) | instid1(VALU_DEP_2)
	v_sub_nc_u32_e32 v37, 0x70, v27
	v_cmp_gt_u32_e32 vcc_lo, 0x71, v27
	v_dual_cndmask_b32 v37, 0, v37 :: v_dual_and_b32 v36, 0x7fffff, v26
	s_delay_alu instid0(VALU_DEP_1) | instskip(SKIP_2) | instid1(VALU_DEP_4)
	v_or_b32_e32 v38, 0x800000, v36
	v_cmp_eq_u32_e32 vcc_lo, 0, v27
	v_add_nc_u32_e32 v27, 0xffffff91, v27
	v_cndmask_b32_e64 v37, v37, 0x6f, vcc_lo
	s_delay_alu instid0(VALU_DEP_4) | instskip(NEXT) | instid1(VALU_DEP_3)
	v_cndmask_b32_e32 v36, v38, v36, vcc_lo
	v_cndmask_b32_e64 v27, v27, 0xffffff92, vcc_lo
	s_delay_alu instid0(VALU_DEP_3) | instskip(NEXT) | instid1(VALU_DEP_3)
	v_lshl_add_u32 v38, 0x200000, v37, -1
	v_lshrrev_b32_e32 v39, v37, v36
	v_lshlrev_b32_e64 v49, v37, 0x100000
	s_delay_alu instid0(VALU_DEP_4) | instskip(NEXT) | instid1(VALU_DEP_4)
	v_add_nc_u32_e32 v37, v37, v27
	v_and_b32_e32 v36, v38, v36
	s_delay_alu instid0(VALU_DEP_4) | instskip(NEXT) | instid1(VALU_DEP_2)
	v_bfe_u32 v48, v39, 21, 1
	v_cmp_eq_u32_e64 s14, v36, v49
	s_delay_alu instid0(VALU_DEP_2) | instskip(NEXT) | instid1(VALU_DEP_1)
	v_add_nc_u32_e32 v38, -1, v48
	v_cndmask_b32_e64 v36, 0, v38, s14
	v_lshrrev_b32_e32 v38, 23, v39
	s_mov_b32 s14, exec_lo
	s_delay_alu instid0(VALU_DEP_2) | instskip(NEXT) | instid1(VALU_DEP_2)
	v_add_nc_u32_e32 v36, v36, v39
	v_xor_b32_e32 v38, 1, v38
	s_delay_alu instid0(VALU_DEP_2) | instskip(NEXT) | instid1(VALU_DEP_1)
	v_and_b32_e32 v27, 0x1fffff, v36
	v_add_nc_u32_e32 v36, v27, v39
                                        ; implicit-def: $vgpr27
	s_delay_alu instid0(VALU_DEP_3)
	v_cmpx_ne_u32_e64 v37, v38
	s_xor_b32 s14, exec_lo, s14
; %bb.15590:                            ;   in Loop: Header=BB6_15250 Depth=3
	s_delay_alu instid0(VALU_DEP_2) | instskip(SKIP_2) | instid1(VALU_DEP_2)
	v_cmp_lt_u32_e32 vcc_lo, 0xffffff, v36
	v_sub_nc_u32_e32 v27, v37, v38
	v_cndmask_b32_e64 v37, 0, 1, vcc_lo
	v_add_co_ci_u32_e32 v27, vcc_lo, 0, v27, vcc_lo
	s_delay_alu instid0(VALU_DEP_2)
	v_lshrrev_b32_e32 v36, v37, v36
; %bb.15591:                            ;   in Loop: Header=BB6_15250 Depth=3
	s_and_not1_saveexec_b32 s14, s14
; %bb.15592:                            ;   in Loop: Header=BB6_15250 Depth=3
	s_delay_alu instid0(VALU_DEP_1)
	v_bfe_u32 v27, v36, 23, 1
; %bb.15593:                            ;   in Loop: Header=BB6_15250 Depth=3
	s_or_b32 exec_lo, exec_lo, s14
	v_lshrrev_b32_e32 v36, 21, v36
	s_delay_alu instid0(VALU_DEP_2) | instskip(SKIP_2) | instid1(VALU_DEP_4)
	v_cmp_gt_i32_e32 vcc_lo, 32, v27
	v_lshrrev_b32_e32 v26, 24, v26
	v_min_i32_e32 v37, 31, v27
	v_cndmask_b32_e32 v36, 3, v36, vcc_lo
	s_delay_alu instid0(VALU_DEP_3) | instskip(NEXT) | instid1(VALU_DEP_3)
	v_and_b32_e32 v26, 0x80, v26
	v_lshlrev_b32_e32 v37, 2, v37
	s_delay_alu instid0(VALU_DEP_3) | instskip(SKIP_1) | instid1(VALU_DEP_2)
	v_and_b32_e32 v38, 3, v36
	v_or_b32_e32 v27, v27, v36
	v_or3_b32 v26, v37, v26, v38
	s_delay_alu instid0(VALU_DEP_2) | instskip(NEXT) | instid1(VALU_DEP_2)
	v_cmp_ne_u32_e32 vcc_lo, 0, v27
	v_cndmask_b32_e32 v36, 0, v26, vcc_lo
.LBB6_15594:                            ;   in Loop: Header=BB6_15250 Depth=3
	s_or_b32 exec_lo, exec_lo, s34
.LBB6_15595:                            ;   in Loop: Header=BB6_15250 Depth=3
	s_delay_alu instid0(SALU_CYCLE_1) | instskip(SKIP_3) | instid1(VALU_DEP_1)
	s_or_b32 exec_lo, exec_lo, s31
	v_and_b32_e32 v27, 0xff, v85
	s_mov_b32 s14, 0
	s_mov_b32 s34, exec_lo
                                        ; implicit-def: $sgpr31
	v_cmpx_lt_i16_e32 0x7f, v27
	s_xor_b32 s34, exec_lo, s34
	s_cbranch_execnz .LBB6_15841
; %bb.15596:                            ;   in Loop: Header=BB6_15250 Depth=3
	s_or_saveexec_b32 s34, s34
	v_mov_b32_e32 v26, s31
	s_xor_b32 exec_lo, exec_lo, s34
	s_cbranch_execnz .LBB6_15844
.LBB6_15597:                            ;   in Loop: Header=BB6_15250 Depth=3
	s_or_b32 exec_lo, exec_lo, s34
	s_and_saveexec_b32 s31, s14
	s_cbranch_execz .LBB6_15599
.LBB6_15598:                            ;   in Loop: Header=BB6_15250 Depth=3
	v_bfe_u32 v38, v85, 2, 5
	v_lshlrev_b32_e32 v39, 24, v85
	s_delay_alu instid0(VALU_DEP_2) | instskip(SKIP_1) | instid1(VALU_DEP_1)
	v_cmp_eq_u32_e32 vcc_lo, 0, v38
	v_and_b32_e32 v26, 3, v85
	v_clz_i32_u32_e32 v27, v26
	s_delay_alu instid0(VALU_DEP_1) | instskip(NEXT) | instid1(VALU_DEP_1)
	v_min_u32_e32 v27, 32, v27
	v_subrev_nc_u32_e32 v37, 29, v27
	v_sub_nc_u32_e32 v27, 30, v27
	s_delay_alu instid0(VALU_DEP_2) | instskip(NEXT) | instid1(VALU_DEP_2)
	v_lshlrev_b32_e32 v37, v37, v85
	v_cndmask_b32_e32 v27, v38, v27, vcc_lo
	s_delay_alu instid0(VALU_DEP_2) | instskip(NEXT) | instid1(VALU_DEP_2)
	v_and_b32_e32 v37, 3, v37
	v_lshl_add_u32 v27, v27, 23, 0x37800000
	s_delay_alu instid0(VALU_DEP_2) | instskip(NEXT) | instid1(VALU_DEP_1)
	v_dual_cndmask_b32 v26, v26, v37 :: v_dual_and_b32 v37, 0x80000000, v39
	v_lshlrev_b32_e32 v26, 21, v26
	s_delay_alu instid0(VALU_DEP_1)
	v_or3_b32 v26, v37, v27, v26
.LBB6_15599:                            ;   in Loop: Header=BB6_15250 Depth=3
	s_or_b32 exec_lo, exec_lo, s31
	v_lshrrev_b16 v27, 8, v10
	s_mov_b32 s14, 0
	s_mov_b32 s34, exec_lo
                                        ; implicit-def: $sgpr31
	s_delay_alu instid0(VALU_DEP_1)
	v_cmpx_lt_i16_e32 0x7f, v27
	s_xor_b32 s34, exec_lo, s34
	s_cbranch_execnz .LBB6_15845
; %bb.15600:                            ;   in Loop: Header=BB6_15250 Depth=3
	s_or_saveexec_b32 s34, s34
	v_mov_b32_e32 v37, s31
	s_xor_b32 exec_lo, exec_lo, s34
	s_cbranch_execnz .LBB6_15848
.LBB6_15601:                            ;   in Loop: Header=BB6_15250 Depth=3
	s_or_b32 exec_lo, exec_lo, s34
	s_and_saveexec_b32 s31, s14
	s_cbranch_execz .LBB6_15603
.LBB6_15602:                            ;   in Loop: Header=BB6_15250 Depth=3
	v_and_b32_e32 v37, 0xffff, v27
	v_lshlrev_b32_e32 v27, 24, v27
	s_delay_alu instid0(VALU_DEP_2) | instskip(NEXT) | instid1(VALU_DEP_2)
	v_and_b32_e32 v38, 3, v37
	v_and_b32_e32 v27, 0x80000000, v27
	s_delay_alu instid0(VALU_DEP_2) | instskip(NEXT) | instid1(VALU_DEP_1)
	v_clz_i32_u32_e32 v39, v38
	v_min_u32_e32 v39, 32, v39
	s_delay_alu instid0(VALU_DEP_1) | instskip(SKIP_1) | instid1(VALU_DEP_2)
	v_subrev_nc_u32_e32 v48, 29, v39
	v_sub_nc_u32_e32 v39, 30, v39
	v_lshlrev_b32_e32 v48, v48, v37
	v_bfe_u32 v37, v37, 2, 5
	s_delay_alu instid0(VALU_DEP_2) | instskip(NEXT) | instid1(VALU_DEP_2)
	v_and_b32_e32 v48, 3, v48
	v_cmp_eq_u32_e32 vcc_lo, 0, v37
	s_delay_alu instid0(VALU_DEP_2) | instskip(NEXT) | instid1(VALU_DEP_1)
	v_dual_cndmask_b32 v37, v37, v39 :: v_dual_cndmask_b32 v38, v38, v48
	v_lshl_add_u32 v37, v37, 23, 0x37800000
	s_delay_alu instid0(VALU_DEP_2) | instskip(NEXT) | instid1(VALU_DEP_1)
	v_lshlrev_b32_e32 v38, 21, v38
	v_or3_b32 v37, v27, v37, v38
.LBB6_15603:                            ;   in Loop: Header=BB6_15250 Depth=3
	s_or_b32 exec_lo, exec_lo, s31
	s_delay_alu instid0(VALU_DEP_1) | instskip(NEXT) | instid1(VALU_DEP_1)
	v_add_f32_e32 v27, v26, v37
	v_and_b32_e32 v26, 0x7f800000, v27
	s_delay_alu instid0(VALU_DEP_1)
	v_cmp_ne_u32_e32 vcc_lo, 0x7f800000, v26
	v_mov_b32_e32 v26, 0x80
	s_and_saveexec_b32 s31, vcc_lo
	s_cbranch_execz .LBB6_15611
; %bb.15604:                            ;   in Loop: Header=BB6_15250 Depth=3
	v_mov_b32_e32 v26, 0
	s_mov_b32 s34, exec_lo
	v_cmpx_ne_u32_e32 0, v27
	s_cbranch_execz .LBB6_15610
; %bb.15605:                            ;   in Loop: Header=BB6_15250 Depth=3
	v_bfe_u32 v26, v27, 23, 8
	s_delay_alu instid0(VALU_DEP_1) | instskip(SKIP_1) | instid1(VALU_DEP_2)
	v_sub_nc_u32_e32 v38, 0x70, v26
	v_cmp_gt_u32_e32 vcc_lo, 0x71, v26
	v_dual_cndmask_b32 v38, 0, v38 :: v_dual_and_b32 v37, 0x7fffff, v27
	s_delay_alu instid0(VALU_DEP_1) | instskip(SKIP_2) | instid1(VALU_DEP_4)
	v_or_b32_e32 v39, 0x800000, v37
	v_cmp_eq_u32_e32 vcc_lo, 0, v26
	v_add_nc_u32_e32 v26, 0xffffff91, v26
	v_cndmask_b32_e64 v38, v38, 0x6f, vcc_lo
	s_delay_alu instid0(VALU_DEP_4) | instskip(NEXT) | instid1(VALU_DEP_3)
	v_cndmask_b32_e32 v37, v39, v37, vcc_lo
	v_cndmask_b32_e64 v26, v26, 0xffffff92, vcc_lo
	s_delay_alu instid0(VALU_DEP_3) | instskip(NEXT) | instid1(VALU_DEP_3)
	v_lshl_add_u32 v39, 0x200000, v38, -1
	v_lshrrev_b32_e32 v48, v38, v37
	v_lshlrev_b32_e64 v50, v38, 0x100000
	s_delay_alu instid0(VALU_DEP_4) | instskip(NEXT) | instid1(VALU_DEP_4)
	v_add_nc_u32_e32 v38, v38, v26
	v_and_b32_e32 v37, v39, v37
	s_delay_alu instid0(VALU_DEP_4) | instskip(NEXT) | instid1(VALU_DEP_2)
	v_bfe_u32 v49, v48, 21, 1
	v_cmp_eq_u32_e64 s14, v37, v50
	s_delay_alu instid0(VALU_DEP_2) | instskip(NEXT) | instid1(VALU_DEP_1)
	v_add_nc_u32_e32 v39, -1, v49
	v_cndmask_b32_e64 v37, 0, v39, s14
	v_lshrrev_b32_e32 v39, 23, v48
	s_mov_b32 s14, exec_lo
	s_delay_alu instid0(VALU_DEP_2) | instskip(NEXT) | instid1(VALU_DEP_2)
	v_add_nc_u32_e32 v37, v37, v48
	v_xor_b32_e32 v39, 1, v39
	s_delay_alu instid0(VALU_DEP_2) | instskip(NEXT) | instid1(VALU_DEP_1)
	v_and_b32_e32 v26, 0x1fffff, v37
	v_add_nc_u32_e32 v37, v26, v48
                                        ; implicit-def: $vgpr26
	s_delay_alu instid0(VALU_DEP_3)
	v_cmpx_ne_u32_e64 v38, v39
	s_xor_b32 s14, exec_lo, s14
; %bb.15606:                            ;   in Loop: Header=BB6_15250 Depth=3
	s_delay_alu instid0(VALU_DEP_2) | instskip(SKIP_2) | instid1(VALU_DEP_2)
	v_cmp_lt_u32_e32 vcc_lo, 0xffffff, v37
	v_sub_nc_u32_e32 v26, v38, v39
	v_cndmask_b32_e64 v38, 0, 1, vcc_lo
	v_add_co_ci_u32_e32 v26, vcc_lo, 0, v26, vcc_lo
	s_delay_alu instid0(VALU_DEP_2)
	v_lshrrev_b32_e32 v37, v38, v37
; %bb.15607:                            ;   in Loop: Header=BB6_15250 Depth=3
	s_and_not1_saveexec_b32 s14, s14
; %bb.15608:                            ;   in Loop: Header=BB6_15250 Depth=3
	s_delay_alu instid0(VALU_DEP_1)
	v_bfe_u32 v26, v37, 23, 1
; %bb.15609:                            ;   in Loop: Header=BB6_15250 Depth=3
	s_or_b32 exec_lo, exec_lo, s14
	v_lshrrev_b32_e32 v37, 21, v37
	s_delay_alu instid0(VALU_DEP_2) | instskip(SKIP_2) | instid1(VALU_DEP_2)
	v_cmp_gt_i32_e32 vcc_lo, 32, v26
	v_min_i32_e32 v38, 31, v26
	v_lshrrev_b32_e32 v27, 24, v27
	v_dual_cndmask_b32 v37, 3, v37 :: v_dual_lshlrev_b32 v38, 2, v38
	s_delay_alu instid0(VALU_DEP_2) | instskip(NEXT) | instid1(VALU_DEP_2)
	v_and_b32_e32 v27, 0x80, v27
	v_or_b32_e32 v26, v26, v37
	s_delay_alu instid0(VALU_DEP_1) | instskip(SKIP_1) | instid1(VALU_DEP_1)
	v_cmp_ne_u32_e32 vcc_lo, 0, v26
	v_and_b32_e32 v39, 3, v37
	v_or3_b32 v27, v38, v27, v39
	s_delay_alu instid0(VALU_DEP_1)
	v_cndmask_b32_e32 v26, 0, v27, vcc_lo
.LBB6_15610:                            ;   in Loop: Header=BB6_15250 Depth=3
	s_or_b32 exec_lo, exec_lo, s34
.LBB6_15611:                            ;   in Loop: Header=BB6_15250 Depth=3
	s_delay_alu instid0(SALU_CYCLE_1) | instskip(SKIP_3) | instid1(VALU_DEP_1)
	s_or_b32 exec_lo, exec_lo, s31
	v_and_b32_e32 v37, 0xff, v84
	s_mov_b32 s14, 0
	s_mov_b32 s34, exec_lo
                                        ; implicit-def: $sgpr31
	v_cmpx_lt_i16_e32 0x7f, v37
	s_xor_b32 s34, exec_lo, s34
	s_cbranch_execnz .LBB6_15849
; %bb.15612:                            ;   in Loop: Header=BB6_15250 Depth=3
	s_or_saveexec_b32 s34, s34
	v_mov_b32_e32 v27, s31
	s_xor_b32 exec_lo, exec_lo, s34
	s_cbranch_execnz .LBB6_15852
.LBB6_15613:                            ;   in Loop: Header=BB6_15250 Depth=3
	s_or_b32 exec_lo, exec_lo, s34
	s_and_saveexec_b32 s31, s14
	s_cbranch_execz .LBB6_15615
.LBB6_15614:                            ;   in Loop: Header=BB6_15250 Depth=3
	v_and_b32_e32 v27, 3, v84
	v_bfe_u32 v39, v84, 2, 5
	s_delay_alu instid0(VALU_DEP_2) | instskip(NEXT) | instid1(VALU_DEP_2)
	v_clz_i32_u32_e32 v37, v27
	v_cmp_eq_u32_e32 vcc_lo, 0, v39
	s_delay_alu instid0(VALU_DEP_2) | instskip(NEXT) | instid1(VALU_DEP_1)
	v_min_u32_e32 v37, 32, v37
	v_subrev_nc_u32_e32 v38, 29, v37
	v_sub_nc_u32_e32 v37, 30, v37
	s_delay_alu instid0(VALU_DEP_1) | instskip(NEXT) | instid1(VALU_DEP_1)
	v_dual_cndmask_b32 v37, v39, v37 :: v_dual_lshlrev_b32 v38, v38, v84
	v_and_b32_e32 v38, 3, v38
	v_lshlrev_b32_e32 v48, 24, v84
	s_delay_alu instid0(VALU_DEP_3) | instskip(NEXT) | instid1(VALU_DEP_2)
	v_lshl_add_u32 v37, v37, 23, 0x37800000
	v_dual_cndmask_b32 v27, v27, v38 :: v_dual_and_b32 v38, 0x80000000, v48
	s_delay_alu instid0(VALU_DEP_1) | instskip(NEXT) | instid1(VALU_DEP_1)
	v_lshlrev_b32_e32 v27, 21, v27
	v_or3_b32 v27, v38, v37, v27
.LBB6_15615:                            ;   in Loop: Header=BB6_15250 Depth=3
	s_or_b32 exec_lo, exec_lo, s31
	v_lshrrev_b32_e32 v37, 16, v10
	s_mov_b32 s14, 0
	s_mov_b32 s34, exec_lo
                                        ; implicit-def: $sgpr31
	s_delay_alu instid0(VALU_DEP_1) | instskip(NEXT) | instid1(VALU_DEP_1)
	v_and_b32_e32 v39, 0xff, v37
	v_cmpx_lt_i16_e32 0x7f, v39
	s_xor_b32 s34, exec_lo, s34
	s_cbranch_execnz .LBB6_15853
; %bb.15616:                            ;   in Loop: Header=BB6_15250 Depth=3
	s_or_saveexec_b32 s34, s34
	v_mov_b32_e32 v38, s31
	s_xor_b32 exec_lo, exec_lo, s34
	s_cbranch_execnz .LBB6_15856
.LBB6_15617:                            ;   in Loop: Header=BB6_15250 Depth=3
	s_or_b32 exec_lo, exec_lo, s34
	s_and_saveexec_b32 s31, s14
	s_cbranch_execz .LBB6_15619
.LBB6_15618:                            ;   in Loop: Header=BB6_15250 Depth=3
	v_bfe_u32 v38, v10, 16, 2
	v_lshlrev_b32_e32 v49, 8, v10
	s_delay_alu instid0(VALU_DEP_2) | instskip(NEXT) | instid1(VALU_DEP_1)
	v_clz_i32_u32_e32 v39, v38
	v_min_u32_e32 v39, 32, v39
	s_delay_alu instid0(VALU_DEP_1) | instskip(SKIP_1) | instid1(VALU_DEP_2)
	v_subrev_nc_u32_e32 v48, 29, v39
	v_sub_nc_u32_e32 v39, 30, v39
	v_lshlrev_b32_e32 v37, v48, v37
	v_bfe_u32 v48, v10, 18, 5
	s_delay_alu instid0(VALU_DEP_2) | instskip(NEXT) | instid1(VALU_DEP_2)
	v_and_b32_e32 v37, 3, v37
	v_cmp_eq_u32_e32 vcc_lo, 0, v48
	v_cndmask_b32_e32 v39, v48, v39, vcc_lo
	s_delay_alu instid0(VALU_DEP_3) | instskip(SKIP_1) | instid1(VALU_DEP_3)
	v_cndmask_b32_e32 v37, v38, v37, vcc_lo
	v_and_b32_e32 v38, 0x80000000, v49
	v_lshl_add_u32 v39, v39, 23, 0x37800000
	s_delay_alu instid0(VALU_DEP_3) | instskip(NEXT) | instid1(VALU_DEP_1)
	v_lshlrev_b32_e32 v37, 21, v37
	v_or3_b32 v38, v38, v39, v37
.LBB6_15619:                            ;   in Loop: Header=BB6_15250 Depth=3
	s_or_b32 exec_lo, exec_lo, s31
	s_delay_alu instid0(VALU_DEP_1) | instskip(NEXT) | instid1(VALU_DEP_1)
	v_add_f32_e32 v37, v27, v38
	v_and_b32_e32 v27, 0x7f800000, v37
	s_delay_alu instid0(VALU_DEP_1)
	v_cmp_ne_u32_e32 vcc_lo, 0x7f800000, v27
	v_mov_b32_e32 v27, 0x80
	s_and_saveexec_b32 s31, vcc_lo
	s_cbranch_execz .LBB6_15627
; %bb.15620:                            ;   in Loop: Header=BB6_15250 Depth=3
	v_mov_b32_e32 v27, 0
	s_mov_b32 s34, exec_lo
	v_cmpx_ne_u32_e32 0, v37
	s_cbranch_execz .LBB6_15626
; %bb.15621:                            ;   in Loop: Header=BB6_15250 Depth=3
	v_bfe_u32 v27, v37, 23, 8
	s_delay_alu instid0(VALU_DEP_1) | instskip(SKIP_1) | instid1(VALU_DEP_2)
	v_sub_nc_u32_e32 v39, 0x70, v27
	v_cmp_gt_u32_e32 vcc_lo, 0x71, v27
	v_dual_cndmask_b32 v39, 0, v39 :: v_dual_and_b32 v38, 0x7fffff, v37
	s_delay_alu instid0(VALU_DEP_1) | instskip(SKIP_2) | instid1(VALU_DEP_4)
	v_or_b32_e32 v48, 0x800000, v38
	v_cmp_eq_u32_e32 vcc_lo, 0, v27
	v_add_nc_u32_e32 v27, 0xffffff91, v27
	v_cndmask_b32_e64 v39, v39, 0x6f, vcc_lo
	s_delay_alu instid0(VALU_DEP_4) | instskip(NEXT) | instid1(VALU_DEP_3)
	v_cndmask_b32_e32 v38, v48, v38, vcc_lo
	v_cndmask_b32_e64 v27, v27, 0xffffff92, vcc_lo
	s_delay_alu instid0(VALU_DEP_3) | instskip(NEXT) | instid1(VALU_DEP_3)
	v_lshl_add_u32 v48, 0x200000, v39, -1
	v_lshrrev_b32_e32 v49, v39, v38
	v_lshlrev_b32_e64 v51, v39, 0x100000
	s_delay_alu instid0(VALU_DEP_4) | instskip(NEXT) | instid1(VALU_DEP_4)
	v_add_nc_u32_e32 v39, v39, v27
	v_and_b32_e32 v38, v48, v38
	s_delay_alu instid0(VALU_DEP_4) | instskip(NEXT) | instid1(VALU_DEP_2)
	v_bfe_u32 v50, v49, 21, 1
	v_cmp_eq_u32_e64 s14, v38, v51
	s_delay_alu instid0(VALU_DEP_2) | instskip(NEXT) | instid1(VALU_DEP_1)
	v_add_nc_u32_e32 v48, -1, v50
	v_cndmask_b32_e64 v38, 0, v48, s14
	v_lshrrev_b32_e32 v48, 23, v49
	s_mov_b32 s14, exec_lo
	s_delay_alu instid0(VALU_DEP_2) | instskip(NEXT) | instid1(VALU_DEP_2)
	v_add_nc_u32_e32 v38, v38, v49
	v_xor_b32_e32 v48, 1, v48
	s_delay_alu instid0(VALU_DEP_2) | instskip(NEXT) | instid1(VALU_DEP_1)
	v_and_b32_e32 v27, 0x1fffff, v38
	v_add_nc_u32_e32 v38, v27, v49
                                        ; implicit-def: $vgpr27
	s_delay_alu instid0(VALU_DEP_3)
	v_cmpx_ne_u32_e64 v39, v48
	s_xor_b32 s14, exec_lo, s14
; %bb.15622:                            ;   in Loop: Header=BB6_15250 Depth=3
	s_delay_alu instid0(VALU_DEP_2) | instskip(SKIP_2) | instid1(VALU_DEP_2)
	v_cmp_lt_u32_e32 vcc_lo, 0xffffff, v38
	v_sub_nc_u32_e32 v27, v39, v48
	v_cndmask_b32_e64 v39, 0, 1, vcc_lo
	v_add_co_ci_u32_e32 v27, vcc_lo, 0, v27, vcc_lo
	s_delay_alu instid0(VALU_DEP_2)
	v_lshrrev_b32_e32 v38, v39, v38
; %bb.15623:                            ;   in Loop: Header=BB6_15250 Depth=3
	s_and_not1_saveexec_b32 s14, s14
; %bb.15624:                            ;   in Loop: Header=BB6_15250 Depth=3
	s_delay_alu instid0(VALU_DEP_1)
	v_bfe_u32 v27, v38, 23, 1
; %bb.15625:                            ;   in Loop: Header=BB6_15250 Depth=3
	s_or_b32 exec_lo, exec_lo, s14
	v_lshrrev_b32_e32 v38, 21, v38
	s_delay_alu instid0(VALU_DEP_2) | instskip(SKIP_2) | instid1(VALU_DEP_2)
	v_cmp_gt_i32_e32 vcc_lo, 32, v27
	v_lshrrev_b32_e32 v37, 24, v37
	v_min_i32_e32 v39, 31, v27
	v_dual_cndmask_b32 v38, 3, v38 :: v_dual_and_b32 v37, 0x80, v37
	s_delay_alu instid0(VALU_DEP_2) | instskip(NEXT) | instid1(VALU_DEP_2)
	v_lshlrev_b32_e32 v39, 2, v39
	v_or_b32_e32 v27, v27, v38
	s_delay_alu instid0(VALU_DEP_1) | instskip(SKIP_1) | instid1(VALU_DEP_1)
	v_cmp_ne_u32_e32 vcc_lo, 0, v27
	v_and_b32_e32 v48, 3, v38
	v_or3_b32 v37, v39, v37, v48
	s_delay_alu instid0(VALU_DEP_1)
	v_cndmask_b32_e32 v27, 0, v37, vcc_lo
.LBB6_15626:                            ;   in Loop: Header=BB6_15250 Depth=3
	s_or_b32 exec_lo, exec_lo, s34
.LBB6_15627:                            ;   in Loop: Header=BB6_15250 Depth=3
	s_delay_alu instid0(SALU_CYCLE_1) | instskip(SKIP_3) | instid1(VALU_DEP_1)
	s_or_b32 exec_lo, exec_lo, s31
	v_and_b32_e32 v38, 0xff, v81
	s_mov_b32 s14, 0
	s_mov_b32 s34, exec_lo
                                        ; implicit-def: $sgpr31
	v_cmpx_lt_i16_e32 0x7f, v38
	s_xor_b32 s34, exec_lo, s34
	s_cbranch_execnz .LBB6_15857
; %bb.15628:                            ;   in Loop: Header=BB6_15250 Depth=3
	s_or_saveexec_b32 s34, s34
	v_mov_b32_e32 v37, s31
	s_xor_b32 exec_lo, exec_lo, s34
	s_cbranch_execnz .LBB6_15860
.LBB6_15629:                            ;   in Loop: Header=BB6_15250 Depth=3
	s_or_b32 exec_lo, exec_lo, s34
	s_and_saveexec_b32 s31, s14
	s_cbranch_execz .LBB6_15631
.LBB6_15630:                            ;   in Loop: Header=BB6_15250 Depth=3
	v_lshlrev_b32_e32 v37, 8, v81
	s_delay_alu instid0(VALU_DEP_1) | instskip(SKIP_1) | instid1(VALU_DEP_2)
	v_and_b32_e32 v39, 0xff00, v37
	v_bfe_u32 v37, v37, 10, 5
	v_bfe_u32 v48, v39, 8, 2
	s_delay_alu instid0(VALU_DEP_2) | instskip(SKIP_1) | instid1(VALU_DEP_3)
	v_cmp_eq_u32_e32 vcc_lo, 0, v37
	v_lshlrev_b32_e32 v39, 16, v39
	v_clz_i32_u32_e32 v49, v48
	s_delay_alu instid0(VALU_DEP_2) | instskip(NEXT) | instid1(VALU_DEP_2)
	v_and_b32_e32 v39, 0x80000000, v39
	v_min_u32_e32 v49, 32, v49
	s_delay_alu instid0(VALU_DEP_1) | instskip(SKIP_1) | instid1(VALU_DEP_1)
	v_subrev_nc_u32_e32 v50, 29, v49
	v_sub_nc_u32_e32 v49, 30, v49
	v_dual_cndmask_b32 v37, v37, v49 :: v_dual_lshlrev_b32 v38, v50, v38
	s_delay_alu instid0(VALU_DEP_1) | instskip(NEXT) | instid1(VALU_DEP_2)
	v_and_b32_e32 v38, 3, v38
	v_lshl_add_u32 v37, v37, 23, 0x37800000
	s_delay_alu instid0(VALU_DEP_2) | instskip(NEXT) | instid1(VALU_DEP_1)
	v_cndmask_b32_e32 v38, v48, v38, vcc_lo
	v_lshlrev_b32_e32 v38, 21, v38
	s_delay_alu instid0(VALU_DEP_1)
	v_or3_b32 v37, v39, v37, v38
.LBB6_15631:                            ;   in Loop: Header=BB6_15250 Depth=3
	s_or_b32 exec_lo, exec_lo, s31
	v_lshrrev_b32_e32 v38, 24, v10
	s_mov_b32 s14, 0
	s_mov_b32 s34, exec_lo
                                        ; implicit-def: $sgpr31
	s_delay_alu instid0(VALU_DEP_1)
	v_cmpx_lt_i16_e32 0x7f, v38
	s_xor_b32 s34, exec_lo, s34
	s_cbranch_execnz .LBB6_15861
; %bb.15632:                            ;   in Loop: Header=BB6_15250 Depth=3
	s_or_saveexec_b32 s34, s34
	v_mov_b32_e32 v39, s31
	s_xor_b32 exec_lo, exec_lo, s34
	s_cbranch_execnz .LBB6_15864
.LBB6_15633:                            ;   in Loop: Header=BB6_15250 Depth=3
	s_or_b32 exec_lo, exec_lo, s34
	s_and_saveexec_b32 s31, s14
	s_cbranch_execz .LBB6_15635
.LBB6_15634:                            ;   in Loop: Header=BB6_15250 Depth=3
	v_bfe_u32 v39, v10, 24, 2
	s_delay_alu instid0(VALU_DEP_1) | instskip(NEXT) | instid1(VALU_DEP_1)
	v_clz_i32_u32_e32 v48, v39
	v_min_u32_e32 v48, 32, v48
	s_delay_alu instid0(VALU_DEP_1) | instskip(SKIP_1) | instid1(VALU_DEP_2)
	v_subrev_nc_u32_e32 v49, 29, v48
	v_sub_nc_u32_e32 v48, 30, v48
	v_lshlrev_b32_e32 v38, v49, v38
	v_bfe_u32 v49, v10, 26, 5
	v_and_b32_e32 v10, 0x80000000, v10
	s_delay_alu instid0(VALU_DEP_3) | instskip(NEXT) | instid1(VALU_DEP_3)
	v_and_b32_e32 v38, 3, v38
	v_cmp_eq_u32_e32 vcc_lo, 0, v49
	v_cndmask_b32_e32 v48, v49, v48, vcc_lo
	s_delay_alu instid0(VALU_DEP_3) | instskip(NEXT) | instid1(VALU_DEP_2)
	v_cndmask_b32_e32 v38, v39, v38, vcc_lo
	v_lshl_add_u32 v39, v48, 23, 0x37800000
	s_delay_alu instid0(VALU_DEP_2) | instskip(NEXT) | instid1(VALU_DEP_1)
	v_lshlrev_b32_e32 v38, 21, v38
	v_or3_b32 v39, v10, v39, v38
.LBB6_15635:                            ;   in Loop: Header=BB6_15250 Depth=3
	s_or_b32 exec_lo, exec_lo, s31
	s_delay_alu instid0(VALU_DEP_1) | instskip(NEXT) | instid1(VALU_DEP_1)
	v_add_f32_e32 v37, v37, v39
	v_and_b32_e32 v10, 0x7f800000, v37
	s_delay_alu instid0(VALU_DEP_1)
	v_cmp_ne_u32_e32 vcc_lo, 0x7f800000, v10
	v_mov_b32_e32 v10, 0x80
	s_and_saveexec_b32 s31, vcc_lo
	s_cbranch_execz .LBB6_15643
; %bb.15636:                            ;   in Loop: Header=BB6_15250 Depth=3
	v_mov_b32_e32 v10, 0
	s_mov_b32 s34, exec_lo
	v_cmpx_ne_u32_e32 0, v37
	s_cbranch_execz .LBB6_15642
; %bb.15637:                            ;   in Loop: Header=BB6_15250 Depth=3
	v_bfe_u32 v10, v37, 23, 8
	s_delay_alu instid0(VALU_DEP_1) | instskip(SKIP_1) | instid1(VALU_DEP_2)
	v_sub_nc_u32_e32 v39, 0x70, v10
	v_cmp_gt_u32_e32 vcc_lo, 0x71, v10
	v_dual_cndmask_b32 v39, 0, v39 :: v_dual_and_b32 v38, 0x7fffff, v37
	s_delay_alu instid0(VALU_DEP_1) | instskip(SKIP_2) | instid1(VALU_DEP_4)
	v_or_b32_e32 v48, 0x800000, v38
	v_cmp_eq_u32_e32 vcc_lo, 0, v10
	v_add_nc_u32_e32 v10, 0xffffff91, v10
	v_cndmask_b32_e64 v39, v39, 0x6f, vcc_lo
	s_delay_alu instid0(VALU_DEP_4) | instskip(NEXT) | instid1(VALU_DEP_3)
	v_cndmask_b32_e32 v38, v48, v38, vcc_lo
	v_cndmask_b32_e64 v10, v10, 0xffffff92, vcc_lo
	s_delay_alu instid0(VALU_DEP_3) | instskip(NEXT) | instid1(VALU_DEP_3)
	v_lshl_add_u32 v48, 0x200000, v39, -1
	v_lshrrev_b32_e32 v49, v39, v38
	v_lshlrev_b32_e64 v51, v39, 0x100000
	s_delay_alu instid0(VALU_DEP_4) | instskip(NEXT) | instid1(VALU_DEP_4)
	v_add_nc_u32_e32 v39, v39, v10
	v_and_b32_e32 v38, v48, v38
	s_delay_alu instid0(VALU_DEP_4) | instskip(NEXT) | instid1(VALU_DEP_2)
	v_bfe_u32 v50, v49, 21, 1
	v_cmp_eq_u32_e64 s14, v38, v51
	s_delay_alu instid0(VALU_DEP_2) | instskip(NEXT) | instid1(VALU_DEP_1)
	v_add_nc_u32_e32 v48, -1, v50
	v_cndmask_b32_e64 v38, 0, v48, s14
	v_lshrrev_b32_e32 v48, 23, v49
	s_mov_b32 s14, exec_lo
	s_delay_alu instid0(VALU_DEP_2) | instskip(NEXT) | instid1(VALU_DEP_2)
	v_add_nc_u32_e32 v38, v38, v49
	v_xor_b32_e32 v48, 1, v48
	s_delay_alu instid0(VALU_DEP_2) | instskip(NEXT) | instid1(VALU_DEP_1)
	v_and_b32_e32 v10, 0x1fffff, v38
	v_add_nc_u32_e32 v38, v10, v49
                                        ; implicit-def: $vgpr10
	s_delay_alu instid0(VALU_DEP_3)
	v_cmpx_ne_u32_e64 v39, v48
	s_xor_b32 s14, exec_lo, s14
; %bb.15638:                            ;   in Loop: Header=BB6_15250 Depth=3
	s_delay_alu instid0(VALU_DEP_2) | instskip(SKIP_2) | instid1(VALU_DEP_2)
	v_cmp_lt_u32_e32 vcc_lo, 0xffffff, v38
	v_sub_nc_u32_e32 v10, v39, v48
	v_cndmask_b32_e64 v39, 0, 1, vcc_lo
	v_add_co_ci_u32_e32 v10, vcc_lo, 0, v10, vcc_lo
	s_delay_alu instid0(VALU_DEP_2)
	v_lshrrev_b32_e32 v38, v39, v38
; %bb.15639:                            ;   in Loop: Header=BB6_15250 Depth=3
	s_and_not1_saveexec_b32 s14, s14
; %bb.15640:                            ;   in Loop: Header=BB6_15250 Depth=3
	s_delay_alu instid0(VALU_DEP_1)
	v_bfe_u32 v10, v38, 23, 1
; %bb.15641:                            ;   in Loop: Header=BB6_15250 Depth=3
	s_or_b32 exec_lo, exec_lo, s14
	v_lshrrev_b32_e32 v38, 21, v38
	s_delay_alu instid0(VALU_DEP_2) | instskip(SKIP_2) | instid1(VALU_DEP_2)
	v_cmp_gt_i32_e32 vcc_lo, 32, v10
	v_lshrrev_b32_e32 v37, 24, v37
	v_min_i32_e32 v39, 31, v10
	v_dual_cndmask_b32 v38, 3, v38 :: v_dual_and_b32 v37, 0x80, v37
	s_delay_alu instid0(VALU_DEP_1) | instskip(SKIP_1) | instid1(VALU_DEP_2)
	v_or_b32_e32 v10, v10, v38
	v_and_b32_e32 v48, 3, v38
	v_cmp_ne_u32_e32 vcc_lo, 0, v10
	v_lshlrev_b32_e32 v39, 2, v39
	s_delay_alu instid0(VALU_DEP_1) | instskip(NEXT) | instid1(VALU_DEP_1)
	v_or3_b32 v37, v39, v37, v48
	v_cndmask_b32_e32 v10, 0, v37, vcc_lo
.LBB6_15642:                            ;   in Loop: Header=BB6_15250 Depth=3
	s_or_b32 exec_lo, exec_lo, s34
.LBB6_15643:                            ;   in Loop: Header=BB6_15250 Depth=3
	s_delay_alu instid0(SALU_CYCLE_1) | instskip(SKIP_3) | instid1(VALU_DEP_1)
	s_or_b32 exec_lo, exec_lo, s31
	v_or_b32_e32 v38, v96, v80
	s_mov_b32 s14, 0
	s_mov_b32 s34, exec_lo
                                        ; implicit-def: $sgpr31
	v_and_b32_e32 v39, 0xff, v38
	s_delay_alu instid0(VALU_DEP_1)
	v_cmpx_lt_i16_e32 0x7f, v39
	s_xor_b32 s34, exec_lo, s34
	s_cbranch_execnz .LBB6_15865
; %bb.15644:                            ;   in Loop: Header=BB6_15250 Depth=3
	s_or_saveexec_b32 s34, s34
	v_mov_b32_e32 v37, s31
	s_xor_b32 exec_lo, exec_lo, s34
	s_cbranch_execnz .LBB6_15868
.LBB6_15645:                            ;   in Loop: Header=BB6_15250 Depth=3
	s_or_b32 exec_lo, exec_lo, s34
	s_and_saveexec_b32 s31, s14
	s_cbranch_execz .LBB6_15647
.LBB6_15646:                            ;   in Loop: Header=BB6_15250 Depth=3
	v_and_b32_e32 v37, 3, v38
	v_bfe_u32 v49, v38, 2, 5
	s_delay_alu instid0(VALU_DEP_2) | instskip(NEXT) | instid1(VALU_DEP_2)
	v_clz_i32_u32_e32 v39, v37
	v_cmp_eq_u32_e32 vcc_lo, 0, v49
	s_delay_alu instid0(VALU_DEP_2) | instskip(NEXT) | instid1(VALU_DEP_1)
	v_min_u32_e32 v39, 32, v39
	v_subrev_nc_u32_e32 v48, 29, v39
	v_sub_nc_u32_e32 v39, 30, v39
	s_delay_alu instid0(VALU_DEP_1) | instskip(NEXT) | instid1(VALU_DEP_1)
	v_dual_cndmask_b32 v39, v49, v39 :: v_dual_lshlrev_b32 v48, v48, v38
	v_and_b32_e32 v48, 3, v48
	v_lshlrev_b32_e32 v50, 24, v38
	s_delay_alu instid0(VALU_DEP_3) | instskip(NEXT) | instid1(VALU_DEP_2)
	v_lshl_add_u32 v39, v39, 23, 0x37800000
	v_dual_cndmask_b32 v37, v37, v48 :: v_dual_and_b32 v48, 0x80000000, v50
	s_delay_alu instid0(VALU_DEP_1) | instskip(NEXT) | instid1(VALU_DEP_1)
	v_lshlrev_b32_e32 v37, 21, v37
	v_or3_b32 v37, v48, v39, v37
.LBB6_15647:                            ;   in Loop: Header=BB6_15250 Depth=3
	s_or_b32 exec_lo, exec_lo, s31
	v_and_b32_e32 v48, 0xff, v11
	s_mov_b32 s14, 0
	s_mov_b32 s34, exec_lo
                                        ; implicit-def: $sgpr31
	s_delay_alu instid0(VALU_DEP_1)
	v_cmpx_lt_i16_e32 0x7f, v48
	s_xor_b32 s34, exec_lo, s34
	s_cbranch_execnz .LBB6_15869
; %bb.15648:                            ;   in Loop: Header=BB6_15250 Depth=3
	s_or_saveexec_b32 s34, s34
	v_mov_b32_e32 v39, s31
	s_xor_b32 exec_lo, exec_lo, s34
	s_cbranch_execnz .LBB6_15872
.LBB6_15649:                            ;   in Loop: Header=BB6_15250 Depth=3
	s_or_b32 exec_lo, exec_lo, s34
	s_and_saveexec_b32 s31, s14
	s_cbranch_execz .LBB6_15651
.LBB6_15650:                            ;   in Loop: Header=BB6_15250 Depth=3
	v_bfe_u32 v50, v11, 2, 5
	v_lshlrev_b32_e32 v51, 24, v11
	s_delay_alu instid0(VALU_DEP_2) | instskip(SKIP_1) | instid1(VALU_DEP_1)
	v_cmp_eq_u32_e32 vcc_lo, 0, v50
	v_and_b32_e32 v39, 3, v11
	v_clz_i32_u32_e32 v48, v39
	s_delay_alu instid0(VALU_DEP_1) | instskip(NEXT) | instid1(VALU_DEP_1)
	v_min_u32_e32 v48, 32, v48
	v_subrev_nc_u32_e32 v49, 29, v48
	v_sub_nc_u32_e32 v48, 30, v48
	s_delay_alu instid0(VALU_DEP_1) | instskip(NEXT) | instid1(VALU_DEP_1)
	v_dual_cndmask_b32 v48, v50, v48 :: v_dual_lshlrev_b32 v49, v49, v11
	v_and_b32_e32 v49, 3, v49
	s_delay_alu instid0(VALU_DEP_2) | instskip(NEXT) | instid1(VALU_DEP_2)
	v_lshl_add_u32 v48, v48, 23, 0x37800000
	v_cndmask_b32_e32 v39, v39, v49, vcc_lo
	v_and_b32_e32 v49, 0x80000000, v51
	s_delay_alu instid0(VALU_DEP_2) | instskip(NEXT) | instid1(VALU_DEP_1)
	v_lshlrev_b32_e32 v39, 21, v39
	v_or3_b32 v39, v49, v48, v39
.LBB6_15651:                            ;   in Loop: Header=BB6_15250 Depth=3
	s_or_b32 exec_lo, exec_lo, s31
	s_delay_alu instid0(VALU_DEP_1) | instskip(NEXT) | instid1(VALU_DEP_1)
	v_add_f32_e32 v39, v37, v39
	v_and_b32_e32 v37, 0x7f800000, v39
	s_delay_alu instid0(VALU_DEP_1)
	v_cmp_ne_u32_e32 vcc_lo, 0x7f800000, v37
	v_mov_b32_e32 v37, 0x80
	s_and_saveexec_b32 s31, vcc_lo
	s_cbranch_execz .LBB6_15659
; %bb.15652:                            ;   in Loop: Header=BB6_15250 Depth=3
	v_mov_b32_e32 v37, 0
	s_mov_b32 s34, exec_lo
	v_cmpx_ne_u32_e32 0, v39
	s_cbranch_execz .LBB6_15658
; %bb.15653:                            ;   in Loop: Header=BB6_15250 Depth=3
	v_bfe_u32 v37, v39, 23, 8
	s_delay_alu instid0(VALU_DEP_1) | instskip(SKIP_1) | instid1(VALU_DEP_2)
	v_sub_nc_u32_e32 v49, 0x70, v37
	v_cmp_gt_u32_e32 vcc_lo, 0x71, v37
	v_dual_cndmask_b32 v49, 0, v49 :: v_dual_and_b32 v48, 0x7fffff, v39
	s_delay_alu instid0(VALU_DEP_1) | instskip(SKIP_2) | instid1(VALU_DEP_4)
	v_or_b32_e32 v50, 0x800000, v48
	v_cmp_eq_u32_e32 vcc_lo, 0, v37
	v_add_nc_u32_e32 v37, 0xffffff91, v37
	v_cndmask_b32_e64 v49, v49, 0x6f, vcc_lo
	s_delay_alu instid0(VALU_DEP_4) | instskip(NEXT) | instid1(VALU_DEP_3)
	v_cndmask_b32_e32 v48, v50, v48, vcc_lo
	v_cndmask_b32_e64 v37, v37, 0xffffff92, vcc_lo
	s_delay_alu instid0(VALU_DEP_3) | instskip(NEXT) | instid1(VALU_DEP_3)
	v_lshl_add_u32 v51, 0x200000, v49, -1
	v_lshrrev_b32_e32 v50, v49, v48
	v_lshlrev_b32_e64 v53, v49, 0x100000
	s_delay_alu instid0(VALU_DEP_4) | instskip(NEXT) | instid1(VALU_DEP_4)
	v_add_nc_u32_e32 v49, v49, v37
	v_and_b32_e32 v48, v51, v48
	s_delay_alu instid0(VALU_DEP_4) | instskip(NEXT) | instid1(VALU_DEP_2)
	v_bfe_u32 v52, v50, 21, 1
	v_cmp_eq_u32_e64 s14, v48, v53
	s_delay_alu instid0(VALU_DEP_2) | instskip(NEXT) | instid1(VALU_DEP_1)
	v_add_nc_u32_e32 v51, -1, v52
	v_cndmask_b32_e64 v48, 0, v51, s14
	v_lshrrev_b32_e32 v51, 23, v50
	s_mov_b32 s14, exec_lo
	s_delay_alu instid0(VALU_DEP_2) | instskip(NEXT) | instid1(VALU_DEP_2)
	v_add_nc_u32_e32 v48, v48, v50
	v_xor_b32_e32 v52, 1, v51
	s_delay_alu instid0(VALU_DEP_2) | instskip(NEXT) | instid1(VALU_DEP_1)
	v_and_b32_e32 v37, 0x1fffff, v48
	v_add_nc_u32_e32 v48, v37, v50
                                        ; implicit-def: $vgpr37
	s_delay_alu instid0(VALU_DEP_3)
	v_cmpx_ne_u32_e64 v49, v52
	s_xor_b32 s14, exec_lo, s14
; %bb.15654:                            ;   in Loop: Header=BB6_15250 Depth=3
	s_delay_alu instid0(VALU_DEP_2) | instskip(SKIP_2) | instid1(VALU_DEP_2)
	v_cmp_lt_u32_e32 vcc_lo, 0xffffff, v48
	v_sub_nc_u32_e32 v37, v49, v52
	v_cndmask_b32_e64 v49, 0, 1, vcc_lo
	v_add_co_ci_u32_e32 v37, vcc_lo, 0, v37, vcc_lo
	s_delay_alu instid0(VALU_DEP_2)
	v_lshrrev_b32_e32 v48, v49, v48
; %bb.15655:                            ;   in Loop: Header=BB6_15250 Depth=3
	s_and_not1_saveexec_b32 s14, s14
; %bb.15656:                            ;   in Loop: Header=BB6_15250 Depth=3
	s_delay_alu instid0(VALU_DEP_1)
	v_bfe_u32 v37, v48, 23, 1
; %bb.15657:                            ;   in Loop: Header=BB6_15250 Depth=3
	s_or_b32 exec_lo, exec_lo, s14
	v_lshrrev_b32_e32 v48, 21, v48
	s_delay_alu instid0(VALU_DEP_2) | instskip(SKIP_2) | instid1(VALU_DEP_2)
	v_cmp_gt_i32_e32 vcc_lo, 32, v37
	v_lshrrev_b32_e32 v39, 24, v39
	v_min_i32_e32 v49, 31, v37
	v_dual_cndmask_b32 v48, 3, v48 :: v_dual_and_b32 v39, 0x80, v39
	s_delay_alu instid0(VALU_DEP_2) | instskip(NEXT) | instid1(VALU_DEP_2)
	v_lshlrev_b32_e32 v49, 2, v49
	v_or_b32_e32 v37, v37, v48
	s_delay_alu instid0(VALU_DEP_1) | instskip(SKIP_1) | instid1(VALU_DEP_1)
	v_cmp_ne_u32_e32 vcc_lo, 0, v37
	v_and_b32_e32 v50, 3, v48
	v_or3_b32 v39, v49, v39, v50
	s_delay_alu instid0(VALU_DEP_1)
	v_cndmask_b32_e32 v37, 0, v39, vcc_lo
.LBB6_15658:                            ;   in Loop: Header=BB6_15250 Depth=3
	s_or_b32 exec_lo, exec_lo, s34
.LBB6_15659:                            ;   in Loop: Header=BB6_15250 Depth=3
	s_delay_alu instid0(SALU_CYCLE_1) | instskip(SKIP_3) | instid1(VALU_DEP_1)
	s_or_b32 exec_lo, exec_lo, s31
	v_lshrrev_b16 v48, 8, v38
	s_mov_b32 s14, 0
	s_mov_b32 s34, exec_lo
                                        ; implicit-def: $sgpr31
	v_cmpx_lt_i16_e32 0x7f, v48
	s_xor_b32 s34, exec_lo, s34
	s_cbranch_execnz .LBB6_15873
; %bb.15660:                            ;   in Loop: Header=BB6_15250 Depth=3
	s_or_saveexec_b32 s34, s34
	v_mov_b32_e32 v39, s31
	s_xor_b32 exec_lo, exec_lo, s34
	s_cbranch_execnz .LBB6_15876
.LBB6_15661:                            ;   in Loop: Header=BB6_15250 Depth=3
	s_or_b32 exec_lo, exec_lo, s34
	s_and_saveexec_b32 s31, s14
	s_cbranch_execz .LBB6_15663
.LBB6_15662:                            ;   in Loop: Header=BB6_15250 Depth=3
	v_and_b32_e32 v39, 0xffff, v48
	s_delay_alu instid0(VALU_DEP_1) | instskip(NEXT) | instid1(VALU_DEP_1)
	v_and_b32_e32 v49, 3, v39
	v_clz_i32_u32_e32 v50, v49
	s_delay_alu instid0(VALU_DEP_1) | instskip(NEXT) | instid1(VALU_DEP_1)
	v_min_u32_e32 v50, 32, v50
	v_subrev_nc_u32_e32 v51, 29, v50
	v_sub_nc_u32_e32 v50, 30, v50
	s_delay_alu instid0(VALU_DEP_2) | instskip(SKIP_1) | instid1(VALU_DEP_2)
	v_lshlrev_b32_e32 v51, v51, v39
	v_bfe_u32 v39, v39, 2, 5
	v_and_b32_e32 v51, 3, v51
	s_delay_alu instid0(VALU_DEP_2) | instskip(SKIP_1) | instid1(VALU_DEP_1)
	v_cmp_eq_u32_e32 vcc_lo, 0, v39
	v_dual_cndmask_b32 v39, v39, v50 :: v_dual_lshlrev_b32 v48, 24, v48
	v_dual_cndmask_b32 v49, v49, v51 :: v_dual_and_b32 v48, 0x80000000, v48
	s_delay_alu instid0(VALU_DEP_2) | instskip(NEXT) | instid1(VALU_DEP_2)
	v_lshl_add_u32 v39, v39, 23, 0x37800000
	v_lshlrev_b32_e32 v49, 21, v49
	s_delay_alu instid0(VALU_DEP_1)
	v_or3_b32 v39, v48, v39, v49
.LBB6_15663:                            ;   in Loop: Header=BB6_15250 Depth=3
	s_or_b32 exec_lo, exec_lo, s31
	v_lshrrev_b16 v48, 8, v11
	s_mov_b32 s14, 0
	s_mov_b32 s34, exec_lo
                                        ; implicit-def: $sgpr31
	s_delay_alu instid0(VALU_DEP_1)
	v_cmpx_lt_i16_e32 0x7f, v48
	s_xor_b32 s34, exec_lo, s34
	s_cbranch_execnz .LBB6_15877
; %bb.15664:                            ;   in Loop: Header=BB6_15250 Depth=3
	s_or_saveexec_b32 s34, s34
	v_mov_b32_e32 v49, s31
	s_xor_b32 exec_lo, exec_lo, s34
	s_cbranch_execnz .LBB6_15880
.LBB6_15665:                            ;   in Loop: Header=BB6_15250 Depth=3
	s_or_b32 exec_lo, exec_lo, s34
	s_and_saveexec_b32 s31, s14
	s_cbranch_execz .LBB6_15667
.LBB6_15666:                            ;   in Loop: Header=BB6_15250 Depth=3
	v_and_b32_e32 v49, 0xffff, v48
	v_lshlrev_b32_e32 v48, 24, v48
	s_delay_alu instid0(VALU_DEP_2) | instskip(NEXT) | instid1(VALU_DEP_2)
	v_and_b32_e32 v50, 3, v49
	v_and_b32_e32 v48, 0x80000000, v48
	s_delay_alu instid0(VALU_DEP_2) | instskip(NEXT) | instid1(VALU_DEP_1)
	v_clz_i32_u32_e32 v51, v50
	v_min_u32_e32 v51, 32, v51
	s_delay_alu instid0(VALU_DEP_1) | instskip(SKIP_1) | instid1(VALU_DEP_2)
	v_subrev_nc_u32_e32 v52, 29, v51
	v_sub_nc_u32_e32 v51, 30, v51
	v_lshlrev_b32_e32 v52, v52, v49
	v_bfe_u32 v49, v49, 2, 5
	s_delay_alu instid0(VALU_DEP_2) | instskip(NEXT) | instid1(VALU_DEP_2)
	v_and_b32_e32 v52, 3, v52
	v_cmp_eq_u32_e32 vcc_lo, 0, v49
	s_delay_alu instid0(VALU_DEP_2) | instskip(NEXT) | instid1(VALU_DEP_1)
	v_dual_cndmask_b32 v49, v49, v51 :: v_dual_cndmask_b32 v50, v50, v52
	v_lshl_add_u32 v49, v49, 23, 0x37800000
	s_delay_alu instid0(VALU_DEP_2) | instskip(NEXT) | instid1(VALU_DEP_1)
	v_lshlrev_b32_e32 v50, 21, v50
	v_or3_b32 v49, v48, v49, v50
.LBB6_15667:                            ;   in Loop: Header=BB6_15250 Depth=3
	s_or_b32 exec_lo, exec_lo, s31
	s_delay_alu instid0(VALU_DEP_1) | instskip(NEXT) | instid1(VALU_DEP_1)
	v_add_f32_e32 v48, v39, v49
	v_and_b32_e32 v39, 0x7f800000, v48
	s_delay_alu instid0(VALU_DEP_1)
	v_cmp_ne_u32_e32 vcc_lo, 0x7f800000, v39
	v_mov_b32_e32 v39, 0x8000
	s_and_saveexec_b32 s31, vcc_lo
	s_cbranch_execz .LBB6_15675
; %bb.15668:                            ;   in Loop: Header=BB6_15250 Depth=3
	v_mov_b32_e32 v39, 0
	s_mov_b32 s34, exec_lo
	v_cmpx_ne_u32_e32 0, v48
	s_cbranch_execz .LBB6_15674
; %bb.15669:                            ;   in Loop: Header=BB6_15250 Depth=3
	v_bfe_u32 v39, v48, 23, 8
	s_delay_alu instid0(VALU_DEP_1) | instskip(SKIP_1) | instid1(VALU_DEP_2)
	v_sub_nc_u32_e32 v50, 0x70, v39
	v_cmp_gt_u32_e32 vcc_lo, 0x71, v39
	v_dual_cndmask_b32 v50, 0, v50 :: v_dual_and_b32 v49, 0x7fffff, v48
	s_delay_alu instid0(VALU_DEP_1) | instskip(SKIP_2) | instid1(VALU_DEP_4)
	v_or_b32_e32 v51, 0x800000, v49
	v_cmp_eq_u32_e32 vcc_lo, 0, v39
	v_add_nc_u32_e32 v39, 0xffffff91, v39
	v_cndmask_b32_e64 v50, v50, 0x6f, vcc_lo
	s_delay_alu instid0(VALU_DEP_2) | instskip(SKIP_1) | instid1(VALU_DEP_3)
	v_cndmask_b32_e64 v39, v39, 0xffffff92, vcc_lo
	v_cndmask_b32_e32 v49, v51, v49, vcc_lo
	v_lshl_add_u32 v52, 0x200000, v50, -1
	v_lshlrev_b32_e64 v54, v50, 0x100000
	s_delay_alu instid0(VALU_DEP_3) | instskip(NEXT) | instid1(VALU_DEP_3)
	v_lshrrev_b32_e32 v51, v50, v49
	v_and_b32_e32 v49, v52, v49
	s_delay_alu instid0(VALU_DEP_2) | instskip(NEXT) | instid1(VALU_DEP_2)
	v_bfe_u32 v53, v51, 21, 1
	v_cmp_eq_u32_e64 s14, v49, v54
	s_delay_alu instid0(VALU_DEP_2) | instskip(SKIP_1) | instid1(VALU_DEP_2)
	v_add_nc_u32_e32 v52, -1, v53
	v_lshrrev_b32_e32 v53, 23, v51
	v_cndmask_b32_e64 v49, 0, v52, s14
	v_add_nc_u32_e32 v52, v50, v39
	s_delay_alu instid0(VALU_DEP_3) | instskip(SKIP_1) | instid1(VALU_DEP_3)
	v_xor_b32_e32 v53, 1, v53
	s_mov_b32 s14, exec_lo
	v_add_nc_u32_e32 v49, v49, v51
	s_delay_alu instid0(VALU_DEP_1) | instskip(NEXT) | instid1(VALU_DEP_1)
	v_and_b32_e32 v39, 0x1fffff, v49
	v_add_nc_u32_e32 v49, v39, v51
                                        ; implicit-def: $vgpr39
	v_cmpx_ne_u32_e64 v52, v53
	s_xor_b32 s14, exec_lo, s14
; %bb.15670:                            ;   in Loop: Header=BB6_15250 Depth=3
	s_delay_alu instid0(VALU_DEP_2) | instskip(SKIP_2) | instid1(VALU_DEP_2)
	v_cmp_lt_u32_e32 vcc_lo, 0xffffff, v49
	v_sub_nc_u32_e32 v39, v52, v53
	v_cndmask_b32_e64 v50, 0, 1, vcc_lo
	v_add_co_ci_u32_e32 v39, vcc_lo, 0, v39, vcc_lo
	s_delay_alu instid0(VALU_DEP_2)
	v_lshrrev_b32_e32 v49, v50, v49
; %bb.15671:                            ;   in Loop: Header=BB6_15250 Depth=3
	s_and_not1_saveexec_b32 s14, s14
; %bb.15672:                            ;   in Loop: Header=BB6_15250 Depth=3
	s_delay_alu instid0(VALU_DEP_1)
	v_bfe_u32 v39, v49, 23, 1
; %bb.15673:                            ;   in Loop: Header=BB6_15250 Depth=3
	s_or_b32 exec_lo, exec_lo, s14
	v_lshrrev_b32_e32 v49, 21, v49
	s_delay_alu instid0(VALU_DEP_2) | instskip(SKIP_2) | instid1(VALU_DEP_2)
	v_cmp_gt_i32_e32 vcc_lo, 32, v39
	v_min_i32_e32 v50, 31, v39
	v_lshrrev_b32_e32 v48, 24, v48
	v_dual_cndmask_b32 v49, 3, v49 :: v_dual_lshlrev_b32 v50, 2, v50
	s_delay_alu instid0(VALU_DEP_2) | instskip(NEXT) | instid1(VALU_DEP_2)
	v_and_b32_e32 v48, 0x80, v48
	v_or_b32_e32 v39, v39, v49
	v_and_b32_e32 v51, 3, v49
	s_delay_alu instid0(VALU_DEP_2) | instskip(SKIP_1) | instid1(VALU_DEP_1)
	v_cmp_ne_u32_e32 vcc_lo, 0, v39
	v_and_b32_e32 v50, 0xfc, v50
	v_or3_b32 v48, v48, v50, v51
	s_delay_alu instid0(VALU_DEP_1) | instskip(NEXT) | instid1(VALU_DEP_1)
	v_lshlrev_b32_e32 v48, 8, v48
	v_cndmask_b32_e32 v39, 0, v48, vcc_lo
.LBB6_15674:                            ;   in Loop: Header=BB6_15250 Depth=3
	s_or_b32 exec_lo, exec_lo, s34
.LBB6_15675:                            ;   in Loop: Header=BB6_15250 Depth=3
	s_delay_alu instid0(SALU_CYCLE_1) | instskip(SKIP_3) | instid1(VALU_DEP_1)
	s_or_b32 exec_lo, exec_lo, s31
	v_or_b32_e32 v48, v83, v70
	s_mov_b32 s14, 0
	s_mov_b32 s34, exec_lo
                                        ; implicit-def: $sgpr31
	v_and_b32_e32 v52, 0xff, v48
	s_delay_alu instid0(VALU_DEP_1)
	v_cmpx_lt_i16_e32 0x7f, v52
	s_xor_b32 s34, exec_lo, s34
	s_cbranch_execnz .LBB6_15881
; %bb.15676:                            ;   in Loop: Header=BB6_15250 Depth=3
	s_or_saveexec_b32 s34, s34
	v_mov_b32_e32 v49, s31
	s_xor_b32 exec_lo, exec_lo, s34
	s_cbranch_execnz .LBB6_15884
.LBB6_15677:                            ;   in Loop: Header=BB6_15250 Depth=3
	s_or_b32 exec_lo, exec_lo, s34
	v_lshl_or_b32 v48, v48, 16, v38
	s_and_saveexec_b32 s31, s14
	s_cbranch_execz .LBB6_15679
.LBB6_15678:                            ;   in Loop: Header=BB6_15250 Depth=3
	s_delay_alu instid0(VALU_DEP_1) | instskip(SKIP_2) | instid1(VALU_DEP_3)
	v_bfe_u32 v38, v48, 16, 2
	v_lshrrev_b32_e32 v50, 16, v48
	v_lshlrev_b32_e32 v52, 8, v48
	v_clz_i32_u32_e32 v49, v38
	s_delay_alu instid0(VALU_DEP_1) | instskip(NEXT) | instid1(VALU_DEP_1)
	v_min_u32_e32 v49, 32, v49
	v_subrev_nc_u32_e32 v51, 29, v49
	v_sub_nc_u32_e32 v49, 30, v49
	s_delay_alu instid0(VALU_DEP_2) | instskip(SKIP_1) | instid1(VALU_DEP_1)
	v_lshlrev_b32_e32 v50, v51, v50
	v_bfe_u32 v51, v48, 18, 5
	v_cmp_eq_u32_e32 vcc_lo, 0, v51
	s_delay_alu instid0(VALU_DEP_3) | instskip(NEXT) | instid1(VALU_DEP_1)
	v_dual_cndmask_b32 v49, v51, v49 :: v_dual_and_b32 v50, 3, v50
	v_cndmask_b32_e32 v38, v38, v50, vcc_lo
	v_and_b32_e32 v50, 0x80000000, v52
	s_delay_alu instid0(VALU_DEP_3) | instskip(NEXT) | instid1(VALU_DEP_3)
	v_lshl_add_u32 v49, v49, 23, 0x37800000
	v_lshlrev_b32_e32 v38, 21, v38
	s_delay_alu instid0(VALU_DEP_1)
	v_or3_b32 v49, v50, v49, v38
.LBB6_15679:                            ;   in Loop: Header=BB6_15250 Depth=3
	s_or_b32 exec_lo, exec_lo, s31
	v_lshrrev_b32_e32 v38, 16, v11
	s_mov_b32 s14, 0
	s_mov_b32 s34, exec_lo
                                        ; implicit-def: $sgpr31
	s_delay_alu instid0(VALU_DEP_1) | instskip(NEXT) | instid1(VALU_DEP_1)
	v_and_b32_e32 v53, 0xff, v38
	v_cmpx_lt_i16_e32 0x7f, v53
	s_xor_b32 s34, exec_lo, s34
	s_cbranch_execnz .LBB6_15885
; %bb.15680:                            ;   in Loop: Header=BB6_15250 Depth=3
	s_or_saveexec_b32 s34, s34
	v_mov_b32_e32 v52, s31
	s_xor_b32 exec_lo, exec_lo, s34
	s_cbranch_execnz .LBB6_15888
.LBB6_15681:                            ;   in Loop: Header=BB6_15250 Depth=3
	s_or_b32 exec_lo, exec_lo, s34
	s_and_saveexec_b32 s31, s14
	s_cbranch_execz .LBB6_15683
.LBB6_15682:                            ;   in Loop: Header=BB6_15250 Depth=3
	v_bfe_u32 v50, v11, 16, 2
	s_delay_alu instid0(VALU_DEP_1) | instskip(NEXT) | instid1(VALU_DEP_1)
	v_clz_i32_u32_e32 v51, v50
	v_min_u32_e32 v51, 32, v51
	s_delay_alu instid0(VALU_DEP_1) | instskip(SKIP_1) | instid1(VALU_DEP_2)
	v_subrev_nc_u32_e32 v52, 29, v51
	v_sub_nc_u32_e32 v51, 30, v51
	v_lshlrev_b32_e32 v38, v52, v38
	v_bfe_u32 v52, v11, 18, 5
	s_delay_alu instid0(VALU_DEP_1) | instskip(NEXT) | instid1(VALU_DEP_3)
	v_cmp_eq_u32_e32 vcc_lo, 0, v52
	v_dual_cndmask_b32 v51, v52, v51 :: v_dual_and_b32 v38, 3, v38
	s_delay_alu instid0(VALU_DEP_1) | instskip(NEXT) | instid1(VALU_DEP_2)
	v_dual_cndmask_b32 v38, v50, v38 :: v_dual_lshlrev_b32 v53, 8, v11
	v_lshl_add_u32 v51, v51, 23, 0x37800000
	s_delay_alu instid0(VALU_DEP_2) | instskip(NEXT) | instid1(VALU_DEP_3)
	v_and_b32_e32 v50, 0x80000000, v53
	v_lshlrev_b32_e32 v38, 21, v38
	s_delay_alu instid0(VALU_DEP_1)
	v_or3_b32 v52, v50, v51, v38
.LBB6_15683:                            ;   in Loop: Header=BB6_15250 Depth=3
	s_or_b32 exec_lo, exec_lo, s31
	s_delay_alu instid0(VALU_DEP_1) | instskip(NEXT) | instid1(VALU_DEP_1)
	v_add_f32_e32 v49, v49, v52
	v_and_b32_e32 v38, 0x7f800000, v49
	s_delay_alu instid0(VALU_DEP_1)
	v_cmp_ne_u32_e32 vcc_lo, 0x7f800000, v38
	v_mov_b32_e32 v38, 0x80
	s_and_saveexec_b32 s31, vcc_lo
	s_cbranch_execz .LBB6_15691
; %bb.15684:                            ;   in Loop: Header=BB6_15250 Depth=3
	v_mov_b32_e32 v38, 0
	s_mov_b32 s34, exec_lo
	v_cmpx_ne_u32_e32 0, v49
	s_cbranch_execz .LBB6_15690
; %bb.15685:                            ;   in Loop: Header=BB6_15250 Depth=3
	v_bfe_u32 v38, v49, 23, 8
	s_delay_alu instid0(VALU_DEP_1) | instskip(SKIP_1) | instid1(VALU_DEP_2)
	v_sub_nc_u32_e32 v51, 0x70, v38
	v_cmp_gt_u32_e32 vcc_lo, 0x71, v38
	v_dual_cndmask_b32 v51, 0, v51 :: v_dual_and_b32 v50, 0x7fffff, v49
	s_delay_alu instid0(VALU_DEP_1) | instskip(SKIP_2) | instid1(VALU_DEP_4)
	v_or_b32_e32 v52, 0x800000, v50
	v_cmp_eq_u32_e32 vcc_lo, 0, v38
	v_add_nc_u32_e32 v38, 0xffffff91, v38
	v_cndmask_b32_e64 v51, v51, 0x6f, vcc_lo
	s_delay_alu instid0(VALU_DEP_4) | instskip(NEXT) | instid1(VALU_DEP_3)
	v_cndmask_b32_e32 v50, v52, v50, vcc_lo
	v_cndmask_b32_e64 v38, v38, 0xffffff92, vcc_lo
	s_delay_alu instid0(VALU_DEP_3) | instskip(NEXT) | instid1(VALU_DEP_3)
	v_lshl_add_u32 v53, 0x200000, v51, -1
	v_lshrrev_b32_e32 v52, v51, v50
	v_lshlrev_b32_e64 v55, v51, 0x100000
	s_delay_alu instid0(VALU_DEP_3) | instskip(NEXT) | instid1(VALU_DEP_3)
	v_and_b32_e32 v50, v53, v50
	v_bfe_u32 v54, v52, 21, 1
	s_delay_alu instid0(VALU_DEP_2) | instskip(NEXT) | instid1(VALU_DEP_2)
	v_cmp_eq_u32_e64 s14, v50, v55
	v_add_nc_u32_e32 v53, -1, v54
	v_lshrrev_b32_e32 v54, 23, v52
	s_delay_alu instid0(VALU_DEP_2) | instskip(SKIP_1) | instid1(VALU_DEP_3)
	v_cndmask_b32_e64 v50, 0, v53, s14
	v_add_nc_u32_e32 v53, v51, v38
	v_xor_b32_e32 v54, 1, v54
	s_mov_b32 s14, exec_lo
	s_delay_alu instid0(VALU_DEP_3) | instskip(NEXT) | instid1(VALU_DEP_1)
	v_add_nc_u32_e32 v50, v50, v52
	v_and_b32_e32 v38, 0x1fffff, v50
	s_delay_alu instid0(VALU_DEP_1)
	v_add_nc_u32_e32 v52, v38, v52
                                        ; implicit-def: $vgpr38
	v_cmpx_ne_u32_e64 v53, v54
	s_xor_b32 s14, exec_lo, s14
; %bb.15686:                            ;   in Loop: Header=BB6_15250 Depth=3
	s_delay_alu instid0(VALU_DEP_2) | instskip(SKIP_2) | instid1(VALU_DEP_2)
	v_cmp_lt_u32_e32 vcc_lo, 0xffffff, v52
	v_sub_nc_u32_e32 v38, v53, v54
	v_cndmask_b32_e64 v50, 0, 1, vcc_lo
	v_add_co_ci_u32_e32 v38, vcc_lo, 0, v38, vcc_lo
	s_delay_alu instid0(VALU_DEP_2)
	v_lshrrev_b32_e32 v52, v50, v52
; %bb.15687:                            ;   in Loop: Header=BB6_15250 Depth=3
	s_and_not1_saveexec_b32 s14, s14
; %bb.15688:                            ;   in Loop: Header=BB6_15250 Depth=3
	s_delay_alu instid0(VALU_DEP_1)
	v_bfe_u32 v38, v52, 23, 1
; %bb.15689:                            ;   in Loop: Header=BB6_15250 Depth=3
	s_or_b32 exec_lo, exec_lo, s14
	v_lshrrev_b32_e32 v50, 21, v52
	s_delay_alu instid0(VALU_DEP_2) | instskip(SKIP_2) | instid1(VALU_DEP_2)
	v_cmp_gt_i32_e32 vcc_lo, 32, v38
	v_min_i32_e32 v51, 31, v38
	v_lshrrev_b32_e32 v49, 24, v49
	v_dual_cndmask_b32 v50, 3, v50 :: v_dual_lshlrev_b32 v51, 2, v51
	s_delay_alu instid0(VALU_DEP_2) | instskip(NEXT) | instid1(VALU_DEP_2)
	v_and_b32_e32 v49, 0x80, v49
	v_or_b32_e32 v38, v38, v50
	v_and_b32_e32 v52, 3, v50
	s_delay_alu instid0(VALU_DEP_2) | instskip(SKIP_1) | instid1(VALU_DEP_1)
	v_cmp_ne_u32_e32 vcc_lo, 0, v38
	v_and_b32_e32 v51, 0xfc, v51
	v_or3_b32 v49, v51, v49, v52
	s_delay_alu instid0(VALU_DEP_1)
	v_cndmask_b32_e32 v38, 0, v49, vcc_lo
.LBB6_15690:                            ;   in Loop: Header=BB6_15250 Depth=3
	s_or_b32 exec_lo, exec_lo, s34
.LBB6_15691:                            ;   in Loop: Header=BB6_15250 Depth=3
	s_delay_alu instid0(SALU_CYCLE_1) | instskip(SKIP_3) | instid1(VALU_DEP_1)
	s_or_b32 exec_lo, exec_lo, s31
	v_lshrrev_b32_e32 v52, 24, v48
	s_mov_b32 s14, 0
	s_mov_b32 s34, exec_lo
                                        ; implicit-def: $sgpr31
	v_cmpx_lt_i16_e32 0x7f, v52
	s_xor_b32 s34, exec_lo, s34
	s_cbranch_execnz .LBB6_15889
; %bb.15692:                            ;   in Loop: Header=BB6_15250 Depth=3
	s_or_saveexec_b32 s34, s34
	v_mov_b32_e32 v49, s31
	s_xor_b32 exec_lo, exec_lo, s34
	s_cbranch_execnz .LBB6_15892
.LBB6_15693:                            ;   in Loop: Header=BB6_15250 Depth=3
	s_or_b32 exec_lo, exec_lo, s34
	s_and_saveexec_b32 s31, s14
	s_cbranch_execz .LBB6_15695
.LBB6_15694:                            ;   in Loop: Header=BB6_15250 Depth=3
	v_bfe_u32 v49, v48, 24, 2
	s_delay_alu instid0(VALU_DEP_1) | instskip(NEXT) | instid1(VALU_DEP_1)
	v_clz_i32_u32_e32 v50, v49
	v_min_u32_e32 v50, 32, v50
	s_delay_alu instid0(VALU_DEP_1) | instskip(SKIP_1) | instid1(VALU_DEP_2)
	v_subrev_nc_u32_e32 v51, 29, v50
	v_sub_nc_u32_e32 v50, 30, v50
	v_lshlrev_b32_e32 v51, v51, v52
	v_bfe_u32 v52, v48, 26, 5
	v_and_b32_e32 v48, 0x80000000, v48
	s_delay_alu instid0(VALU_DEP_2) | instskip(NEXT) | instid1(VALU_DEP_4)
	v_cmp_eq_u32_e32 vcc_lo, 0, v52
	v_dual_cndmask_b32 v50, v52, v50 :: v_dual_and_b32 v51, 3, v51
	s_delay_alu instid0(VALU_DEP_1) | instskip(NEXT) | instid1(VALU_DEP_2)
	v_lshl_add_u32 v50, v50, 23, 0x37800000
	v_cndmask_b32_e32 v49, v49, v51, vcc_lo
	s_delay_alu instid0(VALU_DEP_1) | instskip(NEXT) | instid1(VALU_DEP_1)
	v_lshlrev_b32_e32 v49, 21, v49
	v_or3_b32 v49, v48, v50, v49
.LBB6_15695:                            ;   in Loop: Header=BB6_15250 Depth=3
	s_or_b32 exec_lo, exec_lo, s31
	v_lshrrev_b32_e32 v48, 24, v11
	s_mov_b32 s14, 0
	s_mov_b32 s34, exec_lo
                                        ; implicit-def: $sgpr31
	s_delay_alu instid0(VALU_DEP_1)
	v_cmpx_lt_i16_e32 0x7f, v48
	s_xor_b32 s34, exec_lo, s34
	s_cbranch_execnz .LBB6_15893
; %bb.15696:                            ;   in Loop: Header=BB6_15250 Depth=3
	s_or_saveexec_b32 s34, s34
	v_mov_b32_e32 v52, s31
	s_xor_b32 exec_lo, exec_lo, s34
	s_cbranch_execnz .LBB6_15896
.LBB6_15697:                            ;   in Loop: Header=BB6_15250 Depth=3
	s_or_b32 exec_lo, exec_lo, s34
	s_and_saveexec_b32 s31, s14
	s_cbranch_execz .LBB6_15699
.LBB6_15698:                            ;   in Loop: Header=BB6_15250 Depth=3
	v_bfe_u32 v50, v11, 24, 2
	s_delay_alu instid0(VALU_DEP_1) | instskip(NEXT) | instid1(VALU_DEP_1)
	v_clz_i32_u32_e32 v51, v50
	v_min_u32_e32 v51, 32, v51
	s_delay_alu instid0(VALU_DEP_1) | instskip(SKIP_1) | instid1(VALU_DEP_2)
	v_subrev_nc_u32_e32 v52, 29, v51
	v_sub_nc_u32_e32 v51, 30, v51
	v_lshlrev_b32_e32 v48, v52, v48
	v_bfe_u32 v52, v11, 26, 5
	v_and_b32_e32 v11, 0x80000000, v11
	s_delay_alu instid0(VALU_DEP_2) | instskip(NEXT) | instid1(VALU_DEP_4)
	v_cmp_eq_u32_e32 vcc_lo, 0, v52
	v_dual_cndmask_b32 v51, v52, v51 :: v_dual_and_b32 v48, 3, v48
	s_delay_alu instid0(VALU_DEP_1) | instskip(NEXT) | instid1(VALU_DEP_2)
	v_cndmask_b32_e32 v48, v50, v48, vcc_lo
	v_lshl_add_u32 v50, v51, 23, 0x37800000
	s_delay_alu instid0(VALU_DEP_2) | instskip(NEXT) | instid1(VALU_DEP_1)
	v_lshlrev_b32_e32 v48, 21, v48
	v_or3_b32 v52, v11, v50, v48
.LBB6_15699:                            ;   in Loop: Header=BB6_15250 Depth=3
	s_or_b32 exec_lo, exec_lo, s31
	s_delay_alu instid0(VALU_DEP_1) | instskip(NEXT) | instid1(VALU_DEP_1)
	v_add_f32_e32 v11, v49, v52
	v_and_b32_e32 v48, 0x7f800000, v11
	s_delay_alu instid0(VALU_DEP_1)
	v_cmp_ne_u32_e32 vcc_lo, 0x7f800000, v48
	v_mov_b32_e32 v48, 0x8000
	s_and_saveexec_b32 s31, vcc_lo
	s_cbranch_execz .LBB6_15249
; %bb.15700:                            ;   in Loop: Header=BB6_15250 Depth=3
	v_mov_b32_e32 v48, 0
	s_mov_b32 s34, exec_lo
	v_cmpx_ne_u32_e32 0, v11
	s_cbranch_execz .LBB6_15248
; %bb.15701:                            ;   in Loop: Header=BB6_15250 Depth=3
	v_bfe_u32 v48, v11, 23, 8
	s_delay_alu instid0(VALU_DEP_1) | instskip(SKIP_1) | instid1(VALU_DEP_2)
	v_sub_nc_u32_e32 v50, 0x70, v48
	v_cmp_gt_u32_e32 vcc_lo, 0x71, v48
	v_dual_cndmask_b32 v50, 0, v50 :: v_dual_and_b32 v49, 0x7fffff, v11
	s_delay_alu instid0(VALU_DEP_1) | instskip(SKIP_2) | instid1(VALU_DEP_4)
	v_or_b32_e32 v51, 0x800000, v49
	v_cmp_eq_u32_e32 vcc_lo, 0, v48
	v_add_nc_u32_e32 v48, 0xffffff91, v48
	v_cndmask_b32_e64 v50, v50, 0x6f, vcc_lo
	s_delay_alu instid0(VALU_DEP_4) | instskip(NEXT) | instid1(VALU_DEP_3)
	v_cndmask_b32_e32 v49, v51, v49, vcc_lo
	v_cndmask_b32_e64 v48, v48, 0xffffff92, vcc_lo
	s_delay_alu instid0(VALU_DEP_3) | instskip(NEXT) | instid1(VALU_DEP_3)
	v_lshl_add_u32 v52, 0x200000, v50, -1
	v_lshrrev_b32_e32 v51, v50, v49
	v_lshlrev_b32_e64 v54, v50, 0x100000
	s_delay_alu instid0(VALU_DEP_3) | instskip(NEXT) | instid1(VALU_DEP_3)
	v_and_b32_e32 v49, v52, v49
	v_bfe_u32 v53, v51, 21, 1
	s_delay_alu instid0(VALU_DEP_2) | instskip(NEXT) | instid1(VALU_DEP_2)
	v_cmp_eq_u32_e64 s14, v49, v54
	v_add_nc_u32_e32 v52, -1, v53
	v_lshrrev_b32_e32 v53, 23, v51
	s_delay_alu instid0(VALU_DEP_2) | instskip(SKIP_1) | instid1(VALU_DEP_3)
	v_cndmask_b32_e64 v49, 0, v52, s14
	v_add_nc_u32_e32 v52, v50, v48
	v_xor_b32_e32 v53, 1, v53
	s_mov_b32 s14, exec_lo
	s_delay_alu instid0(VALU_DEP_3) | instskip(NEXT) | instid1(VALU_DEP_1)
	v_add_nc_u32_e32 v49, v49, v51
	v_and_b32_e32 v48, 0x1fffff, v49
	s_delay_alu instid0(VALU_DEP_1)
	v_add_nc_u32_e32 v49, v48, v51
                                        ; implicit-def: $vgpr48
	v_cmpx_ne_u32_e64 v52, v53
	s_xor_b32 s14, exec_lo, s14
; %bb.15702:                            ;   in Loop: Header=BB6_15250 Depth=3
	s_delay_alu instid0(VALU_DEP_2) | instskip(SKIP_2) | instid1(VALU_DEP_2)
	v_cmp_lt_u32_e32 vcc_lo, 0xffffff, v49
	v_sub_nc_u32_e32 v48, v52, v53
	v_cndmask_b32_e64 v50, 0, 1, vcc_lo
	v_add_co_ci_u32_e32 v48, vcc_lo, 0, v48, vcc_lo
	s_delay_alu instid0(VALU_DEP_2)
	v_lshrrev_b32_e32 v49, v50, v49
; %bb.15703:                            ;   in Loop: Header=BB6_15250 Depth=3
	s_and_not1_saveexec_b32 s14, s14
	s_cbranch_execz .LBB6_15247
; %bb.15704:                            ;   in Loop: Header=BB6_15250 Depth=3
	s_delay_alu instid0(VALU_DEP_1)
	v_bfe_u32 v48, v49, 23, 1
	s_branch .LBB6_15247
.LBB6_15705:                            ;   in Loop: Header=BB6_15250 Depth=3
	s_mov_b32 s14, -1
	s_mov_b32 s36, exec_lo
                                        ; implicit-def: $sgpr34
	v_cmpx_eq_u16_e32 0x80, v27
; %bb.15706:                            ;   in Loop: Header=BB6_15250 Depth=3
	s_mov_b32 s34, 0x7f800001
	s_xor_b32 s14, exec_lo, -1
; %bb.15707:                            ;   in Loop: Header=BB6_15250 Depth=3
	s_or_b32 exec_lo, exec_lo, s36
	s_delay_alu instid0(SALU_CYCLE_1)
	s_and_b32 s14, s14, exec_lo
                                        ; implicit-def: $vgpr27
	s_or_saveexec_b32 s35, s35
	v_mov_b32_e32 v26, s34
	s_xor_b32 exec_lo, exec_lo, s35
	s_cbranch_execz .LBB6_15261
.LBB6_15708:                            ;   in Loop: Header=BB6_15250 Depth=3
	v_cmp_ne_u16_e32 vcc_lo, 0, v27
	v_mov_b32_e32 v26, 0
	s_and_not1_b32 s14, s14, exec_lo
	s_and_b32 vcc_lo, vcc_lo, exec_lo
	s_delay_alu instid0(SALU_CYCLE_1)
	s_or_b32 s14, s14, vcc_lo
	s_or_b32 exec_lo, exec_lo, s35
	s_and_saveexec_b32 s34, s14
	s_cbranch_execnz .LBB6_15262
	s_branch .LBB6_15263
.LBB6_15709:                            ;   in Loop: Header=BB6_15250 Depth=3
	s_mov_b32 s14, -1
	s_mov_b32 s36, exec_lo
                                        ; implicit-def: $sgpr34
	v_cmpx_eq_u16_e32 0x80, v26
; %bb.15710:                            ;   in Loop: Header=BB6_15250 Depth=3
	s_mov_b32 s34, 0x7f800001
	s_xor_b32 s14, exec_lo, -1
; %bb.15711:                            ;   in Loop: Header=BB6_15250 Depth=3
	s_or_b32 exec_lo, exec_lo, s36
	s_delay_alu instid0(SALU_CYCLE_1)
	s_and_b32 s14, s14, exec_lo
	s_or_saveexec_b32 s35, s35
	v_mov_b32_e32 v27, s34
	s_xor_b32 exec_lo, exec_lo, s35
	s_cbranch_execz .LBB6_15273
.LBB6_15712:                            ;   in Loop: Header=BB6_15250 Depth=3
	v_cmp_ne_u16_e32 vcc_lo, 0, v26
	v_mov_b32_e32 v27, 0
	s_and_not1_b32 s14, s14, exec_lo
	s_and_b32 vcc_lo, vcc_lo, exec_lo
	s_delay_alu instid0(SALU_CYCLE_1)
	s_or_b32 s14, s14, vcc_lo
	s_or_b32 exec_lo, exec_lo, s35
	s_and_saveexec_b32 s34, s14
	s_cbranch_execnz .LBB6_15274
	s_branch .LBB6_15275
.LBB6_15713:                            ;   in Loop: Header=BB6_15250 Depth=3
	s_mov_b32 s14, -1
	s_mov_b32 s36, exec_lo
                                        ; implicit-def: $sgpr34
	v_cmpx_eq_u16_e32 0x80, v36
; %bb.15714:                            ;   in Loop: Header=BB6_15250 Depth=3
	s_mov_b32 s34, 0x7f800001
	s_xor_b32 s14, exec_lo, -1
; %bb.15715:                            ;   in Loop: Header=BB6_15250 Depth=3
	s_or_b32 exec_lo, exec_lo, s36
	s_delay_alu instid0(SALU_CYCLE_1)
	s_and_b32 s14, s14, exec_lo
                                        ; implicit-def: $vgpr36
	s_or_saveexec_b32 s35, s35
	v_mov_b32_e32 v27, s34
	s_xor_b32 exec_lo, exec_lo, s35
	s_cbranch_execz .LBB6_15285
.LBB6_15716:                            ;   in Loop: Header=BB6_15250 Depth=3
	v_cmp_ne_u16_e32 vcc_lo, 0, v36
	v_mov_b32_e32 v27, 0
	s_and_not1_b32 s14, s14, exec_lo
	s_and_b32 vcc_lo, vcc_lo, exec_lo
	s_delay_alu instid0(SALU_CYCLE_1)
	s_or_b32 s14, s14, vcc_lo
	s_or_b32 exec_lo, exec_lo, s35
	s_and_saveexec_b32 s34, s14
	s_cbranch_execnz .LBB6_15286
	s_branch .LBB6_15287
.LBB6_15717:                            ;   in Loop: Header=BB6_15250 Depth=3
	s_mov_b32 s14, -1
	s_mov_b32 s36, exec_lo
                                        ; implicit-def: $sgpr34
	v_cmpx_eq_u16_e32 0x80, v26
; %bb.15718:                            ;   in Loop: Header=BB6_15250 Depth=3
	s_mov_b32 s34, 0x7f800001
	s_xor_b32 s14, exec_lo, -1
; %bb.15719:                            ;   in Loop: Header=BB6_15250 Depth=3
	s_or_b32 exec_lo, exec_lo, s36
	s_delay_alu instid0(SALU_CYCLE_1)
	s_and_b32 s14, s14, exec_lo
	s_or_saveexec_b32 s35, s35
	v_mov_b32_e32 v27, s34
	s_xor_b32 exec_lo, exec_lo, s35
	s_cbranch_execz .LBB6_15297
.LBB6_15720:                            ;   in Loop: Header=BB6_15250 Depth=3
	v_cmp_ne_u16_e32 vcc_lo, 0, v26
	v_mov_b32_e32 v27, 0
	s_and_not1_b32 s14, s14, exec_lo
	s_and_b32 vcc_lo, vcc_lo, exec_lo
	s_delay_alu instid0(SALU_CYCLE_1)
	s_or_b32 s14, s14, vcc_lo
	s_or_b32 exec_lo, exec_lo, s35
	s_and_saveexec_b32 s34, s14
	s_cbranch_execnz .LBB6_15298
	s_branch .LBB6_15299
.LBB6_15721:                            ;   in Loop: Header=BB6_15250 Depth=3
	s_mov_b32 s14, -1
	s_mov_b32 s36, exec_lo
                                        ; implicit-def: $sgpr34
	v_cmpx_eq_u16_e32 0x80, v26
; %bb.15722:                            ;   in Loop: Header=BB6_15250 Depth=3
	s_mov_b32 s34, 0x7f800001
	s_xor_b32 s14, exec_lo, -1
; %bb.15723:                            ;   in Loop: Header=BB6_15250 Depth=3
	s_or_b32 exec_lo, exec_lo, s36
	s_delay_alu instid0(SALU_CYCLE_1)
	s_and_b32 s14, s14, exec_lo
                                        ; implicit-def: $vgpr26
	s_or_saveexec_b32 s35, s35
	v_mov_b32_e32 v8, s34
	s_xor_b32 exec_lo, exec_lo, s35
	s_cbranch_execz .LBB6_15309
.LBB6_15724:                            ;   in Loop: Header=BB6_15250 Depth=3
	v_cmp_ne_u16_e32 vcc_lo, 0, v26
	v_mov_b32_e32 v8, 0
	s_and_not1_b32 s14, s14, exec_lo
	s_and_b32 vcc_lo, vcc_lo, exec_lo
	s_delay_alu instid0(SALU_CYCLE_1)
	s_or_b32 s14, s14, vcc_lo
	s_or_b32 exec_lo, exec_lo, s35
	s_and_saveexec_b32 s34, s14
	s_cbranch_execnz .LBB6_15310
	s_branch .LBB6_15311
.LBB6_15725:                            ;   in Loop: Header=BB6_15250 Depth=3
	s_mov_b32 s14, -1
	s_mov_b32 s36, exec_lo
                                        ; implicit-def: $sgpr34
	v_cmpx_eq_u16_e32 0x80, v8
; %bb.15726:                            ;   in Loop: Header=BB6_15250 Depth=3
	s_mov_b32 s34, 0x7f800001
	s_xor_b32 s14, exec_lo, -1
; %bb.15727:                            ;   in Loop: Header=BB6_15250 Depth=3
	s_or_b32 exec_lo, exec_lo, s36
	s_delay_alu instid0(SALU_CYCLE_1)
	s_and_b32 s14, s14, exec_lo
	s_or_saveexec_b32 s35, s35
	v_mov_b32_e32 v26, s34
	s_xor_b32 exec_lo, exec_lo, s35
	s_cbranch_execz .LBB6_15321
.LBB6_15728:                            ;   in Loop: Header=BB6_15250 Depth=3
	v_cmp_ne_u16_e32 vcc_lo, 0, v8
	v_mov_b32_e32 v26, 0
	s_and_not1_b32 s14, s14, exec_lo
	s_and_b32 vcc_lo, vcc_lo, exec_lo
	s_delay_alu instid0(SALU_CYCLE_1)
	s_or_b32 s14, s14, vcc_lo
	s_or_b32 exec_lo, exec_lo, s35
	s_and_saveexec_b32 s34, s14
	s_cbranch_execnz .LBB6_15322
	s_branch .LBB6_15323
.LBB6_15729:                            ;   in Loop: Header=BB6_15250 Depth=3
	s_mov_b32 s14, -1
	s_mov_b32 s36, exec_lo
                                        ; implicit-def: $sgpr34
	v_cmpx_eq_u16_e32 0x80, v27
; %bb.15730:                            ;   in Loop: Header=BB6_15250 Depth=3
	s_mov_b32 s34, 0x7f800001
	s_xor_b32 s14, exec_lo, -1
; %bb.15731:                            ;   in Loop: Header=BB6_15250 Depth=3
	s_or_b32 exec_lo, exec_lo, s36
	s_delay_alu instid0(SALU_CYCLE_1)
	s_and_b32 s14, s14, exec_lo
                                        ; implicit-def: $vgpr27
	s_or_saveexec_b32 s35, s35
	v_mov_b32_e32 v26, s34
	s_xor_b32 exec_lo, exec_lo, s35
	s_cbranch_execz .LBB6_15333
.LBB6_15732:                            ;   in Loop: Header=BB6_15250 Depth=3
	v_cmp_ne_u16_e32 vcc_lo, 0, v27
	v_mov_b32_e32 v26, 0
	s_and_not1_b32 s14, s14, exec_lo
	s_and_b32 vcc_lo, vcc_lo, exec_lo
	s_delay_alu instid0(SALU_CYCLE_1)
	s_or_b32 s14, s14, vcc_lo
	s_or_b32 exec_lo, exec_lo, s35
	s_and_saveexec_b32 s34, s14
	s_cbranch_execnz .LBB6_15334
	s_branch .LBB6_15335
.LBB6_15733:                            ;   in Loop: Header=BB6_15250 Depth=3
	s_mov_b32 s14, -1
	s_mov_b32 s36, exec_lo
                                        ; implicit-def: $sgpr34
	v_cmpx_eq_u16_e32 0x80, v8
; %bb.15734:                            ;   in Loop: Header=BB6_15250 Depth=3
	s_mov_b32 s34, 0x7f800001
	s_xor_b32 s14, exec_lo, -1
; %bb.15735:                            ;   in Loop: Header=BB6_15250 Depth=3
	s_or_b32 exec_lo, exec_lo, s36
	s_delay_alu instid0(SALU_CYCLE_1)
	s_and_b32 s14, s14, exec_lo
	s_or_saveexec_b32 s35, s35
	v_mov_b32_e32 v26, s34
	s_xor_b32 exec_lo, exec_lo, s35
	s_cbranch_execz .LBB6_15345
.LBB6_15736:                            ;   in Loop: Header=BB6_15250 Depth=3
	v_cmp_ne_u16_e32 vcc_lo, 0, v8
	v_mov_b32_e32 v26, 0
	s_and_not1_b32 s14, s14, exec_lo
	s_and_b32 vcc_lo, vcc_lo, exec_lo
	s_delay_alu instid0(SALU_CYCLE_1)
	s_or_b32 s14, s14, vcc_lo
	s_or_b32 exec_lo, exec_lo, s35
	s_and_saveexec_b32 s34, s14
	s_cbranch_execnz .LBB6_15346
	s_branch .LBB6_15347
.LBB6_15737:                            ;   in Loop: Header=BB6_15250 Depth=3
	s_mov_b32 s14, -1
	s_mov_b32 s36, exec_lo
                                        ; implicit-def: $sgpr34
	v_cmpx_eq_u16_e32 0x80, v9
; %bb.15738:                            ;   in Loop: Header=BB6_15250 Depth=3
	s_mov_b32 s34, 0x7f800001
	s_xor_b32 s14, exec_lo, -1
; %bb.15739:                            ;   in Loop: Header=BB6_15250 Depth=3
	s_or_b32 exec_lo, exec_lo, s36
	s_delay_alu instid0(SALU_CYCLE_1)
	s_and_b32 s14, s14, exec_lo
                                        ; implicit-def: $vgpr9
	s_or_saveexec_b32 s35, s35
	v_mov_b32_e32 v8, s34
	s_xor_b32 exec_lo, exec_lo, s35
	s_cbranch_execz .LBB6_15357
.LBB6_15740:                            ;   in Loop: Header=BB6_15250 Depth=3
	v_cmp_ne_u16_e32 vcc_lo, 0, v9
	v_mov_b32_e32 v8, 0
	s_and_not1_b32 s14, s14, exec_lo
	s_and_b32 vcc_lo, vcc_lo, exec_lo
	s_delay_alu instid0(SALU_CYCLE_1)
	s_or_b32 s14, s14, vcc_lo
	s_or_b32 exec_lo, exec_lo, s35
	s_and_saveexec_b32 s34, s14
	s_cbranch_execnz .LBB6_15358
	s_branch .LBB6_15359
.LBB6_15741:                            ;   in Loop: Header=BB6_15250 Depth=3
	s_mov_b32 s14, -1
	s_mov_b32 s36, exec_lo
                                        ; implicit-def: $sgpr34
	v_cmpx_eq_u16_e32 0x80, v8
; %bb.15742:                            ;   in Loop: Header=BB6_15250 Depth=3
	s_mov_b32 s34, 0x7f800001
	s_xor_b32 s14, exec_lo, -1
; %bb.15743:                            ;   in Loop: Header=BB6_15250 Depth=3
	s_or_b32 exec_lo, exec_lo, s36
	s_delay_alu instid0(SALU_CYCLE_1)
	s_and_b32 s14, s14, exec_lo
	s_or_saveexec_b32 s35, s35
	v_mov_b32_e32 v9, s34
	s_xor_b32 exec_lo, exec_lo, s35
	s_cbranch_execz .LBB6_15369
.LBB6_15744:                            ;   in Loop: Header=BB6_15250 Depth=3
	v_cmp_ne_u16_e32 vcc_lo, 0, v8
	v_mov_b32_e32 v9, 0
	s_and_not1_b32 s14, s14, exec_lo
	s_and_b32 vcc_lo, vcc_lo, exec_lo
	s_delay_alu instid0(SALU_CYCLE_1)
	s_or_b32 s14, s14, vcc_lo
	s_or_b32 exec_lo, exec_lo, s35
	s_and_saveexec_b32 s34, s14
	s_cbranch_execnz .LBB6_15370
	s_branch .LBB6_15371
.LBB6_15745:                            ;   in Loop: Header=BB6_15250 Depth=3
	s_mov_b32 s14, -1
	s_mov_b32 s36, exec_lo
                                        ; implicit-def: $sgpr34
	v_cmpx_eq_u16_e32 0x80, v26
; %bb.15746:                            ;   in Loop: Header=BB6_15250 Depth=3
	s_mov_b32 s34, 0x7f800001
	s_xor_b32 s14, exec_lo, -1
; %bb.15747:                            ;   in Loop: Header=BB6_15250 Depth=3
	s_or_b32 exec_lo, exec_lo, s36
	s_delay_alu instid0(SALU_CYCLE_1)
	s_and_b32 s14, s14, exec_lo
                                        ; implicit-def: $vgpr26
	s_or_saveexec_b32 s35, s35
	v_mov_b32_e32 v9, s34
	s_xor_b32 exec_lo, exec_lo, s35
	s_cbranch_execz .LBB6_15381
.LBB6_15748:                            ;   in Loop: Header=BB6_15250 Depth=3
	v_cmp_ne_u16_e32 vcc_lo, 0, v26
	v_mov_b32_e32 v9, 0
	s_and_not1_b32 s14, s14, exec_lo
	s_and_b32 vcc_lo, vcc_lo, exec_lo
	s_delay_alu instid0(SALU_CYCLE_1)
	s_or_b32 s14, s14, vcc_lo
	s_or_b32 exec_lo, exec_lo, s35
	s_and_saveexec_b32 s34, s14
	s_cbranch_execnz .LBB6_15382
	s_branch .LBB6_15383
.LBB6_15749:                            ;   in Loop: Header=BB6_15250 Depth=3
	s_mov_b32 s14, -1
	s_mov_b32 s36, exec_lo
                                        ; implicit-def: $sgpr34
	v_cmpx_eq_u16_e32 0x80, v8
; %bb.15750:                            ;   in Loop: Header=BB6_15250 Depth=3
	s_mov_b32 s34, 0x7f800001
	s_xor_b32 s14, exec_lo, -1
; %bb.15751:                            ;   in Loop: Header=BB6_15250 Depth=3
	s_or_b32 exec_lo, exec_lo, s36
	s_delay_alu instid0(SALU_CYCLE_1)
	s_and_b32 s14, s14, exec_lo
	s_or_saveexec_b32 s35, s35
	v_mov_b32_e32 v9, s34
	s_xor_b32 exec_lo, exec_lo, s35
	s_cbranch_execz .LBB6_15393
.LBB6_15752:                            ;   in Loop: Header=BB6_15250 Depth=3
	v_cmp_ne_u16_e32 vcc_lo, 0, v8
	v_mov_b32_e32 v9, 0
	s_and_not1_b32 s14, s14, exec_lo
	s_and_b32 vcc_lo, vcc_lo, exec_lo
	s_delay_alu instid0(SALU_CYCLE_1)
	s_or_b32 s14, s14, vcc_lo
	s_or_b32 exec_lo, exec_lo, s35
	s_and_saveexec_b32 s34, s14
	s_cbranch_execnz .LBB6_15394
	s_branch .LBB6_15395
.LBB6_15753:                            ;   in Loop: Header=BB6_15250 Depth=3
	s_mov_b32 s14, -1
	s_mov_b32 s36, exec_lo
                                        ; implicit-def: $sgpr34
	v_cmpx_eq_u16_e32 0x80, v9
; %bb.15754:                            ;   in Loop: Header=BB6_15250 Depth=3
	s_mov_b32 s34, 0x7f800001
	s_xor_b32 s14, exec_lo, -1
; %bb.15755:                            ;   in Loop: Header=BB6_15250 Depth=3
	s_or_b32 exec_lo, exec_lo, s36
	s_delay_alu instid0(SALU_CYCLE_1)
	s_and_b32 s14, s14, exec_lo
                                        ; implicit-def: $vgpr9
	s_or_saveexec_b32 s35, s35
	v_mov_b32_e32 v8, s34
	s_xor_b32 exec_lo, exec_lo, s35
	s_cbranch_execz .LBB6_15405
.LBB6_15756:                            ;   in Loop: Header=BB6_15250 Depth=3
	v_cmp_ne_u16_e32 vcc_lo, 0, v9
	v_mov_b32_e32 v8, 0
	s_and_not1_b32 s14, s14, exec_lo
	s_and_b32 vcc_lo, vcc_lo, exec_lo
	s_delay_alu instid0(SALU_CYCLE_1)
	s_or_b32 s14, s14, vcc_lo
	s_or_b32 exec_lo, exec_lo, s35
	s_and_saveexec_b32 s34, s14
	s_cbranch_execnz .LBB6_15406
	s_branch .LBB6_15407
.LBB6_15757:                            ;   in Loop: Header=BB6_15250 Depth=3
	s_mov_b32 s14, -1
	s_mov_b32 s36, exec_lo
                                        ; implicit-def: $sgpr34
	v_cmpx_eq_u16_e32 0x80, v8
; %bb.15758:                            ;   in Loop: Header=BB6_15250 Depth=3
	s_mov_b32 s34, 0x7f800001
	s_xor_b32 s14, exec_lo, -1
; %bb.15759:                            ;   in Loop: Header=BB6_15250 Depth=3
	s_or_b32 exec_lo, exec_lo, s36
	s_delay_alu instid0(SALU_CYCLE_1)
	s_and_b32 s14, s14, exec_lo
	s_or_saveexec_b32 s35, s35
	v_mov_b32_e32 v9, s34
	s_xor_b32 exec_lo, exec_lo, s35
	s_cbranch_execz .LBB6_15417
.LBB6_15760:                            ;   in Loop: Header=BB6_15250 Depth=3
	v_cmp_ne_u16_e32 vcc_lo, 0, v8
	v_mov_b32_e32 v9, 0
	s_and_not1_b32 s14, s14, exec_lo
	s_and_b32 vcc_lo, vcc_lo, exec_lo
	s_delay_alu instid0(SALU_CYCLE_1)
	s_or_b32 s14, s14, vcc_lo
	s_or_b32 exec_lo, exec_lo, s35
	s_and_saveexec_b32 s34, s14
	s_cbranch_execnz .LBB6_15418
	s_branch .LBB6_15419
.LBB6_15761:                            ;   in Loop: Header=BB6_15250 Depth=3
	s_mov_b32 s14, -1
	s_mov_b32 s36, exec_lo
                                        ; implicit-def: $sgpr34
	v_cmpx_eq_u16_e32 0x80, v10
; %bb.15762:                            ;   in Loop: Header=BB6_15250 Depth=3
	s_mov_b32 s34, 0x7f800001
	s_xor_b32 s14, exec_lo, -1
; %bb.15763:                            ;   in Loop: Header=BB6_15250 Depth=3
	s_or_b32 exec_lo, exec_lo, s36
	s_delay_alu instid0(SALU_CYCLE_1)
	s_and_b32 s14, s14, exec_lo
                                        ; implicit-def: $vgpr10
	s_or_saveexec_b32 s35, s35
	v_mov_b32_e32 v9, s34
	s_xor_b32 exec_lo, exec_lo, s35
	s_cbranch_execz .LBB6_15429
.LBB6_15764:                            ;   in Loop: Header=BB6_15250 Depth=3
	v_cmp_ne_u16_e32 vcc_lo, 0, v10
	v_mov_b32_e32 v9, 0
	s_and_not1_b32 s14, s14, exec_lo
	s_and_b32 vcc_lo, vcc_lo, exec_lo
	s_delay_alu instid0(SALU_CYCLE_1)
	s_or_b32 s14, s14, vcc_lo
	s_or_b32 exec_lo, exec_lo, s35
	s_and_saveexec_b32 s34, s14
	s_cbranch_execnz .LBB6_15430
	s_branch .LBB6_15431
.LBB6_15765:                            ;   in Loop: Header=BB6_15250 Depth=3
	s_mov_b32 s14, -1
	s_mov_b32 s36, exec_lo
                                        ; implicit-def: $sgpr34
	v_cmpx_eq_u16_e32 0x80, v8
; %bb.15766:                            ;   in Loop: Header=BB6_15250 Depth=3
	s_mov_b32 s34, 0x7f800001
	s_xor_b32 s14, exec_lo, -1
; %bb.15767:                            ;   in Loop: Header=BB6_15250 Depth=3
	s_or_b32 exec_lo, exec_lo, s36
	s_delay_alu instid0(SALU_CYCLE_1)
	s_and_b32 s14, s14, exec_lo
	s_or_saveexec_b32 s35, s35
	v_mov_b32_e32 v9, s34
	s_xor_b32 exec_lo, exec_lo, s35
	s_cbranch_execz .LBB6_15441
.LBB6_15768:                            ;   in Loop: Header=BB6_15250 Depth=3
	v_cmp_ne_u16_e32 vcc_lo, 0, v8
	v_mov_b32_e32 v9, 0
	s_and_not1_b32 s14, s14, exec_lo
	s_and_b32 vcc_lo, vcc_lo, exec_lo
	s_delay_alu instid0(SALU_CYCLE_1)
	s_or_b32 s14, s14, vcc_lo
	s_or_b32 exec_lo, exec_lo, s35
	s_and_saveexec_b32 s34, s14
	s_cbranch_execnz .LBB6_15442
	s_branch .LBB6_15443
.LBB6_15769:                            ;   in Loop: Header=BB6_15250 Depth=3
	s_mov_b32 s14, -1
	s_mov_b32 s35, exec_lo
                                        ; implicit-def: $sgpr31
	v_cmpx_eq_u16_e32 0x80, v27
; %bb.15770:                            ;   in Loop: Header=BB6_15250 Depth=3
	s_mov_b32 s31, 0x7f800001
	s_xor_b32 s14, exec_lo, -1
; %bb.15771:                            ;   in Loop: Header=BB6_15250 Depth=3
	s_or_b32 exec_lo, exec_lo, s35
	s_delay_alu instid0(SALU_CYCLE_1)
	s_and_b32 s14, s14, exec_lo
                                        ; implicit-def: $vgpr27
	s_or_saveexec_b32 s34, s34
	v_mov_b32_e32 v26, s31
	s_xor_b32 exec_lo, exec_lo, s34
	s_cbranch_execz .LBB6_15453
.LBB6_15772:                            ;   in Loop: Header=BB6_15250 Depth=3
	v_cmp_ne_u16_e32 vcc_lo, 0, v27
	v_mov_b32_e32 v26, 0
	s_and_not1_b32 s14, s14, exec_lo
	s_and_b32 vcc_lo, vcc_lo, exec_lo
	s_delay_alu instid0(SALU_CYCLE_1)
	s_or_b32 s14, s14, vcc_lo
	s_or_b32 exec_lo, exec_lo, s34
	s_and_saveexec_b32 s31, s14
	s_cbranch_execnz .LBB6_15454
	s_branch .LBB6_15455
.LBB6_15773:                            ;   in Loop: Header=BB6_15250 Depth=3
	s_mov_b32 s14, -1
	s_mov_b32 s35, exec_lo
                                        ; implicit-def: $sgpr31
	v_cmpx_eq_u16_e32 0x80, v36
; %bb.15774:                            ;   in Loop: Header=BB6_15250 Depth=3
	s_mov_b32 s31, 0x7f800001
	s_xor_b32 s14, exec_lo, -1
; %bb.15775:                            ;   in Loop: Header=BB6_15250 Depth=3
	s_or_b32 exec_lo, exec_lo, s35
	s_delay_alu instid0(SALU_CYCLE_1)
	s_and_b32 s14, s14, exec_lo
                                        ; implicit-def: $vgpr36
	s_or_saveexec_b32 s34, s34
	v_mov_b32_e32 v27, s31
	s_xor_b32 exec_lo, exec_lo, s34
	s_cbranch_execz .LBB6_15457
.LBB6_15776:                            ;   in Loop: Header=BB6_15250 Depth=3
	v_cmp_ne_u16_e32 vcc_lo, 0, v36
	v_mov_b32_e32 v27, 0
	s_and_not1_b32 s14, s14, exec_lo
	s_and_b32 vcc_lo, vcc_lo, exec_lo
	s_delay_alu instid0(SALU_CYCLE_1)
	s_or_b32 s14, s14, vcc_lo
	s_or_b32 exec_lo, exec_lo, s34
	s_and_saveexec_b32 s31, s14
	s_cbranch_execnz .LBB6_15458
	s_branch .LBB6_15459
.LBB6_15777:                            ;   in Loop: Header=BB6_15250 Depth=3
	s_mov_b32 s14, -1
	s_mov_b32 s35, exec_lo
                                        ; implicit-def: $sgpr31
	v_cmpx_eq_u16_e32 0x80, v27
; %bb.15778:                            ;   in Loop: Header=BB6_15250 Depth=3
	s_mov_b32 s31, 0x7f800001
	s_xor_b32 s14, exec_lo, -1
; %bb.15779:                            ;   in Loop: Header=BB6_15250 Depth=3
	s_or_b32 exec_lo, exec_lo, s35
	s_delay_alu instid0(SALU_CYCLE_1)
	s_and_b32 s14, s14, exec_lo
                                        ; implicit-def: $vgpr27
	s_or_saveexec_b32 s34, s34
	v_mov_b32_e32 v26, s31
	s_xor_b32 exec_lo, exec_lo, s34
	s_cbranch_execz .LBB6_15469
.LBB6_15780:                            ;   in Loop: Header=BB6_15250 Depth=3
	v_cmp_ne_u16_e32 vcc_lo, 0, v27
	v_mov_b32_e32 v26, 0
	s_and_not1_b32 s14, s14, exec_lo
	s_and_b32 vcc_lo, vcc_lo, exec_lo
	s_delay_alu instid0(SALU_CYCLE_1)
	s_or_b32 s14, s14, vcc_lo
	s_or_b32 exec_lo, exec_lo, s34
	s_and_saveexec_b32 s31, s14
	s_cbranch_execnz .LBB6_15470
	s_branch .LBB6_15471
.LBB6_15781:                            ;   in Loop: Header=BB6_15250 Depth=3
	s_mov_b32 s14, -1
	s_mov_b32 s35, exec_lo
                                        ; implicit-def: $sgpr31
	v_cmpx_eq_u16_e32 0x80, v27
; %bb.15782:                            ;   in Loop: Header=BB6_15250 Depth=3
	s_mov_b32 s31, 0x7f800001
	s_xor_b32 s14, exec_lo, -1
; %bb.15783:                            ;   in Loop: Header=BB6_15250 Depth=3
	s_or_b32 exec_lo, exec_lo, s35
	s_delay_alu instid0(SALU_CYCLE_1)
	s_and_b32 s14, s14, exec_lo
	s_or_saveexec_b32 s34, s34
	v_mov_b32_e32 v36, s31
	s_xor_b32 exec_lo, exec_lo, s34
	s_cbranch_execz .LBB6_15473
.LBB6_15784:                            ;   in Loop: Header=BB6_15250 Depth=3
	v_cmp_ne_u16_e32 vcc_lo, 0, v27
	v_mov_b32_e32 v36, 0
	s_and_not1_b32 s14, s14, exec_lo
	s_and_b32 vcc_lo, vcc_lo, exec_lo
	s_delay_alu instid0(SALU_CYCLE_1)
	s_or_b32 s14, s14, vcc_lo
	s_or_b32 exec_lo, exec_lo, s34
	s_and_saveexec_b32 s31, s14
	s_cbranch_execnz .LBB6_15474
	s_branch .LBB6_15475
.LBB6_15785:                            ;   in Loop: Header=BB6_15250 Depth=3
	s_mov_b32 s14, -1
	s_mov_b32 s35, exec_lo
                                        ; implicit-def: $sgpr31
	v_cmpx_eq_u16_e32 0x80, v27
; %bb.15786:                            ;   in Loop: Header=BB6_15250 Depth=3
	s_mov_b32 s31, 0x7f800001
	s_xor_b32 s14, exec_lo, -1
; %bb.15787:                            ;   in Loop: Header=BB6_15250 Depth=3
	s_or_b32 exec_lo, exec_lo, s35
	s_delay_alu instid0(SALU_CYCLE_1)
	s_and_b32 s14, s14, exec_lo
                                        ; implicit-def: $vgpr27
	s_or_saveexec_b32 s34, s34
	v_mov_b32_e32 v26, s31
	s_xor_b32 exec_lo, exec_lo, s34
	s_cbranch_execz .LBB6_15485
.LBB6_15788:                            ;   in Loop: Header=BB6_15250 Depth=3
	v_cmp_ne_u16_e32 vcc_lo, 0, v27
	v_mov_b32_e32 v26, 0
	s_and_not1_b32 s14, s14, exec_lo
	s_and_b32 vcc_lo, vcc_lo, exec_lo
	s_delay_alu instid0(SALU_CYCLE_1)
	s_or_b32 s14, s14, vcc_lo
	s_or_b32 exec_lo, exec_lo, s34
	s_and_saveexec_b32 s31, s14
	s_cbranch_execnz .LBB6_15486
	s_branch .LBB6_15487
.LBB6_15789:                            ;   in Loop: Header=BB6_15250 Depth=3
	s_mov_b32 s14, -1
	s_mov_b32 s35, exec_lo
                                        ; implicit-def: $sgpr31
	v_cmpx_eq_u16_e32 0x80, v37
; %bb.15790:                            ;   in Loop: Header=BB6_15250 Depth=3
	s_mov_b32 s31, 0x7f800001
	s_xor_b32 s14, exec_lo, -1
; %bb.15791:                            ;   in Loop: Header=BB6_15250 Depth=3
	s_or_b32 exec_lo, exec_lo, s35
	s_delay_alu instid0(SALU_CYCLE_1)
	s_and_b32 s14, s14, exec_lo
                                        ; implicit-def: $vgpr37
	s_or_saveexec_b32 s34, s34
	v_mov_b32_e32 v36, s31
	s_xor_b32 exec_lo, exec_lo, s34
	s_cbranch_execz .LBB6_15489
.LBB6_15792:                            ;   in Loop: Header=BB6_15250 Depth=3
	v_cmp_ne_u16_e32 vcc_lo, 0, v37
	v_mov_b32_e32 v36, 0
	s_and_not1_b32 s14, s14, exec_lo
	s_and_b32 vcc_lo, vcc_lo, exec_lo
	s_delay_alu instid0(SALU_CYCLE_1)
	s_or_b32 s14, s14, vcc_lo
	s_or_b32 exec_lo, exec_lo, s34
	s_and_saveexec_b32 s31, s14
	s_cbranch_execnz .LBB6_15490
	s_branch .LBB6_15491
.LBB6_15793:                            ;   in Loop: Header=BB6_15250 Depth=3
	s_mov_b32 s14, -1
	s_mov_b32 s35, exec_lo
                                        ; implicit-def: $sgpr31
	v_cmpx_eq_u16_e32 0x80, v27
; %bb.15794:                            ;   in Loop: Header=BB6_15250 Depth=3
	s_mov_b32 s31, 0x7f800001
	s_xor_b32 s14, exec_lo, -1
; %bb.15795:                            ;   in Loop: Header=BB6_15250 Depth=3
	s_or_b32 exec_lo, exec_lo, s35
	s_delay_alu instid0(SALU_CYCLE_1)
	s_and_b32 s14, s14, exec_lo
	s_or_saveexec_b32 s34, s34
	v_mov_b32_e32 v26, s31
	s_xor_b32 exec_lo, exec_lo, s34
	s_cbranch_execz .LBB6_15501
.LBB6_15796:                            ;   in Loop: Header=BB6_15250 Depth=3
	v_cmp_ne_u16_e32 vcc_lo, 0, v27
	v_mov_b32_e32 v26, 0
	s_and_not1_b32 s14, s14, exec_lo
	s_and_b32 vcc_lo, vcc_lo, exec_lo
	s_delay_alu instid0(SALU_CYCLE_1)
	s_or_b32 s14, s14, vcc_lo
	s_or_b32 exec_lo, exec_lo, s34
	s_and_saveexec_b32 s31, s14
	s_cbranch_execnz .LBB6_15502
	s_branch .LBB6_15503
.LBB6_15797:                            ;   in Loop: Header=BB6_15250 Depth=3
	s_mov_b32 s14, -1
	s_mov_b32 s35, exec_lo
                                        ; implicit-def: $sgpr31
	v_cmpx_eq_u16_e32 0x80, v27
; %bb.15798:                            ;   in Loop: Header=BB6_15250 Depth=3
	s_mov_b32 s31, 0x7f800001
	s_xor_b32 s14, exec_lo, -1
; %bb.15799:                            ;   in Loop: Header=BB6_15250 Depth=3
	s_or_b32 exec_lo, exec_lo, s35
	s_delay_alu instid0(SALU_CYCLE_1)
	s_and_b32 s14, s14, exec_lo
	s_or_saveexec_b32 s34, s34
	v_mov_b32_e32 v36, s31
	s_xor_b32 exec_lo, exec_lo, s34
	s_cbranch_execz .LBB6_15505
.LBB6_15800:                            ;   in Loop: Header=BB6_15250 Depth=3
	v_cmp_ne_u16_e32 vcc_lo, 0, v27
	v_mov_b32_e32 v36, 0
	s_and_not1_b32 s14, s14, exec_lo
	s_and_b32 vcc_lo, vcc_lo, exec_lo
	s_delay_alu instid0(SALU_CYCLE_1)
	s_or_b32 s14, s14, vcc_lo
	s_or_b32 exec_lo, exec_lo, s34
	s_and_saveexec_b32 s31, s14
	s_cbranch_execnz .LBB6_15506
	s_branch .LBB6_15507
.LBB6_15801:                            ;   in Loop: Header=BB6_15250 Depth=3
	s_mov_b32 s14, -1
	s_mov_b32 s35, exec_lo
                                        ; implicit-def: $sgpr31
	v_cmpx_eq_u16_e32 0x80, v36
; %bb.15802:                            ;   in Loop: Header=BB6_15250 Depth=3
	s_mov_b32 s31, 0x7f800001
	s_xor_b32 s14, exec_lo, -1
; %bb.15803:                            ;   in Loop: Header=BB6_15250 Depth=3
	s_or_b32 exec_lo, exec_lo, s35
	s_delay_alu instid0(SALU_CYCLE_1)
	s_and_b32 s14, s14, exec_lo
                                        ; implicit-def: $vgpr36
	s_or_saveexec_b32 s34, s34
	v_mov_b32_e32 v27, s31
	s_xor_b32 exec_lo, exec_lo, s34
	s_cbranch_execz .LBB6_15517
.LBB6_15804:                            ;   in Loop: Header=BB6_15250 Depth=3
	v_cmp_ne_u16_e32 vcc_lo, 0, v36
	v_mov_b32_e32 v27, 0
	s_and_not1_b32 s14, s14, exec_lo
	s_and_b32 vcc_lo, vcc_lo, exec_lo
	s_delay_alu instid0(SALU_CYCLE_1)
	s_or_b32 s14, s14, vcc_lo
	s_or_b32 exec_lo, exec_lo, s34
	s_and_saveexec_b32 s31, s14
	s_cbranch_execnz .LBB6_15518
	s_branch .LBB6_15519
.LBB6_15805:                            ;   in Loop: Header=BB6_15250 Depth=3
	s_mov_b32 s14, -1
	s_mov_b32 s35, exec_lo
                                        ; implicit-def: $sgpr31
	v_cmpx_eq_u16_e32 0x80, v37
; %bb.15806:                            ;   in Loop: Header=BB6_15250 Depth=3
	s_mov_b32 s31, 0x7f800001
	s_xor_b32 s14, exec_lo, -1
; %bb.15807:                            ;   in Loop: Header=BB6_15250 Depth=3
	s_or_b32 exec_lo, exec_lo, s35
	s_delay_alu instid0(SALU_CYCLE_1)
	s_and_b32 s14, s14, exec_lo
                                        ; implicit-def: $vgpr37
	s_or_saveexec_b32 s34, s34
	v_mov_b32_e32 v36, s31
	s_xor_b32 exec_lo, exec_lo, s34
	s_cbranch_execz .LBB6_15521
.LBB6_15808:                            ;   in Loop: Header=BB6_15250 Depth=3
	v_cmp_ne_u16_e32 vcc_lo, 0, v37
	v_mov_b32_e32 v36, 0
	s_and_not1_b32 s14, s14, exec_lo
	s_and_b32 vcc_lo, vcc_lo, exec_lo
	s_delay_alu instid0(SALU_CYCLE_1)
	s_or_b32 s14, s14, vcc_lo
	s_or_b32 exec_lo, exec_lo, s34
	s_and_saveexec_b32 s31, s14
	s_cbranch_execnz .LBB6_15522
	s_branch .LBB6_15523
.LBB6_15809:                            ;   in Loop: Header=BB6_15250 Depth=3
	s_mov_b32 s14, -1
	s_mov_b32 s35, exec_lo
                                        ; implicit-def: $sgpr31
	v_cmpx_eq_u16_e32 0x80, v36
; %bb.15810:                            ;   in Loop: Header=BB6_15250 Depth=3
	s_mov_b32 s31, 0x7f800001
	s_xor_b32 s14, exec_lo, -1
; %bb.15811:                            ;   in Loop: Header=BB6_15250 Depth=3
	s_or_b32 exec_lo, exec_lo, s35
	s_delay_alu instid0(SALU_CYCLE_1)
	s_and_b32 s14, s14, exec_lo
	s_or_saveexec_b32 s34, s34
	v_mov_b32_e32 v27, s31
	s_xor_b32 exec_lo, exec_lo, s34
	s_cbranch_execz .LBB6_15533
.LBB6_15812:                            ;   in Loop: Header=BB6_15250 Depth=3
	v_cmp_ne_u16_e32 vcc_lo, 0, v36
	v_mov_b32_e32 v27, 0
	s_and_not1_b32 s14, s14, exec_lo
	s_and_b32 vcc_lo, vcc_lo, exec_lo
	s_delay_alu instid0(SALU_CYCLE_1)
	s_or_b32 s14, s14, vcc_lo
	s_or_b32 exec_lo, exec_lo, s34
	s_and_saveexec_b32 s31, s14
	s_cbranch_execnz .LBB6_15534
	s_branch .LBB6_15535
.LBB6_15813:                            ;   in Loop: Header=BB6_15250 Depth=3
	s_mov_b32 s14, -1
	s_mov_b32 s35, exec_lo
                                        ; implicit-def: $sgpr31
	v_cmpx_eq_u16_e32 0x80, v36
; %bb.15814:                            ;   in Loop: Header=BB6_15250 Depth=3
	s_mov_b32 s31, 0x7f800001
	s_xor_b32 s14, exec_lo, -1
; %bb.15815:                            ;   in Loop: Header=BB6_15250 Depth=3
	s_or_b32 exec_lo, exec_lo, s35
	s_delay_alu instid0(SALU_CYCLE_1)
	s_and_b32 s14, s14, exec_lo
	s_or_saveexec_b32 s34, s34
	v_mov_b32_e32 v37, s31
	s_xor_b32 exec_lo, exec_lo, s34
	s_cbranch_execz .LBB6_15537
.LBB6_15816:                            ;   in Loop: Header=BB6_15250 Depth=3
	v_cmp_ne_u16_e32 vcc_lo, 0, v36
	v_mov_b32_e32 v37, 0
	s_and_not1_b32 s14, s14, exec_lo
	s_and_b32 vcc_lo, vcc_lo, exec_lo
	s_delay_alu instid0(SALU_CYCLE_1)
	s_or_b32 s14, s14, vcc_lo
	s_or_b32 exec_lo, exec_lo, s34
	s_and_saveexec_b32 s31, s14
	s_cbranch_execnz .LBB6_15538
	s_branch .LBB6_15539
.LBB6_15817:                            ;   in Loop: Header=BB6_15250 Depth=3
	s_mov_b32 s14, -1
	s_mov_b32 s35, exec_lo
                                        ; implicit-def: $sgpr31
	v_cmpx_eq_u16_e32 0x80, v37
; %bb.15818:                            ;   in Loop: Header=BB6_15250 Depth=3
	s_mov_b32 s31, 0x7f800001
	s_xor_b32 s14, exec_lo, -1
; %bb.15819:                            ;   in Loop: Header=BB6_15250 Depth=3
	s_or_b32 exec_lo, exec_lo, s35
	s_delay_alu instid0(SALU_CYCLE_1)
	s_and_b32 s14, s14, exec_lo
                                        ; implicit-def: $vgpr37
	s_or_saveexec_b32 s34, s34
	v_mov_b32_e32 v27, s31
	s_xor_b32 exec_lo, exec_lo, s34
	s_cbranch_execz .LBB6_15549
.LBB6_15820:                            ;   in Loop: Header=BB6_15250 Depth=3
	v_cmp_ne_u16_e32 vcc_lo, 0, v37
	v_mov_b32_e32 v27, 0
	s_and_not1_b32 s14, s14, exec_lo
	s_and_b32 vcc_lo, vcc_lo, exec_lo
	s_delay_alu instid0(SALU_CYCLE_1)
	s_or_b32 s14, s14, vcc_lo
	s_or_b32 exec_lo, exec_lo, s34
	v_lshl_or_b32 v26, v36, 16, v26
	s_and_saveexec_b32 s31, s14
	s_cbranch_execnz .LBB6_15550
	s_branch .LBB6_15551
.LBB6_15821:                            ;   in Loop: Header=BB6_15250 Depth=3
	s_mov_b32 s14, -1
	s_mov_b32 s35, exec_lo
                                        ; implicit-def: $sgpr31
	v_cmpx_eq_u16_e32 0x80, v38
; %bb.15822:                            ;   in Loop: Header=BB6_15250 Depth=3
	s_mov_b32 s31, 0x7f800001
	s_xor_b32 s14, exec_lo, -1
; %bb.15823:                            ;   in Loop: Header=BB6_15250 Depth=3
	s_or_b32 exec_lo, exec_lo, s35
	s_delay_alu instid0(SALU_CYCLE_1)
	s_and_b32 s14, s14, exec_lo
                                        ; implicit-def: $vgpr38
	s_or_saveexec_b32 s34, s34
	v_mov_b32_e32 v37, s31
	s_xor_b32 exec_lo, exec_lo, s34
	s_cbranch_execz .LBB6_15553
.LBB6_15824:                            ;   in Loop: Header=BB6_15250 Depth=3
	v_cmp_ne_u16_e32 vcc_lo, 0, v38
	v_mov_b32_e32 v37, 0
	s_and_not1_b32 s14, s14, exec_lo
	s_and_b32 vcc_lo, vcc_lo, exec_lo
	s_delay_alu instid0(SALU_CYCLE_1)
	s_or_b32 s14, s14, vcc_lo
	s_or_b32 exec_lo, exec_lo, s34
	s_and_saveexec_b32 s31, s14
	s_cbranch_execnz .LBB6_15554
	s_branch .LBB6_15555
.LBB6_15825:                            ;   in Loop: Header=BB6_15250 Depth=3
	s_mov_b32 s14, -1
	s_mov_b32 s35, exec_lo
                                        ; implicit-def: $sgpr31
	v_cmpx_eq_u16_e32 0x80, v36
; %bb.15826:                            ;   in Loop: Header=BB6_15250 Depth=3
	s_mov_b32 s31, 0x7f800001
	s_xor_b32 s14, exec_lo, -1
; %bb.15827:                            ;   in Loop: Header=BB6_15250 Depth=3
	s_or_b32 exec_lo, exec_lo, s35
	s_delay_alu instid0(SALU_CYCLE_1)
	s_and_b32 s14, s14, exec_lo
	s_or_saveexec_b32 s34, s34
	v_mov_b32_e32 v27, s31
	s_xor_b32 exec_lo, exec_lo, s34
	s_cbranch_execz .LBB6_15565
.LBB6_15828:                            ;   in Loop: Header=BB6_15250 Depth=3
	v_cmp_ne_u16_e32 vcc_lo, 0, v36
	v_mov_b32_e32 v27, 0
	s_and_not1_b32 s14, s14, exec_lo
	s_and_b32 vcc_lo, vcc_lo, exec_lo
	s_delay_alu instid0(SALU_CYCLE_1)
	s_or_b32 s14, s14, vcc_lo
	s_or_b32 exec_lo, exec_lo, s34
	s_and_saveexec_b32 s31, s14
	s_cbranch_execnz .LBB6_15566
	s_branch .LBB6_15567
.LBB6_15829:                            ;   in Loop: Header=BB6_15250 Depth=3
	s_mov_b32 s14, -1
	s_mov_b32 s35, exec_lo
                                        ; implicit-def: $sgpr31
	v_cmpx_eq_u16_e32 0x80, v26
; %bb.15830:                            ;   in Loop: Header=BB6_15250 Depth=3
	s_mov_b32 s31, 0x7f800001
	s_xor_b32 s14, exec_lo, -1
; %bb.15831:                            ;   in Loop: Header=BB6_15250 Depth=3
	s_or_b32 exec_lo, exec_lo, s35
	s_delay_alu instid0(SALU_CYCLE_1)
	s_and_b32 s14, s14, exec_lo
	s_or_saveexec_b32 s34, s34
	v_mov_b32_e32 v36, s31
	s_xor_b32 exec_lo, exec_lo, s34
	s_cbranch_execz .LBB6_15569
.LBB6_15832:                            ;   in Loop: Header=BB6_15250 Depth=3
	v_cmp_ne_u16_e32 vcc_lo, 0, v26
	v_mov_b32_e32 v36, 0
	s_and_not1_b32 s14, s14, exec_lo
	s_and_b32 vcc_lo, vcc_lo, exec_lo
	s_delay_alu instid0(SALU_CYCLE_1)
	s_or_b32 s14, s14, vcc_lo
	s_or_b32 exec_lo, exec_lo, s34
	s_and_saveexec_b32 s31, s14
	s_cbranch_execnz .LBB6_15570
	s_branch .LBB6_15571
.LBB6_15833:                            ;   in Loop: Header=BB6_15250 Depth=3
	s_mov_b32 s14, -1
	s_mov_b32 s35, exec_lo
                                        ; implicit-def: $sgpr31
	v_cmpx_eq_u16_e32 0x80, v27
; %bb.15834:                            ;   in Loop: Header=BB6_15250 Depth=3
	s_mov_b32 s31, 0x7f800001
	s_xor_b32 s14, exec_lo, -1
; %bb.15835:                            ;   in Loop: Header=BB6_15250 Depth=3
	s_or_b32 exec_lo, exec_lo, s35
	s_delay_alu instid0(SALU_CYCLE_1)
	s_and_b32 s14, s14, exec_lo
                                        ; implicit-def: $vgpr27
	s_or_saveexec_b32 s34, s34
	v_mov_b32_e32 v26, s31
	s_xor_b32 exec_lo, exec_lo, s34
	s_cbranch_execz .LBB6_15581
.LBB6_15836:                            ;   in Loop: Header=BB6_15250 Depth=3
	v_cmp_ne_u16_e32 vcc_lo, 0, v27
	v_mov_b32_e32 v26, 0
	s_and_not1_b32 s14, s14, exec_lo
	s_and_b32 vcc_lo, vcc_lo, exec_lo
	s_delay_alu instid0(SALU_CYCLE_1)
	s_or_b32 s14, s14, vcc_lo
	s_or_b32 exec_lo, exec_lo, s34
	s_and_saveexec_b32 s31, s14
	s_cbranch_execnz .LBB6_15582
	s_branch .LBB6_15583
.LBB6_15837:                            ;   in Loop: Header=BB6_15250 Depth=3
	s_mov_b32 s14, -1
	s_mov_b32 s35, exec_lo
                                        ; implicit-def: $sgpr31
	v_cmpx_eq_u16_e32 0x80, v36
; %bb.15838:                            ;   in Loop: Header=BB6_15250 Depth=3
	s_mov_b32 s31, 0x7f800001
	s_xor_b32 s14, exec_lo, -1
; %bb.15839:                            ;   in Loop: Header=BB6_15250 Depth=3
	s_or_b32 exec_lo, exec_lo, s35
	s_delay_alu instid0(SALU_CYCLE_1)
	s_and_b32 s14, s14, exec_lo
                                        ; implicit-def: $vgpr36
	s_or_saveexec_b32 s34, s34
	v_mov_b32_e32 v27, s31
	s_xor_b32 exec_lo, exec_lo, s34
	s_cbranch_execz .LBB6_15585
.LBB6_15840:                            ;   in Loop: Header=BB6_15250 Depth=3
	v_cmp_ne_u16_e32 vcc_lo, 0, v36
	v_mov_b32_e32 v27, 0
	s_and_not1_b32 s14, s14, exec_lo
	s_and_b32 vcc_lo, vcc_lo, exec_lo
	s_delay_alu instid0(SALU_CYCLE_1)
	s_or_b32 s14, s14, vcc_lo
	s_or_b32 exec_lo, exec_lo, s34
	s_and_saveexec_b32 s31, s14
	s_cbranch_execnz .LBB6_15586
	s_branch .LBB6_15587
.LBB6_15841:                            ;   in Loop: Header=BB6_15250 Depth=3
	s_mov_b32 s14, -1
	s_mov_b32 s35, exec_lo
                                        ; implicit-def: $sgpr31
	v_cmpx_eq_u16_e32 0x80, v27
; %bb.15842:                            ;   in Loop: Header=BB6_15250 Depth=3
	s_mov_b32 s31, 0x7f800001
	s_xor_b32 s14, exec_lo, -1
; %bb.15843:                            ;   in Loop: Header=BB6_15250 Depth=3
	s_or_b32 exec_lo, exec_lo, s35
	s_delay_alu instid0(SALU_CYCLE_1)
	s_and_b32 s14, s14, exec_lo
                                        ; implicit-def: $vgpr27
	s_or_saveexec_b32 s34, s34
	v_mov_b32_e32 v26, s31
	s_xor_b32 exec_lo, exec_lo, s34
	s_cbranch_execz .LBB6_15597
.LBB6_15844:                            ;   in Loop: Header=BB6_15250 Depth=3
	v_cmp_ne_u16_e32 vcc_lo, 0, v27
	v_mov_b32_e32 v26, 0
	s_and_not1_b32 s14, s14, exec_lo
	s_and_b32 vcc_lo, vcc_lo, exec_lo
	s_delay_alu instid0(SALU_CYCLE_1)
	s_or_b32 s14, s14, vcc_lo
	s_or_b32 exec_lo, exec_lo, s34
	s_and_saveexec_b32 s31, s14
	s_cbranch_execnz .LBB6_15598
	s_branch .LBB6_15599
.LBB6_15845:                            ;   in Loop: Header=BB6_15250 Depth=3
	s_mov_b32 s14, -1
	s_mov_b32 s35, exec_lo
                                        ; implicit-def: $sgpr31
	v_cmpx_eq_u16_e32 0x80, v27
; %bb.15846:                            ;   in Loop: Header=BB6_15250 Depth=3
	s_mov_b32 s31, 0x7f800001
	s_xor_b32 s14, exec_lo, -1
; %bb.15847:                            ;   in Loop: Header=BB6_15250 Depth=3
	s_or_b32 exec_lo, exec_lo, s35
	s_delay_alu instid0(SALU_CYCLE_1)
	s_and_b32 s14, s14, exec_lo
	s_or_saveexec_b32 s34, s34
	v_mov_b32_e32 v37, s31
	s_xor_b32 exec_lo, exec_lo, s34
	s_cbranch_execz .LBB6_15601
.LBB6_15848:                            ;   in Loop: Header=BB6_15250 Depth=3
	v_cmp_ne_u16_e32 vcc_lo, 0, v27
	v_mov_b32_e32 v37, 0
	s_and_not1_b32 s14, s14, exec_lo
	s_and_b32 vcc_lo, vcc_lo, exec_lo
	s_delay_alu instid0(SALU_CYCLE_1)
	s_or_b32 s14, s14, vcc_lo
	s_or_b32 exec_lo, exec_lo, s34
	s_and_saveexec_b32 s31, s14
	s_cbranch_execnz .LBB6_15602
	s_branch .LBB6_15603
.LBB6_15849:                            ;   in Loop: Header=BB6_15250 Depth=3
	s_mov_b32 s14, -1
	s_mov_b32 s35, exec_lo
                                        ; implicit-def: $sgpr31
	v_cmpx_eq_u16_e32 0x80, v37
; %bb.15850:                            ;   in Loop: Header=BB6_15250 Depth=3
	s_mov_b32 s31, 0x7f800001
	s_xor_b32 s14, exec_lo, -1
; %bb.15851:                            ;   in Loop: Header=BB6_15250 Depth=3
	s_or_b32 exec_lo, exec_lo, s35
	s_delay_alu instid0(SALU_CYCLE_1)
	s_and_b32 s14, s14, exec_lo
                                        ; implicit-def: $vgpr37
	s_or_saveexec_b32 s34, s34
	v_mov_b32_e32 v27, s31
	s_xor_b32 exec_lo, exec_lo, s34
	s_cbranch_execz .LBB6_15613
.LBB6_15852:                            ;   in Loop: Header=BB6_15250 Depth=3
	v_cmp_ne_u16_e32 vcc_lo, 0, v37
	v_mov_b32_e32 v27, 0
	s_and_not1_b32 s14, s14, exec_lo
	s_and_b32 vcc_lo, vcc_lo, exec_lo
	s_delay_alu instid0(SALU_CYCLE_1)
	s_or_b32 s14, s14, vcc_lo
	s_or_b32 exec_lo, exec_lo, s34
	s_and_saveexec_b32 s31, s14
	s_cbranch_execnz .LBB6_15614
	s_branch .LBB6_15615
.LBB6_15853:                            ;   in Loop: Header=BB6_15250 Depth=3
	s_mov_b32 s14, -1
	s_mov_b32 s35, exec_lo
                                        ; implicit-def: $sgpr31
	v_cmpx_eq_u16_e32 0x80, v39
; %bb.15854:                            ;   in Loop: Header=BB6_15250 Depth=3
	s_mov_b32 s31, 0x7f800001
	s_xor_b32 s14, exec_lo, -1
; %bb.15855:                            ;   in Loop: Header=BB6_15250 Depth=3
	s_or_b32 exec_lo, exec_lo, s35
	s_delay_alu instid0(SALU_CYCLE_1)
	s_and_b32 s14, s14, exec_lo
                                        ; implicit-def: $vgpr39
	s_or_saveexec_b32 s34, s34
	v_mov_b32_e32 v38, s31
	s_xor_b32 exec_lo, exec_lo, s34
	s_cbranch_execz .LBB6_15617
.LBB6_15856:                            ;   in Loop: Header=BB6_15250 Depth=3
	v_cmp_ne_u16_e32 vcc_lo, 0, v39
	v_mov_b32_e32 v38, 0
	s_and_not1_b32 s14, s14, exec_lo
	s_and_b32 vcc_lo, vcc_lo, exec_lo
	s_delay_alu instid0(SALU_CYCLE_1)
	s_or_b32 s14, s14, vcc_lo
	s_or_b32 exec_lo, exec_lo, s34
	s_and_saveexec_b32 s31, s14
	s_cbranch_execnz .LBB6_15618
	s_branch .LBB6_15619
.LBB6_15857:                            ;   in Loop: Header=BB6_15250 Depth=3
	s_mov_b32 s14, -1
	s_mov_b32 s35, exec_lo
                                        ; implicit-def: $sgpr31
	v_cmpx_eq_u16_e32 0x80, v38
; %bb.15858:                            ;   in Loop: Header=BB6_15250 Depth=3
	s_mov_b32 s31, 0x7f800001
	s_xor_b32 s14, exec_lo, -1
; %bb.15859:                            ;   in Loop: Header=BB6_15250 Depth=3
	s_or_b32 exec_lo, exec_lo, s35
	s_delay_alu instid0(SALU_CYCLE_1)
	s_and_b32 s14, s14, exec_lo
	s_or_saveexec_b32 s34, s34
	v_mov_b32_e32 v37, s31
	s_xor_b32 exec_lo, exec_lo, s34
	s_cbranch_execz .LBB6_15629
.LBB6_15860:                            ;   in Loop: Header=BB6_15250 Depth=3
	v_cmp_ne_u16_e32 vcc_lo, 0, v38
	v_mov_b32_e32 v37, 0
	s_and_not1_b32 s14, s14, exec_lo
	s_and_b32 vcc_lo, vcc_lo, exec_lo
	s_delay_alu instid0(SALU_CYCLE_1)
	s_or_b32 s14, s14, vcc_lo
	s_or_b32 exec_lo, exec_lo, s34
	s_and_saveexec_b32 s31, s14
	s_cbranch_execnz .LBB6_15630
	s_branch .LBB6_15631
.LBB6_15861:                            ;   in Loop: Header=BB6_15250 Depth=3
	s_mov_b32 s14, -1
	s_mov_b32 s35, exec_lo
                                        ; implicit-def: $sgpr31
	v_cmpx_eq_u16_e32 0x80, v38
; %bb.15862:                            ;   in Loop: Header=BB6_15250 Depth=3
	s_mov_b32 s31, 0x7f800001
	s_xor_b32 s14, exec_lo, -1
; %bb.15863:                            ;   in Loop: Header=BB6_15250 Depth=3
	s_or_b32 exec_lo, exec_lo, s35
	s_delay_alu instid0(SALU_CYCLE_1)
	s_and_b32 s14, s14, exec_lo
	s_or_saveexec_b32 s34, s34
	v_mov_b32_e32 v39, s31
	s_xor_b32 exec_lo, exec_lo, s34
	s_cbranch_execz .LBB6_15633
.LBB6_15864:                            ;   in Loop: Header=BB6_15250 Depth=3
	v_cmp_ne_u16_e32 vcc_lo, 0, v38
	v_mov_b32_e32 v39, 0
	s_and_not1_b32 s14, s14, exec_lo
	s_and_b32 vcc_lo, vcc_lo, exec_lo
	s_delay_alu instid0(SALU_CYCLE_1)
	s_or_b32 s14, s14, vcc_lo
	s_or_b32 exec_lo, exec_lo, s34
	s_and_saveexec_b32 s31, s14
	s_cbranch_execnz .LBB6_15634
	s_branch .LBB6_15635
.LBB6_15865:                            ;   in Loop: Header=BB6_15250 Depth=3
	s_mov_b32 s14, -1
	s_mov_b32 s35, exec_lo
                                        ; implicit-def: $sgpr31
	v_cmpx_eq_u16_e32 0x80, v39
; %bb.15866:                            ;   in Loop: Header=BB6_15250 Depth=3
	s_mov_b32 s31, 0x7f800001
	s_xor_b32 s14, exec_lo, -1
; %bb.15867:                            ;   in Loop: Header=BB6_15250 Depth=3
	s_or_b32 exec_lo, exec_lo, s35
	s_delay_alu instid0(SALU_CYCLE_1)
	s_and_b32 s14, s14, exec_lo
                                        ; implicit-def: $vgpr39
	s_or_saveexec_b32 s34, s34
	v_mov_b32_e32 v37, s31
	s_xor_b32 exec_lo, exec_lo, s34
	s_cbranch_execz .LBB6_15645
.LBB6_15868:                            ;   in Loop: Header=BB6_15250 Depth=3
	v_cmp_ne_u16_e32 vcc_lo, 0, v39
	v_mov_b32_e32 v37, 0
	s_and_not1_b32 s14, s14, exec_lo
	s_and_b32 vcc_lo, vcc_lo, exec_lo
	s_delay_alu instid0(SALU_CYCLE_1)
	s_or_b32 s14, s14, vcc_lo
	s_or_b32 exec_lo, exec_lo, s34
	s_and_saveexec_b32 s31, s14
	s_cbranch_execnz .LBB6_15646
	s_branch .LBB6_15647
.LBB6_15869:                            ;   in Loop: Header=BB6_15250 Depth=3
	s_mov_b32 s14, -1
	s_mov_b32 s35, exec_lo
                                        ; implicit-def: $sgpr31
	v_cmpx_eq_u16_e32 0x80, v48
; %bb.15870:                            ;   in Loop: Header=BB6_15250 Depth=3
	s_mov_b32 s31, 0x7f800001
	s_xor_b32 s14, exec_lo, -1
; %bb.15871:                            ;   in Loop: Header=BB6_15250 Depth=3
	s_or_b32 exec_lo, exec_lo, s35
	s_delay_alu instid0(SALU_CYCLE_1)
	s_and_b32 s14, s14, exec_lo
                                        ; implicit-def: $vgpr48
	s_or_saveexec_b32 s34, s34
	v_mov_b32_e32 v39, s31
	s_xor_b32 exec_lo, exec_lo, s34
	s_cbranch_execz .LBB6_15649
.LBB6_15872:                            ;   in Loop: Header=BB6_15250 Depth=3
	v_cmp_ne_u16_e32 vcc_lo, 0, v48
	v_mov_b32_e32 v39, 0
	s_and_not1_b32 s14, s14, exec_lo
	s_and_b32 vcc_lo, vcc_lo, exec_lo
	s_delay_alu instid0(SALU_CYCLE_1)
	s_or_b32 s14, s14, vcc_lo
	s_or_b32 exec_lo, exec_lo, s34
	s_and_saveexec_b32 s31, s14
	s_cbranch_execnz .LBB6_15650
	s_branch .LBB6_15651
.LBB6_15873:                            ;   in Loop: Header=BB6_15250 Depth=3
	s_mov_b32 s14, -1
	s_mov_b32 s35, exec_lo
                                        ; implicit-def: $sgpr31
	v_cmpx_eq_u16_e32 0x80, v48
; %bb.15874:                            ;   in Loop: Header=BB6_15250 Depth=3
	s_mov_b32 s31, 0x7f800001
	s_xor_b32 s14, exec_lo, -1
; %bb.15875:                            ;   in Loop: Header=BB6_15250 Depth=3
	s_or_b32 exec_lo, exec_lo, s35
	s_delay_alu instid0(SALU_CYCLE_1)
	s_and_b32 s14, s14, exec_lo
	s_or_saveexec_b32 s34, s34
	v_mov_b32_e32 v39, s31
	s_xor_b32 exec_lo, exec_lo, s34
	s_cbranch_execz .LBB6_15661
.LBB6_15876:                            ;   in Loop: Header=BB6_15250 Depth=3
	v_cmp_ne_u16_e32 vcc_lo, 0, v48
	v_mov_b32_e32 v39, 0
	s_and_not1_b32 s14, s14, exec_lo
	s_and_b32 vcc_lo, vcc_lo, exec_lo
	s_delay_alu instid0(SALU_CYCLE_1)
	s_or_b32 s14, s14, vcc_lo
	s_or_b32 exec_lo, exec_lo, s34
	s_and_saveexec_b32 s31, s14
	s_cbranch_execnz .LBB6_15662
	s_branch .LBB6_15663
.LBB6_15877:                            ;   in Loop: Header=BB6_15250 Depth=3
	s_mov_b32 s14, -1
	s_mov_b32 s35, exec_lo
                                        ; implicit-def: $sgpr31
	v_cmpx_eq_u16_e32 0x80, v48
; %bb.15878:                            ;   in Loop: Header=BB6_15250 Depth=3
	s_mov_b32 s31, 0x7f800001
	s_xor_b32 s14, exec_lo, -1
; %bb.15879:                            ;   in Loop: Header=BB6_15250 Depth=3
	s_or_b32 exec_lo, exec_lo, s35
	s_delay_alu instid0(SALU_CYCLE_1)
	s_and_b32 s14, s14, exec_lo
	s_or_saveexec_b32 s34, s34
	v_mov_b32_e32 v49, s31
	s_xor_b32 exec_lo, exec_lo, s34
	s_cbranch_execz .LBB6_15665
.LBB6_15880:                            ;   in Loop: Header=BB6_15250 Depth=3
	v_cmp_ne_u16_e32 vcc_lo, 0, v48
	v_mov_b32_e32 v49, 0
	s_and_not1_b32 s14, s14, exec_lo
	s_and_b32 vcc_lo, vcc_lo, exec_lo
	s_delay_alu instid0(SALU_CYCLE_1)
	s_or_b32 s14, s14, vcc_lo
	s_or_b32 exec_lo, exec_lo, s34
	s_and_saveexec_b32 s31, s14
	s_cbranch_execnz .LBB6_15666
	s_branch .LBB6_15667
.LBB6_15881:                            ;   in Loop: Header=BB6_15250 Depth=3
	s_mov_b32 s14, -1
	s_mov_b32 s35, exec_lo
                                        ; implicit-def: $sgpr31
	v_cmpx_eq_u16_e32 0x80, v52
; %bb.15882:                            ;   in Loop: Header=BB6_15250 Depth=3
	s_mov_b32 s31, 0x7f800001
	s_xor_b32 s14, exec_lo, -1
; %bb.15883:                            ;   in Loop: Header=BB6_15250 Depth=3
	s_or_b32 exec_lo, exec_lo, s35
	s_delay_alu instid0(SALU_CYCLE_1)
	s_and_b32 s14, s14, exec_lo
                                        ; implicit-def: $vgpr52
	s_or_saveexec_b32 s34, s34
	v_mov_b32_e32 v49, s31
	s_xor_b32 exec_lo, exec_lo, s34
	s_cbranch_execz .LBB6_15677
.LBB6_15884:                            ;   in Loop: Header=BB6_15250 Depth=3
	v_cmp_ne_u16_e32 vcc_lo, 0, v52
	v_mov_b32_e32 v49, 0
	s_and_not1_b32 s14, s14, exec_lo
	s_and_b32 vcc_lo, vcc_lo, exec_lo
	s_delay_alu instid0(SALU_CYCLE_1)
	s_or_b32 s14, s14, vcc_lo
	s_or_b32 exec_lo, exec_lo, s34
	v_lshl_or_b32 v48, v48, 16, v38
	s_and_saveexec_b32 s31, s14
	s_cbranch_execnz .LBB6_15678
	s_branch .LBB6_15679
.LBB6_15885:                            ;   in Loop: Header=BB6_15250 Depth=3
	s_mov_b32 s14, -1
	s_mov_b32 s35, exec_lo
                                        ; implicit-def: $sgpr31
	v_cmpx_eq_u16_e32 0x80, v53
; %bb.15886:                            ;   in Loop: Header=BB6_15250 Depth=3
	s_mov_b32 s31, 0x7f800001
	s_xor_b32 s14, exec_lo, -1
; %bb.15887:                            ;   in Loop: Header=BB6_15250 Depth=3
	s_or_b32 exec_lo, exec_lo, s35
	s_delay_alu instid0(SALU_CYCLE_1)
	s_and_b32 s14, s14, exec_lo
                                        ; implicit-def: $vgpr53
	s_or_saveexec_b32 s34, s34
	v_mov_b32_e32 v52, s31
	s_xor_b32 exec_lo, exec_lo, s34
	s_cbranch_execz .LBB6_15681
.LBB6_15888:                            ;   in Loop: Header=BB6_15250 Depth=3
	v_cmp_ne_u16_e32 vcc_lo, 0, v53
	v_mov_b32_e32 v52, 0
	s_and_not1_b32 s14, s14, exec_lo
	s_and_b32 vcc_lo, vcc_lo, exec_lo
	s_delay_alu instid0(SALU_CYCLE_1)
	s_or_b32 s14, s14, vcc_lo
	s_or_b32 exec_lo, exec_lo, s34
	s_and_saveexec_b32 s31, s14
	s_cbranch_execnz .LBB6_15682
	s_branch .LBB6_15683
.LBB6_15889:                            ;   in Loop: Header=BB6_15250 Depth=3
	s_mov_b32 s14, -1
	s_mov_b32 s35, exec_lo
                                        ; implicit-def: $sgpr31
	v_cmpx_eq_u16_e32 0x80, v52
; %bb.15890:                            ;   in Loop: Header=BB6_15250 Depth=3
	s_mov_b32 s31, 0x7f800001
	s_xor_b32 s14, exec_lo, -1
; %bb.15891:                            ;   in Loop: Header=BB6_15250 Depth=3
	s_or_b32 exec_lo, exec_lo, s35
	s_delay_alu instid0(SALU_CYCLE_1)
	s_and_b32 s14, s14, exec_lo
	s_or_saveexec_b32 s34, s34
	v_mov_b32_e32 v49, s31
	s_xor_b32 exec_lo, exec_lo, s34
	s_cbranch_execz .LBB6_15693
.LBB6_15892:                            ;   in Loop: Header=BB6_15250 Depth=3
	v_cmp_ne_u16_e32 vcc_lo, 0, v52
	v_mov_b32_e32 v49, 0
	s_and_not1_b32 s14, s14, exec_lo
	s_and_b32 vcc_lo, vcc_lo, exec_lo
	s_delay_alu instid0(SALU_CYCLE_1)
	s_or_b32 s14, s14, vcc_lo
	s_or_b32 exec_lo, exec_lo, s34
	s_and_saveexec_b32 s31, s14
	s_cbranch_execnz .LBB6_15694
	s_branch .LBB6_15695
.LBB6_15893:                            ;   in Loop: Header=BB6_15250 Depth=3
	s_mov_b32 s14, -1
	s_mov_b32 s35, exec_lo
                                        ; implicit-def: $sgpr31
	v_cmpx_eq_u16_e32 0x80, v48
; %bb.15894:                            ;   in Loop: Header=BB6_15250 Depth=3
	s_mov_b32 s31, 0x7f800001
	s_xor_b32 s14, exec_lo, -1
; %bb.15895:                            ;   in Loop: Header=BB6_15250 Depth=3
	s_or_b32 exec_lo, exec_lo, s35
	s_delay_alu instid0(SALU_CYCLE_1)
	s_and_b32 s14, s14, exec_lo
	s_or_saveexec_b32 s34, s34
	v_mov_b32_e32 v52, s31
	s_xor_b32 exec_lo, exec_lo, s34
	s_cbranch_execz .LBB6_15697
.LBB6_15896:                            ;   in Loop: Header=BB6_15250 Depth=3
	v_cmp_ne_u16_e32 vcc_lo, 0, v48
	v_mov_b32_e32 v52, 0
	s_and_not1_b32 s14, s14, exec_lo
	s_and_b32 vcc_lo, vcc_lo, exec_lo
	s_delay_alu instid0(SALU_CYCLE_1)
	s_or_b32 s14, s14, vcc_lo
	s_or_b32 exec_lo, exec_lo, s34
	s_and_saveexec_b32 s31, s14
	s_cbranch_execnz .LBB6_15698
	s_branch .LBB6_15699
.LBB6_15897:                            ;   in Loop: Header=BB6_7988 Depth=2
	s_or_b32 exec_lo, exec_lo, s17
.LBB6_15898:                            ;   in Loop: Header=BB6_7988 Depth=2
	s_delay_alu instid0(SALU_CYCLE_1) | instskip(SKIP_3) | instid1(VALU_DEP_1)
	s_or_b32 exec_lo, exec_lo, s16
	v_dual_mov_b32 v16, 0 :: v_dual_and_b32 v9, 15, v150
	s_mov_b32 s14, 0
	s_mov_b32 s16, exec_lo
                                        ; implicit-def: $vgpr18
                                        ; implicit-def: $vgpr8
	v_cndmask_b32_e64 v17, v21, v9, s13
	s_delay_alu instid0(VALU_DEP_1)
	v_cmpx_ne_u32_e32 0, v17
	s_cbranch_execz .LBB6_15900
; %bb.15899:                            ;   in Loop: Header=BB6_7988 Depth=2
	v_cmp_lt_i32_e32 vcc_lo, 0, v22
	v_sub_nc_u32_e32 v9, v21, v9
	s_mov_b32 s14, exec_lo
	v_cndmask_b32_e32 v8, 0, v97, vcc_lo
	s_delay_alu instid0(VALU_DEP_2) | instskip(NEXT) | instid1(VALU_DEP_2)
	v_cndmask_b32_e64 v9, 0, v9, s13
	v_sub_nc_u32_e32 v8, v8, v22
	s_delay_alu instid0(VALU_DEP_2) | instskip(NEXT) | instid1(VALU_DEP_2)
	v_add3_u32 v16, v2, v19, v9
	v_lshl_add_u32 v18, v8, 5, v20
	s_delay_alu instid0(VALU_DEP_1) | instskip(NEXT) | instid1(VALU_DEP_1)
	v_ashrrev_i32_e32 v8, 31, v18
	v_lshrrev_b32_e32 v8, 27, v8
	s_delay_alu instid0(VALU_DEP_1) | instskip(NEXT) | instid1(VALU_DEP_1)
	v_add_nc_u32_e32 v8, v18, v8
	v_ashrrev_i32_e32 v8, 5, v8
.LBB6_15900:                            ;   in Loop: Header=BB6_7988 Depth=2
	s_or_b32 exec_lo, exec_lo, s16
	s_delay_alu instid0(SALU_CYCLE_1)
	s_and_b32 s13, s14, exec_lo
.LBB6_15901:                            ;   in Loop: Header=BB6_7988 Depth=2
	s_or_b32 exec_lo, exec_lo, s15
.LBB6_15902:                            ;   in Loop: Header=BB6_7988 Depth=2
	s_and_saveexec_b32 s14, s13
	s_cbranch_execz .LBB6_17254
; %bb.15903:                            ;   in Loop: Header=BB6_7988 Depth=2
	v_ashrrev_i32_e32 v2, 31, v17
	s_mov_b32 s15, exec_lo
	s_delay_alu instid0(VALU_DEP_1) | instskip(NEXT) | instid1(VALU_DEP_1)
	v_lshrrev_b32_e32 v2, 22, v2
	v_add_nc_u32_e32 v2, v17, v2
	s_delay_alu instid0(VALU_DEP_1) | instskip(NEXT) | instid1(VALU_DEP_1)
	v_ashrrev_i32_e32 v19, 10, v2
	v_sub_nc_u32_e32 v2, v19, v8
	s_delay_alu instid0(VALU_DEP_1)
	v_cmpx_lt_i32_e32 0, v2
	s_cbranch_execz .LBB6_17198
; %bb.15904:                            ;   in Loop: Header=BB6_7988 Depth=2
	s_cbranch_execnz .LBB6_18329
; %bb.15905:                            ;   in Loop: Header=BB6_7988 Depth=2
	v_ashrrev_i32_e32 v9, 31, v18
	ds_load_b64 v[13:14], v0
	v_lshlrev_b32_e32 v8, 10, v8
	s_mov_b32 s16, 0
	v_lshrrev_b32_e32 v9, 27, v9
	s_delay_alu instid0(VALU_DEP_1) | instskip(NEXT) | instid1(VALU_DEP_1)
	v_add_nc_u32_e32 v9, v18, v9
	v_and_b32_e32 v15, 0xffffffe0, v9
	ds_load_b128 v[9:12], v0
	v_sub_nc_u32_e32 v15, v18, v15
	s_waitcnt lgkmcnt(1)
	v_add_co_u32 v13, vcc_lo, 0x3e0, v13
	v_add_co_ci_u32_e32 v14, vcc_lo, 0, v14, vcc_lo
	s_delay_alu instid0(VALU_DEP_3) | instskip(NEXT) | instid1(VALU_DEP_1)
	v_add3_u32 v15, v16, v15, v8
	v_ashrrev_i32_e32 v20, 31, v15
	s_waitcnt lgkmcnt(0)
	v_add_co_u32 v8, vcc_lo, v9, v15
	s_delay_alu instid0(VALU_DEP_2)
	v_add_co_ci_u32_e32 v9, vcc_lo, v10, v20, vcc_lo
	v_add_co_u32 v10, vcc_lo, v11, v15
	v_add_co_ci_u32_e32 v11, vcc_lo, v12, v20, vcc_lo
	v_add_co_u32 v12, vcc_lo, v13, v15
	v_add_co_ci_u32_e32 v13, vcc_lo, v14, v20, vcc_lo
.LBB6_15906:                            ;   Parent Loop BB6_51 Depth=1
                                        ;     Parent Loop BB6_7988 Depth=2
                                        ; =>    This Inner Loop Header: Depth=3
	s_cbranch_execnz .LBB6_18335
; %bb.15907:                            ;   in Loop: Header=BB6_15906 Depth=3
	ds_load_b64 v[14:15], v0
	s_waitcnt lgkmcnt(0)
	v_and_b32_e32 v15, 0xff, v14
	v_readfirstlane_b32 s13, v14
	s_delay_alu instid0(VALU_DEP_2)
	v_cmp_gt_i16_e32 vcc_lo, 0x80, v15
	s_cbranch_vccnz .LBB6_15911
; %bb.15908:                            ;   in Loop: Header=BB6_15906 Depth=3
	v_cmp_eq_u16_e32 vcc_lo, 0x80, v15
	s_mov_b32 s17, -1
                                        ; implicit-def: $sgpr30
	s_cbranch_vccz .LBB6_15910
; %bb.15909:                            ;   in Loop: Header=BB6_15906 Depth=3
	s_mov_b32 s17, 0
	s_mov_b32 s30, 0x7f800001
.LBB6_15910:                            ;   in Loop: Header=BB6_15906 Depth=3
	s_mov_b32 vcc_lo, 0
	s_branch .LBB6_15912
.LBB6_15911:                            ;   in Loop: Header=BB6_15906 Depth=3
	s_mov_b32 vcc_lo, -1
	s_mov_b32 s17, 0
                                        ; implicit-def: $sgpr30
.LBB6_15912:                            ;   in Loop: Header=BB6_15906 Depth=3
	s_and_b32 vcc_lo, exec_lo, vcc_lo
	s_cbranch_vccz .LBB6_15914
; %bb.15913:                            ;   in Loop: Header=BB6_15906 Depth=3
	v_cmp_ne_u16_e64 s17, 0, v15
	s_mov_b32 s30, 0
.LBB6_15914:                            ;   in Loop: Header=BB6_15906 Depth=3
	s_delay_alu instid0(SALU_CYCLE_1) | instskip(NEXT) | instid1(VALU_DEP_2)
	v_mov_b32_e32 v15, s30
	s_and_not1_b32 vcc_lo, exec_lo, s17
	s_cbranch_vccnz .LBB6_15916
; %bb.15915:                            ;   in Loop: Header=BB6_15906 Depth=3
	s_and_b32 s17, s13, 3
	s_bfe_u32 s30, s13, 0x50002
	s_clz_i32_u32 vcc_lo, s17
	v_lshlrev_b32_e32 v14, 24, v14
	s_min_u32 vcc_lo, vcc_lo, 32
	s_delay_alu instid0(SALU_CYCLE_1)
	s_sub_i32 s31, vcc_lo, 29
	s_sub_i32 vcc_lo, 30, vcc_lo
	s_lshl_b32 s13, s13, s31
	v_and_b32_e32 v14, 0x80000000, v14
	s_and_b32 s13, s13, 3
	s_cmp_eq_u32 s30, 0
	s_cselect_b32 vcc_lo, vcc_lo, s30
	s_cselect_b32 s13, s13, s17
	s_lshl_b32 s17, vcc_lo, 23
	s_lshl_b32 s13, s13, 21
	s_add_i32 s17, s17, 0x37800000
	s_delay_alu instid0(SALU_CYCLE_1) | instskip(NEXT) | instid1(VALU_DEP_1)
	v_or_b32_e32 v14, s17, v14
	v_or_b32_e32 v15, s13, v14
.LBB6_15916:                            ;   in Loop: Header=BB6_15906 Depth=3
	flat_load_u8 v14, v[8:9] slc dlc
	s_mov_b32 s13, 0
	s_mov_b32 s30, exec_lo
                                        ; implicit-def: $sgpr17
	s_waitcnt vmcnt(0) lgkmcnt(0)
	v_cmpx_lt_i16_e32 0x7f, v14
	s_xor_b32 s30, exec_lo, s30
	s_cbranch_execnz .LBB6_16813
; %bb.15917:                            ;   in Loop: Header=BB6_15906 Depth=3
	s_or_saveexec_b32 s30, s30
	v_mov_b32_e32 v20, s17
	s_xor_b32 exec_lo, exec_lo, s30
	s_cbranch_execnz .LBB6_16816
.LBB6_15918:                            ;   in Loop: Header=BB6_15906 Depth=3
	s_or_b32 exec_lo, exec_lo, s30
	s_and_saveexec_b32 s17, s13
	s_cbranch_execz .LBB6_15920
.LBB6_15919:                            ;   in Loop: Header=BB6_15906 Depth=3
	v_and_b32_e32 v20, 0xffff, v14
	v_lshlrev_b32_e32 v14, 24, v14
	s_delay_alu instid0(VALU_DEP_2) | instskip(NEXT) | instid1(VALU_DEP_2)
	v_and_b32_e32 v21, 3, v20
	v_and_b32_e32 v14, 0x80000000, v14
	s_delay_alu instid0(VALU_DEP_2) | instskip(NEXT) | instid1(VALU_DEP_1)
	v_clz_i32_u32_e32 v22, v21
	v_min_u32_e32 v22, 32, v22
	s_delay_alu instid0(VALU_DEP_1) | instskip(SKIP_1) | instid1(VALU_DEP_2)
	v_subrev_nc_u32_e32 v23, 29, v22
	v_sub_nc_u32_e32 v22, 30, v22
	v_lshlrev_b32_e32 v23, v23, v20
	v_bfe_u32 v20, v20, 2, 5
	s_delay_alu instid0(VALU_DEP_2) | instskip(NEXT) | instid1(VALU_DEP_2)
	v_and_b32_e32 v23, 3, v23
	v_cmp_eq_u32_e32 vcc_lo, 0, v20
	s_delay_alu instid0(VALU_DEP_2) | instskip(NEXT) | instid1(VALU_DEP_1)
	v_dual_cndmask_b32 v20, v20, v22 :: v_dual_cndmask_b32 v21, v21, v23
	v_lshl_add_u32 v20, v20, 23, 0x37800000
	s_delay_alu instid0(VALU_DEP_2) | instskip(NEXT) | instid1(VALU_DEP_1)
	v_lshlrev_b32_e32 v21, 21, v21
	v_or3_b32 v20, v14, v20, v21
.LBB6_15920:                            ;   in Loop: Header=BB6_15906 Depth=3
	s_or_b32 exec_lo, exec_lo, s17
	s_delay_alu instid0(VALU_DEP_1) | instskip(SKIP_1) | instid1(VALU_DEP_1)
	v_dual_mul_f32 v14, v15, v20 :: v_dual_mov_b32 v21, 0x80
	s_mov_b32 s17, exec_lo
	v_and_b32_e32 v20, 0x7f800000, v14
	s_delay_alu instid0(VALU_DEP_1)
	v_cmpx_ne_u32_e32 0x7f800000, v20
	s_cbranch_execz .LBB6_15928
; %bb.15921:                            ;   in Loop: Header=BB6_15906 Depth=3
	v_mov_b32_e32 v21, 0
	s_mov_b32 s30, exec_lo
	v_cmpx_ne_u32_e32 0, v14
	s_cbranch_execz .LBB6_15927
; %bb.15922:                            ;   in Loop: Header=BB6_15906 Depth=3
	v_bfe_u32 v20, v14, 23, 8
	v_and_b32_e32 v21, 0x7fffff, v14
	s_delay_alu instid0(VALU_DEP_2) | instskip(SKIP_1) | instid1(VALU_DEP_3)
	v_sub_nc_u32_e32 v22, 0x70, v20
	v_cmp_gt_u32_e32 vcc_lo, 0x71, v20
	v_or_b32_e32 v23, 0x800000, v21
	s_delay_alu instid0(VALU_DEP_3) | instskip(SKIP_1) | instid1(VALU_DEP_3)
	v_cndmask_b32_e32 v22, 0, v22, vcc_lo
	v_cmp_eq_u32_e32 vcc_lo, 0, v20
	v_dual_cndmask_b32 v21, v23, v21 :: v_dual_add_nc_u32 v20, 0xffffff91, v20
	s_delay_alu instid0(VALU_DEP_3) | instskip(NEXT) | instid1(VALU_DEP_2)
	v_cndmask_b32_e64 v22, v22, 0x6f, vcc_lo
	v_cndmask_b32_e64 v20, v20, 0xffffff92, vcc_lo
	s_delay_alu instid0(VALU_DEP_2) | instskip(SKIP_2) | instid1(VALU_DEP_4)
	v_lshrrev_b32_e32 v26, v22, v21
	v_lshl_add_u32 v23, 0x200000, v22, -1
	v_lshlrev_b32_e64 v36, v22, 0x100000
	v_add_nc_u32_e32 v22, v22, v20
	s_delay_alu instid0(VALU_DEP_4) | instskip(NEXT) | instid1(VALU_DEP_4)
	v_bfe_u32 v27, v26, 21, 1
	v_and_b32_e32 v21, v23, v21
	s_delay_alu instid0(VALU_DEP_2) | instskip(NEXT) | instid1(VALU_DEP_2)
	v_add_nc_u32_e32 v23, -1, v27
	v_cmp_eq_u32_e64 s13, v21, v36
	s_delay_alu instid0(VALU_DEP_1) | instskip(SKIP_2) | instid1(VALU_DEP_2)
	v_cndmask_b32_e64 v21, 0, v23, s13
	v_lshrrev_b32_e32 v23, 23, v26
	s_mov_b32 s13, exec_lo
	v_add_nc_u32_e32 v21, v21, v26
	s_delay_alu instid0(VALU_DEP_2) | instskip(NEXT) | instid1(VALU_DEP_2)
	v_xor_b32_e32 v23, 1, v23
	v_and_b32_e32 v20, 0x1fffff, v21
	s_delay_alu instid0(VALU_DEP_1) | instskip(NEXT) | instid1(VALU_DEP_3)
	v_add_nc_u32_e32 v21, v20, v26
                                        ; implicit-def: $vgpr20
	v_cmpx_ne_u32_e64 v22, v23
	s_xor_b32 s13, exec_lo, s13
; %bb.15923:                            ;   in Loop: Header=BB6_15906 Depth=3
	s_delay_alu instid0(VALU_DEP_2) | instskip(SKIP_2) | instid1(VALU_DEP_2)
	v_cmp_lt_u32_e32 vcc_lo, 0xffffff, v21
	v_sub_nc_u32_e32 v20, v22, v23
	v_cndmask_b32_e64 v22, 0, 1, vcc_lo
	v_add_co_ci_u32_e32 v20, vcc_lo, 0, v20, vcc_lo
	s_delay_alu instid0(VALU_DEP_2)
	v_lshrrev_b32_e32 v21, v22, v21
; %bb.15924:                            ;   in Loop: Header=BB6_15906 Depth=3
	s_and_not1_saveexec_b32 s13, s13
; %bb.15925:                            ;   in Loop: Header=BB6_15906 Depth=3
	s_delay_alu instid0(VALU_DEP_1)
	v_bfe_u32 v20, v21, 23, 1
; %bb.15926:                            ;   in Loop: Header=BB6_15906 Depth=3
	s_or_b32 exec_lo, exec_lo, s13
	v_lshrrev_b32_e32 v21, 21, v21
	s_delay_alu instid0(VALU_DEP_2) | instskip(SKIP_2) | instid1(VALU_DEP_2)
	v_cmp_gt_i32_e32 vcc_lo, 32, v20
	v_lshrrev_b32_e32 v14, 24, v14
	v_min_i32_e32 v22, 31, v20
	v_dual_cndmask_b32 v21, 3, v21 :: v_dual_and_b32 v14, 0x80, v14
	s_delay_alu instid0(VALU_DEP_2) | instskip(NEXT) | instid1(VALU_DEP_2)
	v_lshlrev_b32_e32 v22, 2, v22
	v_and_b32_e32 v23, 3, v21
	v_or_b32_e32 v20, v20, v21
	s_delay_alu instid0(VALU_DEP_2) | instskip(NEXT) | instid1(VALU_DEP_2)
	v_or3_b32 v14, v22, v14, v23
	v_cmp_ne_u32_e32 vcc_lo, 0, v20
	s_delay_alu instid0(VALU_DEP_2)
	v_cndmask_b32_e32 v21, 0, v14, vcc_lo
.LBB6_15927:                            ;   in Loop: Header=BB6_15906 Depth=3
	s_or_b32 exec_lo, exec_lo, s30
.LBB6_15928:                            ;   in Loop: Header=BB6_15906 Depth=3
	s_delay_alu instid0(SALU_CYCLE_1)
	s_or_b32 exec_lo, exec_lo, s17
	flat_load_u8 v14, v[8:9] offset:32 slc dlc
	s_mov_b32 s13, 0
	s_mov_b32 s30, exec_lo
                                        ; implicit-def: $sgpr17
	s_waitcnt vmcnt(0) lgkmcnt(0)
	v_cmpx_lt_i16_e32 0x7f, v14
	s_xor_b32 s30, exec_lo, s30
	s_cbranch_execnz .LBB6_16817
; %bb.15929:                            ;   in Loop: Header=BB6_15906 Depth=3
	s_or_saveexec_b32 s30, s30
	v_mov_b32_e32 v20, s17
	s_xor_b32 exec_lo, exec_lo, s30
	s_cbranch_execnz .LBB6_16820
.LBB6_15930:                            ;   in Loop: Header=BB6_15906 Depth=3
	s_or_b32 exec_lo, exec_lo, s30
	s_and_saveexec_b32 s17, s13
	s_cbranch_execz .LBB6_15932
.LBB6_15931:                            ;   in Loop: Header=BB6_15906 Depth=3
	v_and_b32_e32 v20, 0xffff, v14
	v_lshlrev_b32_e32 v14, 24, v14
	s_delay_alu instid0(VALU_DEP_2) | instskip(NEXT) | instid1(VALU_DEP_2)
	v_and_b32_e32 v22, 3, v20
	v_and_b32_e32 v14, 0x80000000, v14
	s_delay_alu instid0(VALU_DEP_2) | instskip(NEXT) | instid1(VALU_DEP_1)
	v_clz_i32_u32_e32 v23, v22
	v_min_u32_e32 v23, 32, v23
	s_delay_alu instid0(VALU_DEP_1) | instskip(SKIP_1) | instid1(VALU_DEP_2)
	v_subrev_nc_u32_e32 v26, 29, v23
	v_sub_nc_u32_e32 v23, 30, v23
	v_lshlrev_b32_e32 v26, v26, v20
	v_bfe_u32 v20, v20, 2, 5
	s_delay_alu instid0(VALU_DEP_2) | instskip(NEXT) | instid1(VALU_DEP_2)
	v_and_b32_e32 v26, 3, v26
	v_cmp_eq_u32_e32 vcc_lo, 0, v20
	v_cndmask_b32_e32 v20, v20, v23, vcc_lo
	s_delay_alu instid0(VALU_DEP_3) | instskip(NEXT) | instid1(VALU_DEP_2)
	v_cndmask_b32_e32 v22, v22, v26, vcc_lo
	v_lshl_add_u32 v20, v20, 23, 0x37800000
	s_delay_alu instid0(VALU_DEP_2) | instskip(NEXT) | instid1(VALU_DEP_1)
	v_lshlrev_b32_e32 v22, 21, v22
	v_or3_b32 v20, v14, v20, v22
.LBB6_15932:                            ;   in Loop: Header=BB6_15906 Depth=3
	s_or_b32 exec_lo, exec_lo, s17
	s_delay_alu instid0(VALU_DEP_1) | instskip(SKIP_2) | instid1(VALU_DEP_2)
	v_mul_f32_e32 v14, v15, v20
	v_mov_b32_e32 v80, 0x80
	s_mov_b32 s17, exec_lo
	v_and_b32_e32 v20, 0x7f800000, v14
	s_delay_alu instid0(VALU_DEP_1)
	v_cmpx_ne_u32_e32 0x7f800000, v20
	s_cbranch_execz .LBB6_15940
; %bb.15933:                            ;   in Loop: Header=BB6_15906 Depth=3
	v_mov_b32_e32 v80, 0
	s_mov_b32 s30, exec_lo
	v_cmpx_ne_u32_e32 0, v14
	s_cbranch_execz .LBB6_15939
; %bb.15934:                            ;   in Loop: Header=BB6_15906 Depth=3
	v_bfe_u32 v20, v14, 23, 8
	s_delay_alu instid0(VALU_DEP_1) | instskip(SKIP_1) | instid1(VALU_DEP_2)
	v_sub_nc_u32_e32 v23, 0x70, v20
	v_cmp_gt_u32_e32 vcc_lo, 0x71, v20
	v_dual_cndmask_b32 v23, 0, v23 :: v_dual_and_b32 v22, 0x7fffff, v14
	s_delay_alu instid0(VALU_DEP_1) | instskip(SKIP_2) | instid1(VALU_DEP_4)
	v_or_b32_e32 v26, 0x800000, v22
	v_cmp_eq_u32_e32 vcc_lo, 0, v20
	v_add_nc_u32_e32 v20, 0xffffff91, v20
	v_cndmask_b32_e64 v23, v23, 0x6f, vcc_lo
	s_delay_alu instid0(VALU_DEP_2) | instskip(SKIP_1) | instid1(VALU_DEP_3)
	v_cndmask_b32_e64 v20, v20, 0xffffff92, vcc_lo
	v_cndmask_b32_e32 v22, v26, v22, vcc_lo
	v_lshl_add_u32 v26, 0x200000, v23, -1
	v_lshlrev_b32_e64 v37, v23, 0x100000
	s_delay_alu instid0(VALU_DEP_3) | instskip(SKIP_1) | instid1(VALU_DEP_4)
	v_lshrrev_b32_e32 v27, v23, v22
	v_add_nc_u32_e32 v23, v23, v20
	v_and_b32_e32 v22, v26, v22
	s_delay_alu instid0(VALU_DEP_3) | instskip(NEXT) | instid1(VALU_DEP_2)
	v_bfe_u32 v36, v27, 21, 1
	v_cmp_eq_u32_e64 s13, v22, v37
	s_delay_alu instid0(VALU_DEP_2) | instskip(NEXT) | instid1(VALU_DEP_1)
	v_add_nc_u32_e32 v26, -1, v36
	v_cndmask_b32_e64 v22, 0, v26, s13
	v_lshrrev_b32_e32 v26, 23, v27
	s_mov_b32 s13, exec_lo
	s_delay_alu instid0(VALU_DEP_2) | instskip(NEXT) | instid1(VALU_DEP_2)
	v_add_nc_u32_e32 v22, v22, v27
	v_xor_b32_e32 v26, 1, v26
	s_delay_alu instid0(VALU_DEP_2) | instskip(NEXT) | instid1(VALU_DEP_1)
	v_and_b32_e32 v20, 0x1fffff, v22
	v_add_nc_u32_e32 v22, v20, v27
                                        ; implicit-def: $vgpr20
	s_delay_alu instid0(VALU_DEP_3)
	v_cmpx_ne_u32_e64 v23, v26
	s_xor_b32 s13, exec_lo, s13
; %bb.15935:                            ;   in Loop: Header=BB6_15906 Depth=3
	s_delay_alu instid0(VALU_DEP_2) | instskip(SKIP_2) | instid1(VALU_DEP_2)
	v_cmp_lt_u32_e32 vcc_lo, 0xffffff, v22
	v_sub_nc_u32_e32 v20, v23, v26
	v_cndmask_b32_e64 v23, 0, 1, vcc_lo
	v_add_co_ci_u32_e32 v20, vcc_lo, 0, v20, vcc_lo
	s_delay_alu instid0(VALU_DEP_2)
	v_lshrrev_b32_e32 v22, v23, v22
; %bb.15936:                            ;   in Loop: Header=BB6_15906 Depth=3
	s_and_not1_saveexec_b32 s13, s13
; %bb.15937:                            ;   in Loop: Header=BB6_15906 Depth=3
	s_delay_alu instid0(VALU_DEP_1)
	v_bfe_u32 v20, v22, 23, 1
; %bb.15938:                            ;   in Loop: Header=BB6_15906 Depth=3
	s_or_b32 exec_lo, exec_lo, s13
	v_lshrrev_b32_e32 v22, 21, v22
	s_delay_alu instid0(VALU_DEP_2) | instskip(SKIP_2) | instid1(VALU_DEP_4)
	v_cmp_gt_i32_e32 vcc_lo, 32, v20
	v_lshrrev_b32_e32 v14, 24, v14
	v_min_i32_e32 v23, 31, v20
	v_cndmask_b32_e32 v22, 3, v22, vcc_lo
	s_delay_alu instid0(VALU_DEP_3) | instskip(NEXT) | instid1(VALU_DEP_3)
	v_and_b32_e32 v14, 0x80, v14
	v_lshlrev_b32_e32 v23, 2, v23
	s_delay_alu instid0(VALU_DEP_3) | instskip(SKIP_1) | instid1(VALU_DEP_2)
	v_and_b32_e32 v26, 3, v22
	v_or_b32_e32 v20, v20, v22
	v_or3_b32 v14, v23, v14, v26
	s_delay_alu instid0(VALU_DEP_2) | instskip(NEXT) | instid1(VALU_DEP_2)
	v_cmp_ne_u32_e32 vcc_lo, 0, v20
	v_cndmask_b32_e32 v80, 0, v14, vcc_lo
.LBB6_15939:                            ;   in Loop: Header=BB6_15906 Depth=3
	s_or_b32 exec_lo, exec_lo, s30
.LBB6_15940:                            ;   in Loop: Header=BB6_15906 Depth=3
	s_delay_alu instid0(SALU_CYCLE_1)
	s_or_b32 exec_lo, exec_lo, s17
	flat_load_u8 v14, v[8:9] offset:64 slc dlc
	s_mov_b32 s13, 0
	s_mov_b32 s30, exec_lo
                                        ; implicit-def: $sgpr17
	s_waitcnt vmcnt(0) lgkmcnt(0)
	v_cmpx_lt_i16_e32 0x7f, v14
	s_xor_b32 s30, exec_lo, s30
	s_cbranch_execnz .LBB6_16821
; %bb.15941:                            ;   in Loop: Header=BB6_15906 Depth=3
	s_or_saveexec_b32 s30, s30
	v_mov_b32_e32 v20, s17
	s_xor_b32 exec_lo, exec_lo, s30
	s_cbranch_execnz .LBB6_16824
.LBB6_15942:                            ;   in Loop: Header=BB6_15906 Depth=3
	s_or_b32 exec_lo, exec_lo, s30
	s_and_saveexec_b32 s17, s13
	s_cbranch_execz .LBB6_15944
.LBB6_15943:                            ;   in Loop: Header=BB6_15906 Depth=3
	v_and_b32_e32 v20, 0xffff, v14
	v_lshlrev_b32_e32 v14, 24, v14
	s_delay_alu instid0(VALU_DEP_2) | instskip(NEXT) | instid1(VALU_DEP_2)
	v_and_b32_e32 v22, 3, v20
	v_and_b32_e32 v14, 0x80000000, v14
	s_delay_alu instid0(VALU_DEP_2) | instskip(NEXT) | instid1(VALU_DEP_1)
	v_clz_i32_u32_e32 v23, v22
	v_min_u32_e32 v23, 32, v23
	s_delay_alu instid0(VALU_DEP_1) | instskip(SKIP_1) | instid1(VALU_DEP_2)
	v_subrev_nc_u32_e32 v26, 29, v23
	v_sub_nc_u32_e32 v23, 30, v23
	v_lshlrev_b32_e32 v26, v26, v20
	v_bfe_u32 v20, v20, 2, 5
	s_delay_alu instid0(VALU_DEP_2) | instskip(NEXT) | instid1(VALU_DEP_2)
	v_and_b32_e32 v26, 3, v26
	v_cmp_eq_u32_e32 vcc_lo, 0, v20
	v_cndmask_b32_e32 v20, v20, v23, vcc_lo
	s_delay_alu instid0(VALU_DEP_3) | instskip(NEXT) | instid1(VALU_DEP_2)
	v_cndmask_b32_e32 v22, v22, v26, vcc_lo
	v_lshl_add_u32 v20, v20, 23, 0x37800000
	s_delay_alu instid0(VALU_DEP_2) | instskip(NEXT) | instid1(VALU_DEP_1)
	v_lshlrev_b32_e32 v22, 21, v22
	v_or3_b32 v20, v14, v20, v22
.LBB6_15944:                            ;   in Loop: Header=BB6_15906 Depth=3
	s_or_b32 exec_lo, exec_lo, s17
	s_delay_alu instid0(VALU_DEP_1) | instskip(SKIP_1) | instid1(VALU_DEP_1)
	v_dual_mul_f32 v14, v15, v20 :: v_dual_mov_b32 v85, 0x80
	s_mov_b32 s17, exec_lo
	v_and_b32_e32 v20, 0x7f800000, v14
	s_delay_alu instid0(VALU_DEP_1)
	v_cmpx_ne_u32_e32 0x7f800000, v20
	s_cbranch_execz .LBB6_15952
; %bb.15945:                            ;   in Loop: Header=BB6_15906 Depth=3
	v_mov_b32_e32 v85, 0
	s_mov_b32 s30, exec_lo
	v_cmpx_ne_u32_e32 0, v14
	s_cbranch_execz .LBB6_15951
; %bb.15946:                            ;   in Loop: Header=BB6_15906 Depth=3
	v_bfe_u32 v20, v14, 23, 8
	s_delay_alu instid0(VALU_DEP_1) | instskip(SKIP_1) | instid1(VALU_DEP_2)
	v_sub_nc_u32_e32 v23, 0x70, v20
	v_cmp_gt_u32_e32 vcc_lo, 0x71, v20
	v_dual_cndmask_b32 v23, 0, v23 :: v_dual_and_b32 v22, 0x7fffff, v14
	s_delay_alu instid0(VALU_DEP_1) | instskip(SKIP_2) | instid1(VALU_DEP_4)
	v_or_b32_e32 v26, 0x800000, v22
	v_cmp_eq_u32_e32 vcc_lo, 0, v20
	v_add_nc_u32_e32 v20, 0xffffff91, v20
	v_cndmask_b32_e64 v23, v23, 0x6f, vcc_lo
	s_delay_alu instid0(VALU_DEP_2) | instskip(SKIP_1) | instid1(VALU_DEP_3)
	v_cndmask_b32_e64 v20, v20, 0xffffff92, vcc_lo
	v_cndmask_b32_e32 v22, v26, v22, vcc_lo
	v_lshl_add_u32 v26, 0x200000, v23, -1
	v_lshlrev_b32_e64 v37, v23, 0x100000
	s_delay_alu instid0(VALU_DEP_3) | instskip(SKIP_1) | instid1(VALU_DEP_4)
	v_lshrrev_b32_e32 v27, v23, v22
	v_add_nc_u32_e32 v23, v23, v20
	v_and_b32_e32 v22, v26, v22
	s_delay_alu instid0(VALU_DEP_3) | instskip(NEXT) | instid1(VALU_DEP_2)
	v_bfe_u32 v36, v27, 21, 1
	v_cmp_eq_u32_e64 s13, v22, v37
	s_delay_alu instid0(VALU_DEP_2) | instskip(NEXT) | instid1(VALU_DEP_1)
	v_add_nc_u32_e32 v26, -1, v36
	v_cndmask_b32_e64 v22, 0, v26, s13
	v_lshrrev_b32_e32 v26, 23, v27
	s_mov_b32 s13, exec_lo
	s_delay_alu instid0(VALU_DEP_2) | instskip(NEXT) | instid1(VALU_DEP_2)
	v_add_nc_u32_e32 v22, v22, v27
	v_xor_b32_e32 v26, 1, v26
	s_delay_alu instid0(VALU_DEP_2) | instskip(NEXT) | instid1(VALU_DEP_1)
	v_and_b32_e32 v20, 0x1fffff, v22
	v_add_nc_u32_e32 v22, v20, v27
                                        ; implicit-def: $vgpr20
	s_delay_alu instid0(VALU_DEP_3)
	v_cmpx_ne_u32_e64 v23, v26
	s_xor_b32 s13, exec_lo, s13
; %bb.15947:                            ;   in Loop: Header=BB6_15906 Depth=3
	s_delay_alu instid0(VALU_DEP_2) | instskip(SKIP_2) | instid1(VALU_DEP_2)
	v_cmp_lt_u32_e32 vcc_lo, 0xffffff, v22
	v_sub_nc_u32_e32 v20, v23, v26
	v_cndmask_b32_e64 v23, 0, 1, vcc_lo
	v_add_co_ci_u32_e32 v20, vcc_lo, 0, v20, vcc_lo
	s_delay_alu instid0(VALU_DEP_2)
	v_lshrrev_b32_e32 v22, v23, v22
; %bb.15948:                            ;   in Loop: Header=BB6_15906 Depth=3
	s_and_not1_saveexec_b32 s13, s13
; %bb.15949:                            ;   in Loop: Header=BB6_15906 Depth=3
	s_delay_alu instid0(VALU_DEP_1)
	v_bfe_u32 v20, v22, 23, 1
; %bb.15950:                            ;   in Loop: Header=BB6_15906 Depth=3
	s_or_b32 exec_lo, exec_lo, s13
	v_lshrrev_b32_e32 v22, 21, v22
	s_delay_alu instid0(VALU_DEP_2) | instskip(SKIP_2) | instid1(VALU_DEP_4)
	v_cmp_gt_i32_e32 vcc_lo, 32, v20
	v_lshrrev_b32_e32 v14, 24, v14
	v_min_i32_e32 v23, 31, v20
	v_cndmask_b32_e32 v22, 3, v22, vcc_lo
	s_delay_alu instid0(VALU_DEP_3) | instskip(NEXT) | instid1(VALU_DEP_3)
	v_and_b32_e32 v14, 0x80, v14
	v_lshlrev_b32_e32 v23, 2, v23
	s_delay_alu instid0(VALU_DEP_3) | instskip(SKIP_1) | instid1(VALU_DEP_2)
	v_and_b32_e32 v26, 3, v22
	v_or_b32_e32 v20, v20, v22
	v_or3_b32 v14, v23, v14, v26
	s_delay_alu instid0(VALU_DEP_2) | instskip(NEXT) | instid1(VALU_DEP_2)
	v_cmp_ne_u32_e32 vcc_lo, 0, v20
	v_cndmask_b32_e32 v85, 0, v14, vcc_lo
.LBB6_15951:                            ;   in Loop: Header=BB6_15906 Depth=3
	s_or_b32 exec_lo, exec_lo, s30
.LBB6_15952:                            ;   in Loop: Header=BB6_15906 Depth=3
	s_delay_alu instid0(SALU_CYCLE_1)
	s_or_b32 exec_lo, exec_lo, s17
	flat_load_u8 v14, v[8:9] offset:96 slc dlc
	s_mov_b32 s13, 0
	s_mov_b32 s30, exec_lo
                                        ; implicit-def: $sgpr17
	s_waitcnt vmcnt(0) lgkmcnt(0)
	v_cmpx_lt_i16_e32 0x7f, v14
	s_xor_b32 s30, exec_lo, s30
	s_cbranch_execnz .LBB6_16825
; %bb.15953:                            ;   in Loop: Header=BB6_15906 Depth=3
	s_or_saveexec_b32 s30, s30
	v_mov_b32_e32 v20, s17
	s_xor_b32 exec_lo, exec_lo, s30
	s_cbranch_execnz .LBB6_16828
.LBB6_15954:                            ;   in Loop: Header=BB6_15906 Depth=3
	s_or_b32 exec_lo, exec_lo, s30
	s_and_saveexec_b32 s17, s13
	s_cbranch_execz .LBB6_15956
.LBB6_15955:                            ;   in Loop: Header=BB6_15906 Depth=3
	v_and_b32_e32 v20, 0xffff, v14
	v_lshlrev_b32_e32 v14, 24, v14
	s_delay_alu instid0(VALU_DEP_2) | instskip(NEXT) | instid1(VALU_DEP_2)
	v_and_b32_e32 v22, 3, v20
	v_and_b32_e32 v14, 0x80000000, v14
	s_delay_alu instid0(VALU_DEP_2) | instskip(NEXT) | instid1(VALU_DEP_1)
	v_clz_i32_u32_e32 v23, v22
	v_min_u32_e32 v23, 32, v23
	s_delay_alu instid0(VALU_DEP_1) | instskip(SKIP_1) | instid1(VALU_DEP_2)
	v_subrev_nc_u32_e32 v26, 29, v23
	v_sub_nc_u32_e32 v23, 30, v23
	v_lshlrev_b32_e32 v26, v26, v20
	v_bfe_u32 v20, v20, 2, 5
	s_delay_alu instid0(VALU_DEP_2) | instskip(NEXT) | instid1(VALU_DEP_2)
	v_and_b32_e32 v26, 3, v26
	v_cmp_eq_u32_e32 vcc_lo, 0, v20
	v_cndmask_b32_e32 v20, v20, v23, vcc_lo
	s_delay_alu instid0(VALU_DEP_3) | instskip(NEXT) | instid1(VALU_DEP_2)
	v_cndmask_b32_e32 v22, v22, v26, vcc_lo
	v_lshl_add_u32 v20, v20, 23, 0x37800000
	s_delay_alu instid0(VALU_DEP_2) | instskip(NEXT) | instid1(VALU_DEP_1)
	v_lshlrev_b32_e32 v22, 21, v22
	v_or3_b32 v20, v14, v20, v22
.LBB6_15956:                            ;   in Loop: Header=BB6_15906 Depth=3
	s_or_b32 exec_lo, exec_lo, s17
	s_delay_alu instid0(VALU_DEP_1) | instskip(SKIP_1) | instid1(VALU_DEP_1)
	v_dual_mul_f32 v14, v15, v20 :: v_dual_mov_b32 v163, 0x80
	s_mov_b32 s17, exec_lo
	v_and_b32_e32 v20, 0x7f800000, v14
	s_delay_alu instid0(VALU_DEP_1)
	v_cmpx_ne_u32_e32 0x7f800000, v20
	s_cbranch_execz .LBB6_15964
; %bb.15957:                            ;   in Loop: Header=BB6_15906 Depth=3
	v_mov_b32_e32 v163, 0
	s_mov_b32 s30, exec_lo
	v_cmpx_ne_u32_e32 0, v14
	s_cbranch_execz .LBB6_15963
; %bb.15958:                            ;   in Loop: Header=BB6_15906 Depth=3
	v_bfe_u32 v20, v14, 23, 8
	s_delay_alu instid0(VALU_DEP_1) | instskip(SKIP_1) | instid1(VALU_DEP_2)
	v_sub_nc_u32_e32 v23, 0x70, v20
	v_cmp_gt_u32_e32 vcc_lo, 0x71, v20
	v_dual_cndmask_b32 v23, 0, v23 :: v_dual_and_b32 v22, 0x7fffff, v14
	s_delay_alu instid0(VALU_DEP_1) | instskip(SKIP_2) | instid1(VALU_DEP_4)
	v_or_b32_e32 v26, 0x800000, v22
	v_cmp_eq_u32_e32 vcc_lo, 0, v20
	v_add_nc_u32_e32 v20, 0xffffff91, v20
	v_cndmask_b32_e64 v23, v23, 0x6f, vcc_lo
	s_delay_alu instid0(VALU_DEP_2) | instskip(SKIP_1) | instid1(VALU_DEP_3)
	v_cndmask_b32_e64 v20, v20, 0xffffff92, vcc_lo
	v_cndmask_b32_e32 v22, v26, v22, vcc_lo
	v_lshl_add_u32 v26, 0x200000, v23, -1
	v_lshlrev_b32_e64 v37, v23, 0x100000
	s_delay_alu instid0(VALU_DEP_3) | instskip(SKIP_1) | instid1(VALU_DEP_4)
	v_lshrrev_b32_e32 v27, v23, v22
	v_add_nc_u32_e32 v23, v23, v20
	v_and_b32_e32 v22, v26, v22
	s_delay_alu instid0(VALU_DEP_3) | instskip(NEXT) | instid1(VALU_DEP_2)
	v_bfe_u32 v36, v27, 21, 1
	v_cmp_eq_u32_e64 s13, v22, v37
	s_delay_alu instid0(VALU_DEP_2) | instskip(NEXT) | instid1(VALU_DEP_1)
	v_add_nc_u32_e32 v26, -1, v36
	v_cndmask_b32_e64 v22, 0, v26, s13
	v_lshrrev_b32_e32 v26, 23, v27
	s_mov_b32 s13, exec_lo
	s_delay_alu instid0(VALU_DEP_2) | instskip(NEXT) | instid1(VALU_DEP_2)
	v_add_nc_u32_e32 v22, v22, v27
	v_xor_b32_e32 v26, 1, v26
	s_delay_alu instid0(VALU_DEP_2) | instskip(NEXT) | instid1(VALU_DEP_1)
	v_and_b32_e32 v20, 0x1fffff, v22
	v_add_nc_u32_e32 v22, v20, v27
                                        ; implicit-def: $vgpr20
	s_delay_alu instid0(VALU_DEP_3)
	v_cmpx_ne_u32_e64 v23, v26
	s_xor_b32 s13, exec_lo, s13
; %bb.15959:                            ;   in Loop: Header=BB6_15906 Depth=3
	s_delay_alu instid0(VALU_DEP_2) | instskip(SKIP_2) | instid1(VALU_DEP_2)
	v_cmp_lt_u32_e32 vcc_lo, 0xffffff, v22
	v_sub_nc_u32_e32 v20, v23, v26
	v_cndmask_b32_e64 v23, 0, 1, vcc_lo
	v_add_co_ci_u32_e32 v20, vcc_lo, 0, v20, vcc_lo
	s_delay_alu instid0(VALU_DEP_2)
	v_lshrrev_b32_e32 v22, v23, v22
; %bb.15960:                            ;   in Loop: Header=BB6_15906 Depth=3
	s_and_not1_saveexec_b32 s13, s13
; %bb.15961:                            ;   in Loop: Header=BB6_15906 Depth=3
	s_delay_alu instid0(VALU_DEP_1)
	v_bfe_u32 v20, v22, 23, 1
; %bb.15962:                            ;   in Loop: Header=BB6_15906 Depth=3
	s_or_b32 exec_lo, exec_lo, s13
	v_lshrrev_b32_e32 v22, 21, v22
	s_delay_alu instid0(VALU_DEP_2) | instskip(SKIP_2) | instid1(VALU_DEP_4)
	v_cmp_gt_i32_e32 vcc_lo, 32, v20
	v_lshrrev_b32_e32 v14, 24, v14
	v_min_i32_e32 v23, 31, v20
	v_cndmask_b32_e32 v22, 3, v22, vcc_lo
	s_delay_alu instid0(VALU_DEP_3) | instskip(NEXT) | instid1(VALU_DEP_3)
	v_and_b32_e32 v14, 0x80, v14
	v_lshlrev_b32_e32 v23, 2, v23
	s_delay_alu instid0(VALU_DEP_3) | instskip(SKIP_1) | instid1(VALU_DEP_2)
	v_and_b32_e32 v26, 3, v22
	v_or_b32_e32 v20, v20, v22
	v_or3_b32 v14, v23, v14, v26
	s_delay_alu instid0(VALU_DEP_2) | instskip(NEXT) | instid1(VALU_DEP_2)
	v_cmp_ne_u32_e32 vcc_lo, 0, v20
	v_cndmask_b32_e32 v163, 0, v14, vcc_lo
.LBB6_15963:                            ;   in Loop: Header=BB6_15906 Depth=3
	s_or_b32 exec_lo, exec_lo, s30
.LBB6_15964:                            ;   in Loop: Header=BB6_15906 Depth=3
	s_delay_alu instid0(SALU_CYCLE_1)
	s_or_b32 exec_lo, exec_lo, s17
	flat_load_u8 v14, v[8:9] offset:128 slc dlc
	s_mov_b32 s13, 0
	s_mov_b32 s30, exec_lo
                                        ; implicit-def: $sgpr17
	s_waitcnt vmcnt(0) lgkmcnt(0)
	v_cmpx_lt_i16_e32 0x7f, v14
	s_xor_b32 s30, exec_lo, s30
	s_cbranch_execnz .LBB6_16829
; %bb.15965:                            ;   in Loop: Header=BB6_15906 Depth=3
	s_or_saveexec_b32 s30, s30
	v_mov_b32_e32 v20, s17
	s_xor_b32 exec_lo, exec_lo, s30
	s_cbranch_execnz .LBB6_16832
.LBB6_15966:                            ;   in Loop: Header=BB6_15906 Depth=3
	s_or_b32 exec_lo, exec_lo, s30
	s_and_saveexec_b32 s17, s13
	s_cbranch_execz .LBB6_15968
.LBB6_15967:                            ;   in Loop: Header=BB6_15906 Depth=3
	v_and_b32_e32 v20, 0xffff, v14
	v_lshlrev_b32_e32 v14, 24, v14
	s_delay_alu instid0(VALU_DEP_2) | instskip(NEXT) | instid1(VALU_DEP_2)
	v_and_b32_e32 v22, 3, v20
	v_and_b32_e32 v14, 0x80000000, v14
	s_delay_alu instid0(VALU_DEP_2) | instskip(NEXT) | instid1(VALU_DEP_1)
	v_clz_i32_u32_e32 v23, v22
	v_min_u32_e32 v23, 32, v23
	s_delay_alu instid0(VALU_DEP_1) | instskip(SKIP_1) | instid1(VALU_DEP_2)
	v_subrev_nc_u32_e32 v26, 29, v23
	v_sub_nc_u32_e32 v23, 30, v23
	v_lshlrev_b32_e32 v26, v26, v20
	v_bfe_u32 v20, v20, 2, 5
	s_delay_alu instid0(VALU_DEP_2) | instskip(NEXT) | instid1(VALU_DEP_2)
	v_and_b32_e32 v26, 3, v26
	v_cmp_eq_u32_e32 vcc_lo, 0, v20
	v_cndmask_b32_e32 v20, v20, v23, vcc_lo
	s_delay_alu instid0(VALU_DEP_3) | instskip(NEXT) | instid1(VALU_DEP_2)
	v_cndmask_b32_e32 v22, v22, v26, vcc_lo
	v_lshl_add_u32 v20, v20, 23, 0x37800000
	s_delay_alu instid0(VALU_DEP_2) | instskip(NEXT) | instid1(VALU_DEP_1)
	v_lshlrev_b32_e32 v22, 21, v22
	v_or3_b32 v20, v14, v20, v22
.LBB6_15968:                            ;   in Loop: Header=BB6_15906 Depth=3
	s_or_b32 exec_lo, exec_lo, s17
	s_delay_alu instid0(VALU_DEP_1) | instskip(SKIP_2) | instid1(VALU_DEP_2)
	v_mul_f32_e32 v14, v15, v20
	v_mov_b32_e32 v176, 0x80
	s_mov_b32 s17, exec_lo
	v_and_b32_e32 v20, 0x7f800000, v14
	s_delay_alu instid0(VALU_DEP_1)
	v_cmpx_ne_u32_e32 0x7f800000, v20
	s_cbranch_execz .LBB6_15976
; %bb.15969:                            ;   in Loop: Header=BB6_15906 Depth=3
	v_mov_b32_e32 v176, 0
	s_mov_b32 s30, exec_lo
	v_cmpx_ne_u32_e32 0, v14
	s_cbranch_execz .LBB6_15975
; %bb.15970:                            ;   in Loop: Header=BB6_15906 Depth=3
	v_bfe_u32 v20, v14, 23, 8
	s_delay_alu instid0(VALU_DEP_1) | instskip(SKIP_1) | instid1(VALU_DEP_2)
	v_sub_nc_u32_e32 v23, 0x70, v20
	v_cmp_gt_u32_e32 vcc_lo, 0x71, v20
	v_dual_cndmask_b32 v23, 0, v23 :: v_dual_and_b32 v22, 0x7fffff, v14
	s_delay_alu instid0(VALU_DEP_1) | instskip(SKIP_2) | instid1(VALU_DEP_4)
	v_or_b32_e32 v26, 0x800000, v22
	v_cmp_eq_u32_e32 vcc_lo, 0, v20
	v_add_nc_u32_e32 v20, 0xffffff91, v20
	v_cndmask_b32_e64 v23, v23, 0x6f, vcc_lo
	s_delay_alu instid0(VALU_DEP_2) | instskip(SKIP_1) | instid1(VALU_DEP_3)
	v_cndmask_b32_e64 v20, v20, 0xffffff92, vcc_lo
	v_cndmask_b32_e32 v22, v26, v22, vcc_lo
	v_lshl_add_u32 v26, 0x200000, v23, -1
	v_lshlrev_b32_e64 v37, v23, 0x100000
	s_delay_alu instid0(VALU_DEP_3) | instskip(SKIP_1) | instid1(VALU_DEP_4)
	v_lshrrev_b32_e32 v27, v23, v22
	v_add_nc_u32_e32 v23, v23, v20
	v_and_b32_e32 v22, v26, v22
	s_delay_alu instid0(VALU_DEP_3) | instskip(NEXT) | instid1(VALU_DEP_2)
	v_bfe_u32 v36, v27, 21, 1
	v_cmp_eq_u32_e64 s13, v22, v37
	s_delay_alu instid0(VALU_DEP_2) | instskip(NEXT) | instid1(VALU_DEP_1)
	v_add_nc_u32_e32 v26, -1, v36
	v_cndmask_b32_e64 v22, 0, v26, s13
	v_lshrrev_b32_e32 v26, 23, v27
	s_mov_b32 s13, exec_lo
	s_delay_alu instid0(VALU_DEP_2) | instskip(NEXT) | instid1(VALU_DEP_2)
	v_add_nc_u32_e32 v22, v22, v27
	v_xor_b32_e32 v26, 1, v26
	s_delay_alu instid0(VALU_DEP_2) | instskip(NEXT) | instid1(VALU_DEP_1)
	v_and_b32_e32 v20, 0x1fffff, v22
	v_add_nc_u32_e32 v22, v20, v27
                                        ; implicit-def: $vgpr20
	s_delay_alu instid0(VALU_DEP_3)
	v_cmpx_ne_u32_e64 v23, v26
	s_xor_b32 s13, exec_lo, s13
; %bb.15971:                            ;   in Loop: Header=BB6_15906 Depth=3
	s_delay_alu instid0(VALU_DEP_2) | instskip(SKIP_2) | instid1(VALU_DEP_2)
	v_cmp_lt_u32_e32 vcc_lo, 0xffffff, v22
	v_sub_nc_u32_e32 v20, v23, v26
	v_cndmask_b32_e64 v23, 0, 1, vcc_lo
	v_add_co_ci_u32_e32 v20, vcc_lo, 0, v20, vcc_lo
	s_delay_alu instid0(VALU_DEP_2)
	v_lshrrev_b32_e32 v22, v23, v22
; %bb.15972:                            ;   in Loop: Header=BB6_15906 Depth=3
	s_and_not1_saveexec_b32 s13, s13
; %bb.15973:                            ;   in Loop: Header=BB6_15906 Depth=3
	s_delay_alu instid0(VALU_DEP_1)
	v_bfe_u32 v20, v22, 23, 1
; %bb.15974:                            ;   in Loop: Header=BB6_15906 Depth=3
	s_or_b32 exec_lo, exec_lo, s13
	v_lshrrev_b32_e32 v22, 21, v22
	s_delay_alu instid0(VALU_DEP_2) | instskip(SKIP_2) | instid1(VALU_DEP_4)
	v_cmp_gt_i32_e32 vcc_lo, 32, v20
	v_lshrrev_b32_e32 v14, 24, v14
	v_min_i32_e32 v23, 31, v20
	v_cndmask_b32_e32 v22, 3, v22, vcc_lo
	s_delay_alu instid0(VALU_DEP_3) | instskip(NEXT) | instid1(VALU_DEP_3)
	v_and_b32_e32 v14, 0x80, v14
	v_lshlrev_b32_e32 v23, 2, v23
	s_delay_alu instid0(VALU_DEP_3) | instskip(SKIP_1) | instid1(VALU_DEP_2)
	v_and_b32_e32 v26, 3, v22
	v_or_b32_e32 v20, v20, v22
	v_or3_b32 v14, v23, v14, v26
	s_delay_alu instid0(VALU_DEP_2) | instskip(NEXT) | instid1(VALU_DEP_2)
	v_cmp_ne_u32_e32 vcc_lo, 0, v20
	v_cndmask_b32_e32 v176, 0, v14, vcc_lo
.LBB6_15975:                            ;   in Loop: Header=BB6_15906 Depth=3
	s_or_b32 exec_lo, exec_lo, s30
.LBB6_15976:                            ;   in Loop: Header=BB6_15906 Depth=3
	s_delay_alu instid0(SALU_CYCLE_1)
	s_or_b32 exec_lo, exec_lo, s17
	flat_load_u8 v14, v[8:9] offset:160 slc dlc
	s_mov_b32 s13, 0
	s_mov_b32 s30, exec_lo
                                        ; implicit-def: $sgpr17
	s_waitcnt vmcnt(0) lgkmcnt(0)
	v_cmpx_lt_i16_e32 0x7f, v14
	s_xor_b32 s30, exec_lo, s30
	s_cbranch_execnz .LBB6_16833
; %bb.15977:                            ;   in Loop: Header=BB6_15906 Depth=3
	s_or_saveexec_b32 s30, s30
	v_mov_b32_e32 v20, s17
	s_xor_b32 exec_lo, exec_lo, s30
	s_cbranch_execnz .LBB6_16836
.LBB6_15978:                            ;   in Loop: Header=BB6_15906 Depth=3
	s_or_b32 exec_lo, exec_lo, s30
	s_and_saveexec_b32 s17, s13
	s_cbranch_execz .LBB6_15980
.LBB6_15979:                            ;   in Loop: Header=BB6_15906 Depth=3
	v_and_b32_e32 v20, 0xffff, v14
	v_lshlrev_b32_e32 v14, 24, v14
	s_delay_alu instid0(VALU_DEP_2) | instskip(NEXT) | instid1(VALU_DEP_2)
	v_and_b32_e32 v22, 3, v20
	v_and_b32_e32 v14, 0x80000000, v14
	s_delay_alu instid0(VALU_DEP_2) | instskip(NEXT) | instid1(VALU_DEP_1)
	v_clz_i32_u32_e32 v23, v22
	v_min_u32_e32 v23, 32, v23
	s_delay_alu instid0(VALU_DEP_1) | instskip(SKIP_1) | instid1(VALU_DEP_2)
	v_subrev_nc_u32_e32 v26, 29, v23
	v_sub_nc_u32_e32 v23, 30, v23
	v_lshlrev_b32_e32 v26, v26, v20
	v_bfe_u32 v20, v20, 2, 5
	s_delay_alu instid0(VALU_DEP_2) | instskip(NEXT) | instid1(VALU_DEP_2)
	v_and_b32_e32 v26, 3, v26
	v_cmp_eq_u32_e32 vcc_lo, 0, v20
	v_cndmask_b32_e32 v20, v20, v23, vcc_lo
	s_delay_alu instid0(VALU_DEP_3) | instskip(NEXT) | instid1(VALU_DEP_2)
	v_cndmask_b32_e32 v22, v22, v26, vcc_lo
	v_lshl_add_u32 v20, v20, 23, 0x37800000
	s_delay_alu instid0(VALU_DEP_2) | instskip(NEXT) | instid1(VALU_DEP_1)
	v_lshlrev_b32_e32 v22, 21, v22
	v_or3_b32 v20, v14, v20, v22
.LBB6_15980:                            ;   in Loop: Header=BB6_15906 Depth=3
	s_or_b32 exec_lo, exec_lo, s17
	s_delay_alu instid0(VALU_DEP_1) | instskip(SKIP_1) | instid1(VALU_DEP_1)
	v_dual_mul_f32 v14, v15, v20 :: v_dual_mov_b32 v101, 0x80
	s_mov_b32 s17, exec_lo
	v_and_b32_e32 v20, 0x7f800000, v14
	s_delay_alu instid0(VALU_DEP_1)
	v_cmpx_ne_u32_e32 0x7f800000, v20
	s_cbranch_execz .LBB6_15988
; %bb.15981:                            ;   in Loop: Header=BB6_15906 Depth=3
	v_mov_b32_e32 v101, 0
	s_mov_b32 s30, exec_lo
	v_cmpx_ne_u32_e32 0, v14
	s_cbranch_execz .LBB6_15987
; %bb.15982:                            ;   in Loop: Header=BB6_15906 Depth=3
	v_bfe_u32 v20, v14, 23, 8
	s_delay_alu instid0(VALU_DEP_1) | instskip(SKIP_1) | instid1(VALU_DEP_2)
	v_sub_nc_u32_e32 v23, 0x70, v20
	v_cmp_gt_u32_e32 vcc_lo, 0x71, v20
	v_dual_cndmask_b32 v23, 0, v23 :: v_dual_and_b32 v22, 0x7fffff, v14
	s_delay_alu instid0(VALU_DEP_1) | instskip(SKIP_2) | instid1(VALU_DEP_4)
	v_or_b32_e32 v26, 0x800000, v22
	v_cmp_eq_u32_e32 vcc_lo, 0, v20
	v_add_nc_u32_e32 v20, 0xffffff91, v20
	v_cndmask_b32_e64 v23, v23, 0x6f, vcc_lo
	s_delay_alu instid0(VALU_DEP_2) | instskip(SKIP_1) | instid1(VALU_DEP_3)
	v_cndmask_b32_e64 v20, v20, 0xffffff92, vcc_lo
	v_cndmask_b32_e32 v22, v26, v22, vcc_lo
	v_lshl_add_u32 v26, 0x200000, v23, -1
	v_lshlrev_b32_e64 v37, v23, 0x100000
	s_delay_alu instid0(VALU_DEP_3) | instskip(SKIP_1) | instid1(VALU_DEP_4)
	v_lshrrev_b32_e32 v27, v23, v22
	v_add_nc_u32_e32 v23, v23, v20
	v_and_b32_e32 v22, v26, v22
	s_delay_alu instid0(VALU_DEP_3) | instskip(NEXT) | instid1(VALU_DEP_2)
	v_bfe_u32 v36, v27, 21, 1
	v_cmp_eq_u32_e64 s13, v22, v37
	s_delay_alu instid0(VALU_DEP_2) | instskip(NEXT) | instid1(VALU_DEP_1)
	v_add_nc_u32_e32 v26, -1, v36
	v_cndmask_b32_e64 v22, 0, v26, s13
	v_lshrrev_b32_e32 v26, 23, v27
	s_mov_b32 s13, exec_lo
	s_delay_alu instid0(VALU_DEP_2) | instskip(NEXT) | instid1(VALU_DEP_2)
	v_add_nc_u32_e32 v22, v22, v27
	v_xor_b32_e32 v26, 1, v26
	s_delay_alu instid0(VALU_DEP_2) | instskip(NEXT) | instid1(VALU_DEP_1)
	v_and_b32_e32 v20, 0x1fffff, v22
	v_add_nc_u32_e32 v22, v20, v27
                                        ; implicit-def: $vgpr20
	s_delay_alu instid0(VALU_DEP_3)
	v_cmpx_ne_u32_e64 v23, v26
	s_xor_b32 s13, exec_lo, s13
; %bb.15983:                            ;   in Loop: Header=BB6_15906 Depth=3
	s_delay_alu instid0(VALU_DEP_2) | instskip(SKIP_2) | instid1(VALU_DEP_2)
	v_cmp_lt_u32_e32 vcc_lo, 0xffffff, v22
	v_sub_nc_u32_e32 v20, v23, v26
	v_cndmask_b32_e64 v23, 0, 1, vcc_lo
	v_add_co_ci_u32_e32 v20, vcc_lo, 0, v20, vcc_lo
	s_delay_alu instid0(VALU_DEP_2)
	v_lshrrev_b32_e32 v22, v23, v22
; %bb.15984:                            ;   in Loop: Header=BB6_15906 Depth=3
	s_and_not1_saveexec_b32 s13, s13
; %bb.15985:                            ;   in Loop: Header=BB6_15906 Depth=3
	s_delay_alu instid0(VALU_DEP_1)
	v_bfe_u32 v20, v22, 23, 1
; %bb.15986:                            ;   in Loop: Header=BB6_15906 Depth=3
	s_or_b32 exec_lo, exec_lo, s13
	v_lshrrev_b32_e32 v22, 21, v22
	s_delay_alu instid0(VALU_DEP_2) | instskip(SKIP_2) | instid1(VALU_DEP_4)
	v_cmp_gt_i32_e32 vcc_lo, 32, v20
	v_lshrrev_b32_e32 v14, 24, v14
	v_min_i32_e32 v23, 31, v20
	v_cndmask_b32_e32 v22, 3, v22, vcc_lo
	s_delay_alu instid0(VALU_DEP_3) | instskip(NEXT) | instid1(VALU_DEP_3)
	v_and_b32_e32 v14, 0x80, v14
	v_lshlrev_b32_e32 v23, 2, v23
	s_delay_alu instid0(VALU_DEP_3) | instskip(SKIP_1) | instid1(VALU_DEP_2)
	v_and_b32_e32 v26, 3, v22
	v_or_b32_e32 v20, v20, v22
	v_or3_b32 v14, v23, v14, v26
	s_delay_alu instid0(VALU_DEP_2) | instskip(NEXT) | instid1(VALU_DEP_2)
	v_cmp_ne_u32_e32 vcc_lo, 0, v20
	v_cndmask_b32_e32 v101, 0, v14, vcc_lo
.LBB6_15987:                            ;   in Loop: Header=BB6_15906 Depth=3
	s_or_b32 exec_lo, exec_lo, s30
.LBB6_15988:                            ;   in Loop: Header=BB6_15906 Depth=3
	s_delay_alu instid0(SALU_CYCLE_1)
	s_or_b32 exec_lo, exec_lo, s17
	flat_load_u8 v14, v[8:9] offset:192 slc dlc
	s_mov_b32 s13, 0
	s_mov_b32 s30, exec_lo
                                        ; implicit-def: $sgpr17
	s_waitcnt vmcnt(0) lgkmcnt(0)
	v_cmpx_lt_i16_e32 0x7f, v14
	s_xor_b32 s30, exec_lo, s30
	s_cbranch_execnz .LBB6_16837
; %bb.15989:                            ;   in Loop: Header=BB6_15906 Depth=3
	s_or_saveexec_b32 s30, s30
	v_mov_b32_e32 v20, s17
	s_xor_b32 exec_lo, exec_lo, s30
	s_cbranch_execnz .LBB6_16840
.LBB6_15990:                            ;   in Loop: Header=BB6_15906 Depth=3
	s_or_b32 exec_lo, exec_lo, s30
	s_and_saveexec_b32 s17, s13
	s_cbranch_execz .LBB6_15992
.LBB6_15991:                            ;   in Loop: Header=BB6_15906 Depth=3
	v_and_b32_e32 v20, 0xffff, v14
	v_lshlrev_b32_e32 v14, 24, v14
	s_delay_alu instid0(VALU_DEP_2) | instskip(NEXT) | instid1(VALU_DEP_2)
	v_and_b32_e32 v22, 3, v20
	v_and_b32_e32 v14, 0x80000000, v14
	s_delay_alu instid0(VALU_DEP_2) | instskip(NEXT) | instid1(VALU_DEP_1)
	v_clz_i32_u32_e32 v23, v22
	v_min_u32_e32 v23, 32, v23
	s_delay_alu instid0(VALU_DEP_1) | instskip(SKIP_1) | instid1(VALU_DEP_2)
	v_subrev_nc_u32_e32 v26, 29, v23
	v_sub_nc_u32_e32 v23, 30, v23
	v_lshlrev_b32_e32 v26, v26, v20
	v_bfe_u32 v20, v20, 2, 5
	s_delay_alu instid0(VALU_DEP_2) | instskip(NEXT) | instid1(VALU_DEP_2)
	v_and_b32_e32 v26, 3, v26
	v_cmp_eq_u32_e32 vcc_lo, 0, v20
	v_cndmask_b32_e32 v20, v20, v23, vcc_lo
	s_delay_alu instid0(VALU_DEP_3) | instskip(NEXT) | instid1(VALU_DEP_2)
	v_cndmask_b32_e32 v22, v22, v26, vcc_lo
	v_lshl_add_u32 v20, v20, 23, 0x37800000
	s_delay_alu instid0(VALU_DEP_2) | instskip(NEXT) | instid1(VALU_DEP_1)
	v_lshlrev_b32_e32 v22, 21, v22
	v_or3_b32 v20, v14, v20, v22
.LBB6_15992:                            ;   in Loop: Header=BB6_15906 Depth=3
	s_or_b32 exec_lo, exec_lo, s17
	s_delay_alu instid0(VALU_DEP_1) | instskip(SKIP_2) | instid1(VALU_DEP_2)
	v_mul_f32_e32 v14, v15, v20
	v_mov_b32_e32 v42, 0x80
	s_mov_b32 s17, exec_lo
	v_and_b32_e32 v20, 0x7f800000, v14
	s_delay_alu instid0(VALU_DEP_1)
	v_cmpx_ne_u32_e32 0x7f800000, v20
	s_cbranch_execz .LBB6_16000
; %bb.15993:                            ;   in Loop: Header=BB6_15906 Depth=3
	v_mov_b32_e32 v42, 0
	s_mov_b32 s30, exec_lo
	v_cmpx_ne_u32_e32 0, v14
	s_cbranch_execz .LBB6_15999
; %bb.15994:                            ;   in Loop: Header=BB6_15906 Depth=3
	v_bfe_u32 v20, v14, 23, 8
	s_delay_alu instid0(VALU_DEP_1) | instskip(SKIP_1) | instid1(VALU_DEP_2)
	v_sub_nc_u32_e32 v23, 0x70, v20
	v_cmp_gt_u32_e32 vcc_lo, 0x71, v20
	v_dual_cndmask_b32 v23, 0, v23 :: v_dual_and_b32 v22, 0x7fffff, v14
	s_delay_alu instid0(VALU_DEP_1) | instskip(SKIP_2) | instid1(VALU_DEP_4)
	v_or_b32_e32 v26, 0x800000, v22
	v_cmp_eq_u32_e32 vcc_lo, 0, v20
	v_add_nc_u32_e32 v20, 0xffffff91, v20
	v_cndmask_b32_e64 v23, v23, 0x6f, vcc_lo
	s_delay_alu instid0(VALU_DEP_2) | instskip(SKIP_1) | instid1(VALU_DEP_3)
	v_cndmask_b32_e64 v20, v20, 0xffffff92, vcc_lo
	v_cndmask_b32_e32 v22, v26, v22, vcc_lo
	v_lshl_add_u32 v26, 0x200000, v23, -1
	v_lshlrev_b32_e64 v37, v23, 0x100000
	s_delay_alu instid0(VALU_DEP_3) | instskip(SKIP_1) | instid1(VALU_DEP_4)
	v_lshrrev_b32_e32 v27, v23, v22
	v_add_nc_u32_e32 v23, v23, v20
	v_and_b32_e32 v22, v26, v22
	s_delay_alu instid0(VALU_DEP_3) | instskip(NEXT) | instid1(VALU_DEP_2)
	v_bfe_u32 v36, v27, 21, 1
	v_cmp_eq_u32_e64 s13, v22, v37
	s_delay_alu instid0(VALU_DEP_2) | instskip(NEXT) | instid1(VALU_DEP_1)
	v_add_nc_u32_e32 v26, -1, v36
	v_cndmask_b32_e64 v22, 0, v26, s13
	v_lshrrev_b32_e32 v26, 23, v27
	s_mov_b32 s13, exec_lo
	s_delay_alu instid0(VALU_DEP_2) | instskip(NEXT) | instid1(VALU_DEP_2)
	v_add_nc_u32_e32 v22, v22, v27
	v_xor_b32_e32 v26, 1, v26
	s_delay_alu instid0(VALU_DEP_2) | instskip(NEXT) | instid1(VALU_DEP_1)
	v_and_b32_e32 v20, 0x1fffff, v22
	v_add_nc_u32_e32 v22, v20, v27
                                        ; implicit-def: $vgpr20
	s_delay_alu instid0(VALU_DEP_3)
	v_cmpx_ne_u32_e64 v23, v26
	s_xor_b32 s13, exec_lo, s13
; %bb.15995:                            ;   in Loop: Header=BB6_15906 Depth=3
	s_delay_alu instid0(VALU_DEP_2) | instskip(SKIP_2) | instid1(VALU_DEP_2)
	v_cmp_lt_u32_e32 vcc_lo, 0xffffff, v22
	v_sub_nc_u32_e32 v20, v23, v26
	v_cndmask_b32_e64 v23, 0, 1, vcc_lo
	v_add_co_ci_u32_e32 v20, vcc_lo, 0, v20, vcc_lo
	s_delay_alu instid0(VALU_DEP_2)
	v_lshrrev_b32_e32 v22, v23, v22
; %bb.15996:                            ;   in Loop: Header=BB6_15906 Depth=3
	s_and_not1_saveexec_b32 s13, s13
; %bb.15997:                            ;   in Loop: Header=BB6_15906 Depth=3
	s_delay_alu instid0(VALU_DEP_1)
	v_bfe_u32 v20, v22, 23, 1
; %bb.15998:                            ;   in Loop: Header=BB6_15906 Depth=3
	s_or_b32 exec_lo, exec_lo, s13
	v_lshrrev_b32_e32 v22, 21, v22
	s_delay_alu instid0(VALU_DEP_2) | instskip(SKIP_2) | instid1(VALU_DEP_4)
	v_cmp_gt_i32_e32 vcc_lo, 32, v20
	v_lshrrev_b32_e32 v14, 24, v14
	v_min_i32_e32 v23, 31, v20
	v_cndmask_b32_e32 v22, 3, v22, vcc_lo
	s_delay_alu instid0(VALU_DEP_3) | instskip(NEXT) | instid1(VALU_DEP_3)
	v_and_b32_e32 v14, 0x80, v14
	v_lshlrev_b32_e32 v23, 2, v23
	s_delay_alu instid0(VALU_DEP_3) | instskip(SKIP_1) | instid1(VALU_DEP_2)
	v_and_b32_e32 v26, 3, v22
	v_or_b32_e32 v20, v20, v22
	v_or3_b32 v14, v23, v14, v26
	s_delay_alu instid0(VALU_DEP_2) | instskip(NEXT) | instid1(VALU_DEP_2)
	v_cmp_ne_u32_e32 vcc_lo, 0, v20
	v_cndmask_b32_e32 v42, 0, v14, vcc_lo
.LBB6_15999:                            ;   in Loop: Header=BB6_15906 Depth=3
	s_or_b32 exec_lo, exec_lo, s30
.LBB6_16000:                            ;   in Loop: Header=BB6_15906 Depth=3
	s_delay_alu instid0(SALU_CYCLE_1)
	s_or_b32 exec_lo, exec_lo, s17
	flat_load_u8 v14, v[8:9] offset:224 slc dlc
	s_mov_b32 s13, 0
	s_mov_b32 s30, exec_lo
                                        ; implicit-def: $sgpr17
	s_waitcnt vmcnt(0) lgkmcnt(0)
	v_cmpx_lt_i16_e32 0x7f, v14
	s_xor_b32 s30, exec_lo, s30
	s_cbranch_execnz .LBB6_16841
; %bb.16001:                            ;   in Loop: Header=BB6_15906 Depth=3
	s_or_saveexec_b32 s30, s30
	v_mov_b32_e32 v20, s17
	s_xor_b32 exec_lo, exec_lo, s30
	s_cbranch_execnz .LBB6_16844
.LBB6_16002:                            ;   in Loop: Header=BB6_15906 Depth=3
	s_or_b32 exec_lo, exec_lo, s30
	s_and_saveexec_b32 s17, s13
	s_cbranch_execz .LBB6_16004
.LBB6_16003:                            ;   in Loop: Header=BB6_15906 Depth=3
	v_and_b32_e32 v20, 0xffff, v14
	v_lshlrev_b32_e32 v14, 24, v14
	s_delay_alu instid0(VALU_DEP_2) | instskip(NEXT) | instid1(VALU_DEP_2)
	v_and_b32_e32 v22, 3, v20
	v_and_b32_e32 v14, 0x80000000, v14
	s_delay_alu instid0(VALU_DEP_2) | instskip(NEXT) | instid1(VALU_DEP_1)
	v_clz_i32_u32_e32 v23, v22
	v_min_u32_e32 v23, 32, v23
	s_delay_alu instid0(VALU_DEP_1) | instskip(SKIP_1) | instid1(VALU_DEP_2)
	v_subrev_nc_u32_e32 v26, 29, v23
	v_sub_nc_u32_e32 v23, 30, v23
	v_lshlrev_b32_e32 v26, v26, v20
	v_bfe_u32 v20, v20, 2, 5
	s_delay_alu instid0(VALU_DEP_2) | instskip(NEXT) | instid1(VALU_DEP_2)
	v_and_b32_e32 v26, 3, v26
	v_cmp_eq_u32_e32 vcc_lo, 0, v20
	v_cndmask_b32_e32 v20, v20, v23, vcc_lo
	s_delay_alu instid0(VALU_DEP_3) | instskip(NEXT) | instid1(VALU_DEP_2)
	v_cndmask_b32_e32 v22, v22, v26, vcc_lo
	v_lshl_add_u32 v20, v20, 23, 0x37800000
	s_delay_alu instid0(VALU_DEP_2) | instskip(NEXT) | instid1(VALU_DEP_1)
	v_lshlrev_b32_e32 v22, 21, v22
	v_or3_b32 v20, v14, v20, v22
.LBB6_16004:                            ;   in Loop: Header=BB6_15906 Depth=3
	s_or_b32 exec_lo, exec_lo, s17
	s_delay_alu instid0(VALU_DEP_1) | instskip(SKIP_1) | instid1(VALU_DEP_1)
	v_dual_mul_f32 v14, v15, v20 :: v_dual_mov_b32 v47, 0x80
	s_mov_b32 s17, exec_lo
	v_and_b32_e32 v20, 0x7f800000, v14
	s_delay_alu instid0(VALU_DEP_1)
	v_cmpx_ne_u32_e32 0x7f800000, v20
	s_cbranch_execz .LBB6_16012
; %bb.16005:                            ;   in Loop: Header=BB6_15906 Depth=3
	v_mov_b32_e32 v47, 0
	s_mov_b32 s30, exec_lo
	v_cmpx_ne_u32_e32 0, v14
	s_cbranch_execz .LBB6_16011
; %bb.16006:                            ;   in Loop: Header=BB6_15906 Depth=3
	v_bfe_u32 v20, v14, 23, 8
	s_delay_alu instid0(VALU_DEP_1) | instskip(SKIP_1) | instid1(VALU_DEP_2)
	v_sub_nc_u32_e32 v23, 0x70, v20
	v_cmp_gt_u32_e32 vcc_lo, 0x71, v20
	v_dual_cndmask_b32 v23, 0, v23 :: v_dual_and_b32 v22, 0x7fffff, v14
	s_delay_alu instid0(VALU_DEP_1) | instskip(SKIP_2) | instid1(VALU_DEP_4)
	v_or_b32_e32 v26, 0x800000, v22
	v_cmp_eq_u32_e32 vcc_lo, 0, v20
	v_add_nc_u32_e32 v20, 0xffffff91, v20
	v_cndmask_b32_e64 v23, v23, 0x6f, vcc_lo
	s_delay_alu instid0(VALU_DEP_2) | instskip(SKIP_1) | instid1(VALU_DEP_3)
	v_cndmask_b32_e64 v20, v20, 0xffffff92, vcc_lo
	v_cndmask_b32_e32 v22, v26, v22, vcc_lo
	v_lshl_add_u32 v26, 0x200000, v23, -1
	v_lshlrev_b32_e64 v37, v23, 0x100000
	s_delay_alu instid0(VALU_DEP_3) | instskip(SKIP_1) | instid1(VALU_DEP_4)
	v_lshrrev_b32_e32 v27, v23, v22
	v_add_nc_u32_e32 v23, v23, v20
	v_and_b32_e32 v22, v26, v22
	s_delay_alu instid0(VALU_DEP_3) | instskip(NEXT) | instid1(VALU_DEP_2)
	v_bfe_u32 v36, v27, 21, 1
	v_cmp_eq_u32_e64 s13, v22, v37
	s_delay_alu instid0(VALU_DEP_2) | instskip(NEXT) | instid1(VALU_DEP_1)
	v_add_nc_u32_e32 v26, -1, v36
	v_cndmask_b32_e64 v22, 0, v26, s13
	v_lshrrev_b32_e32 v26, 23, v27
	s_mov_b32 s13, exec_lo
	s_delay_alu instid0(VALU_DEP_2) | instskip(NEXT) | instid1(VALU_DEP_2)
	v_add_nc_u32_e32 v22, v22, v27
	v_xor_b32_e32 v26, 1, v26
	s_delay_alu instid0(VALU_DEP_2) | instskip(NEXT) | instid1(VALU_DEP_1)
	v_and_b32_e32 v20, 0x1fffff, v22
	v_add_nc_u32_e32 v22, v20, v27
                                        ; implicit-def: $vgpr20
	s_delay_alu instid0(VALU_DEP_3)
	v_cmpx_ne_u32_e64 v23, v26
	s_xor_b32 s13, exec_lo, s13
; %bb.16007:                            ;   in Loop: Header=BB6_15906 Depth=3
	s_delay_alu instid0(VALU_DEP_2) | instskip(SKIP_2) | instid1(VALU_DEP_2)
	v_cmp_lt_u32_e32 vcc_lo, 0xffffff, v22
	v_sub_nc_u32_e32 v20, v23, v26
	v_cndmask_b32_e64 v23, 0, 1, vcc_lo
	v_add_co_ci_u32_e32 v20, vcc_lo, 0, v20, vcc_lo
	s_delay_alu instid0(VALU_DEP_2)
	v_lshrrev_b32_e32 v22, v23, v22
; %bb.16008:                            ;   in Loop: Header=BB6_15906 Depth=3
	s_and_not1_saveexec_b32 s13, s13
; %bb.16009:                            ;   in Loop: Header=BB6_15906 Depth=3
	s_delay_alu instid0(VALU_DEP_1)
	v_bfe_u32 v20, v22, 23, 1
; %bb.16010:                            ;   in Loop: Header=BB6_15906 Depth=3
	s_or_b32 exec_lo, exec_lo, s13
	v_lshrrev_b32_e32 v22, 21, v22
	s_delay_alu instid0(VALU_DEP_2) | instskip(SKIP_2) | instid1(VALU_DEP_4)
	v_cmp_gt_i32_e32 vcc_lo, 32, v20
	v_lshrrev_b32_e32 v14, 24, v14
	v_min_i32_e32 v23, 31, v20
	v_cndmask_b32_e32 v22, 3, v22, vcc_lo
	s_delay_alu instid0(VALU_DEP_3) | instskip(NEXT) | instid1(VALU_DEP_3)
	v_and_b32_e32 v14, 0x80, v14
	v_lshlrev_b32_e32 v23, 2, v23
	s_delay_alu instid0(VALU_DEP_3) | instskip(SKIP_1) | instid1(VALU_DEP_2)
	v_and_b32_e32 v26, 3, v22
	v_or_b32_e32 v20, v20, v22
	v_or3_b32 v14, v23, v14, v26
	s_delay_alu instid0(VALU_DEP_2) | instskip(NEXT) | instid1(VALU_DEP_2)
	v_cmp_ne_u32_e32 vcc_lo, 0, v20
	v_cndmask_b32_e32 v47, 0, v14, vcc_lo
.LBB6_16011:                            ;   in Loop: Header=BB6_15906 Depth=3
	s_or_b32 exec_lo, exec_lo, s30
.LBB6_16012:                            ;   in Loop: Header=BB6_15906 Depth=3
	s_delay_alu instid0(SALU_CYCLE_1)
	s_or_b32 exec_lo, exec_lo, s17
	flat_load_u8 v14, v[8:9] offset:256 slc dlc
	s_mov_b32 s13, 0
	s_mov_b32 s30, exec_lo
                                        ; implicit-def: $sgpr17
	s_waitcnt vmcnt(0) lgkmcnt(0)
	v_cmpx_lt_i16_e32 0x7f, v14
	s_xor_b32 s30, exec_lo, s30
	s_cbranch_execnz .LBB6_16845
; %bb.16013:                            ;   in Loop: Header=BB6_15906 Depth=3
	s_or_saveexec_b32 s30, s30
	v_mov_b32_e32 v20, s17
	s_xor_b32 exec_lo, exec_lo, s30
	s_cbranch_execnz .LBB6_16848
.LBB6_16014:                            ;   in Loop: Header=BB6_15906 Depth=3
	s_or_b32 exec_lo, exec_lo, s30
	s_and_saveexec_b32 s17, s13
	s_cbranch_execz .LBB6_16016
.LBB6_16015:                            ;   in Loop: Header=BB6_15906 Depth=3
	v_and_b32_e32 v20, 0xffff, v14
	v_lshlrev_b32_e32 v14, 24, v14
	s_delay_alu instid0(VALU_DEP_2) | instskip(NEXT) | instid1(VALU_DEP_2)
	v_and_b32_e32 v22, 3, v20
	v_and_b32_e32 v14, 0x80000000, v14
	s_delay_alu instid0(VALU_DEP_2) | instskip(NEXT) | instid1(VALU_DEP_1)
	v_clz_i32_u32_e32 v23, v22
	v_min_u32_e32 v23, 32, v23
	s_delay_alu instid0(VALU_DEP_1) | instskip(SKIP_1) | instid1(VALU_DEP_2)
	v_subrev_nc_u32_e32 v26, 29, v23
	v_sub_nc_u32_e32 v23, 30, v23
	v_lshlrev_b32_e32 v26, v26, v20
	v_bfe_u32 v20, v20, 2, 5
	s_delay_alu instid0(VALU_DEP_2) | instskip(NEXT) | instid1(VALU_DEP_2)
	v_and_b32_e32 v26, 3, v26
	v_cmp_eq_u32_e32 vcc_lo, 0, v20
	v_cndmask_b32_e32 v20, v20, v23, vcc_lo
	s_delay_alu instid0(VALU_DEP_3) | instskip(NEXT) | instid1(VALU_DEP_2)
	v_cndmask_b32_e32 v22, v22, v26, vcc_lo
	v_lshl_add_u32 v20, v20, 23, 0x37800000
	s_delay_alu instid0(VALU_DEP_2) | instskip(NEXT) | instid1(VALU_DEP_1)
	v_lshlrev_b32_e32 v22, 21, v22
	v_or3_b32 v20, v14, v20, v22
.LBB6_16016:                            ;   in Loop: Header=BB6_15906 Depth=3
	s_or_b32 exec_lo, exec_lo, s17
	s_delay_alu instid0(VALU_DEP_1) | instskip(SKIP_2) | instid1(VALU_DEP_2)
	v_mul_f32_e32 v14, v15, v20
	v_mov_b32_e32 v56, 0x80
	s_mov_b32 s17, exec_lo
	v_and_b32_e32 v20, 0x7f800000, v14
	s_delay_alu instid0(VALU_DEP_1)
	v_cmpx_ne_u32_e32 0x7f800000, v20
	s_cbranch_execz .LBB6_16024
; %bb.16017:                            ;   in Loop: Header=BB6_15906 Depth=3
	v_mov_b32_e32 v56, 0
	s_mov_b32 s30, exec_lo
	v_cmpx_ne_u32_e32 0, v14
	s_cbranch_execz .LBB6_16023
; %bb.16018:                            ;   in Loop: Header=BB6_15906 Depth=3
	v_bfe_u32 v20, v14, 23, 8
	s_delay_alu instid0(VALU_DEP_1) | instskip(SKIP_1) | instid1(VALU_DEP_2)
	v_sub_nc_u32_e32 v23, 0x70, v20
	v_cmp_gt_u32_e32 vcc_lo, 0x71, v20
	v_dual_cndmask_b32 v23, 0, v23 :: v_dual_and_b32 v22, 0x7fffff, v14
	s_delay_alu instid0(VALU_DEP_1) | instskip(SKIP_2) | instid1(VALU_DEP_4)
	v_or_b32_e32 v26, 0x800000, v22
	v_cmp_eq_u32_e32 vcc_lo, 0, v20
	v_add_nc_u32_e32 v20, 0xffffff91, v20
	v_cndmask_b32_e64 v23, v23, 0x6f, vcc_lo
	s_delay_alu instid0(VALU_DEP_2) | instskip(SKIP_1) | instid1(VALU_DEP_3)
	v_cndmask_b32_e64 v20, v20, 0xffffff92, vcc_lo
	v_cndmask_b32_e32 v22, v26, v22, vcc_lo
	v_lshl_add_u32 v26, 0x200000, v23, -1
	v_lshlrev_b32_e64 v37, v23, 0x100000
	s_delay_alu instid0(VALU_DEP_3) | instskip(SKIP_1) | instid1(VALU_DEP_4)
	v_lshrrev_b32_e32 v27, v23, v22
	v_add_nc_u32_e32 v23, v23, v20
	v_and_b32_e32 v22, v26, v22
	s_delay_alu instid0(VALU_DEP_3) | instskip(NEXT) | instid1(VALU_DEP_2)
	v_bfe_u32 v36, v27, 21, 1
	v_cmp_eq_u32_e64 s13, v22, v37
	s_delay_alu instid0(VALU_DEP_2) | instskip(NEXT) | instid1(VALU_DEP_1)
	v_add_nc_u32_e32 v26, -1, v36
	v_cndmask_b32_e64 v22, 0, v26, s13
	v_lshrrev_b32_e32 v26, 23, v27
	s_mov_b32 s13, exec_lo
	s_delay_alu instid0(VALU_DEP_2) | instskip(NEXT) | instid1(VALU_DEP_2)
	v_add_nc_u32_e32 v22, v22, v27
	v_xor_b32_e32 v26, 1, v26
	s_delay_alu instid0(VALU_DEP_2) | instskip(NEXT) | instid1(VALU_DEP_1)
	v_and_b32_e32 v20, 0x1fffff, v22
	v_add_nc_u32_e32 v22, v20, v27
                                        ; implicit-def: $vgpr20
	s_delay_alu instid0(VALU_DEP_3)
	v_cmpx_ne_u32_e64 v23, v26
	s_xor_b32 s13, exec_lo, s13
; %bb.16019:                            ;   in Loop: Header=BB6_15906 Depth=3
	s_delay_alu instid0(VALU_DEP_2) | instskip(SKIP_2) | instid1(VALU_DEP_2)
	v_cmp_lt_u32_e32 vcc_lo, 0xffffff, v22
	v_sub_nc_u32_e32 v20, v23, v26
	v_cndmask_b32_e64 v23, 0, 1, vcc_lo
	v_add_co_ci_u32_e32 v20, vcc_lo, 0, v20, vcc_lo
	s_delay_alu instid0(VALU_DEP_2)
	v_lshrrev_b32_e32 v22, v23, v22
; %bb.16020:                            ;   in Loop: Header=BB6_15906 Depth=3
	s_and_not1_saveexec_b32 s13, s13
; %bb.16021:                            ;   in Loop: Header=BB6_15906 Depth=3
	s_delay_alu instid0(VALU_DEP_1)
	v_bfe_u32 v20, v22, 23, 1
; %bb.16022:                            ;   in Loop: Header=BB6_15906 Depth=3
	s_or_b32 exec_lo, exec_lo, s13
	v_lshrrev_b32_e32 v22, 21, v22
	s_delay_alu instid0(VALU_DEP_2) | instskip(SKIP_2) | instid1(VALU_DEP_4)
	v_cmp_gt_i32_e32 vcc_lo, 32, v20
	v_lshrrev_b32_e32 v14, 24, v14
	v_min_i32_e32 v23, 31, v20
	v_cndmask_b32_e32 v22, 3, v22, vcc_lo
	s_delay_alu instid0(VALU_DEP_3) | instskip(NEXT) | instid1(VALU_DEP_3)
	v_and_b32_e32 v14, 0x80, v14
	v_lshlrev_b32_e32 v23, 2, v23
	s_delay_alu instid0(VALU_DEP_3) | instskip(SKIP_1) | instid1(VALU_DEP_2)
	v_and_b32_e32 v26, 3, v22
	v_or_b32_e32 v20, v20, v22
	v_or3_b32 v14, v23, v14, v26
	s_delay_alu instid0(VALU_DEP_2) | instskip(NEXT) | instid1(VALU_DEP_2)
	v_cmp_ne_u32_e32 vcc_lo, 0, v20
	v_cndmask_b32_e32 v56, 0, v14, vcc_lo
.LBB6_16023:                            ;   in Loop: Header=BB6_15906 Depth=3
	s_or_b32 exec_lo, exec_lo, s30
.LBB6_16024:                            ;   in Loop: Header=BB6_15906 Depth=3
	s_delay_alu instid0(SALU_CYCLE_1)
	s_or_b32 exec_lo, exec_lo, s17
	flat_load_u8 v14, v[8:9] offset:288 slc dlc
	s_mov_b32 s13, 0
	s_mov_b32 s30, exec_lo
                                        ; implicit-def: $sgpr17
	s_waitcnt vmcnt(0) lgkmcnt(0)
	v_cmpx_lt_i16_e32 0x7f, v14
	s_xor_b32 s30, exec_lo, s30
	s_cbranch_execnz .LBB6_16849
; %bb.16025:                            ;   in Loop: Header=BB6_15906 Depth=3
	s_or_saveexec_b32 s30, s30
	v_mov_b32_e32 v20, s17
	s_xor_b32 exec_lo, exec_lo, s30
	s_cbranch_execnz .LBB6_16852
.LBB6_16026:                            ;   in Loop: Header=BB6_15906 Depth=3
	s_or_b32 exec_lo, exec_lo, s30
	s_and_saveexec_b32 s17, s13
	s_cbranch_execz .LBB6_16028
.LBB6_16027:                            ;   in Loop: Header=BB6_15906 Depth=3
	v_and_b32_e32 v20, 0xffff, v14
	v_lshlrev_b32_e32 v14, 24, v14
	s_delay_alu instid0(VALU_DEP_2) | instskip(NEXT) | instid1(VALU_DEP_2)
	v_and_b32_e32 v22, 3, v20
	v_and_b32_e32 v14, 0x80000000, v14
	s_delay_alu instid0(VALU_DEP_2) | instskip(NEXT) | instid1(VALU_DEP_1)
	v_clz_i32_u32_e32 v23, v22
	v_min_u32_e32 v23, 32, v23
	s_delay_alu instid0(VALU_DEP_1) | instskip(SKIP_1) | instid1(VALU_DEP_2)
	v_subrev_nc_u32_e32 v26, 29, v23
	v_sub_nc_u32_e32 v23, 30, v23
	v_lshlrev_b32_e32 v26, v26, v20
	v_bfe_u32 v20, v20, 2, 5
	s_delay_alu instid0(VALU_DEP_2) | instskip(NEXT) | instid1(VALU_DEP_2)
	v_and_b32_e32 v26, 3, v26
	v_cmp_eq_u32_e32 vcc_lo, 0, v20
	v_cndmask_b32_e32 v20, v20, v23, vcc_lo
	s_delay_alu instid0(VALU_DEP_3) | instskip(NEXT) | instid1(VALU_DEP_2)
	v_cndmask_b32_e32 v22, v22, v26, vcc_lo
	v_lshl_add_u32 v20, v20, 23, 0x37800000
	s_delay_alu instid0(VALU_DEP_2) | instskip(NEXT) | instid1(VALU_DEP_1)
	v_lshlrev_b32_e32 v22, 21, v22
	v_or3_b32 v20, v14, v20, v22
.LBB6_16028:                            ;   in Loop: Header=BB6_15906 Depth=3
	s_or_b32 exec_lo, exec_lo, s17
	s_delay_alu instid0(VALU_DEP_1) | instskip(SKIP_1) | instid1(VALU_DEP_1)
	v_dual_mul_f32 v14, v15, v20 :: v_dual_mov_b32 v113, 0x80
	s_mov_b32 s17, exec_lo
	v_and_b32_e32 v20, 0x7f800000, v14
	s_delay_alu instid0(VALU_DEP_1)
	v_cmpx_ne_u32_e32 0x7f800000, v20
	s_cbranch_execz .LBB6_16036
; %bb.16029:                            ;   in Loop: Header=BB6_15906 Depth=3
	v_mov_b32_e32 v113, 0
	s_mov_b32 s30, exec_lo
	v_cmpx_ne_u32_e32 0, v14
	s_cbranch_execz .LBB6_16035
; %bb.16030:                            ;   in Loop: Header=BB6_15906 Depth=3
	v_bfe_u32 v20, v14, 23, 8
	s_delay_alu instid0(VALU_DEP_1) | instskip(SKIP_1) | instid1(VALU_DEP_2)
	v_sub_nc_u32_e32 v23, 0x70, v20
	v_cmp_gt_u32_e32 vcc_lo, 0x71, v20
	v_dual_cndmask_b32 v23, 0, v23 :: v_dual_and_b32 v22, 0x7fffff, v14
	s_delay_alu instid0(VALU_DEP_1) | instskip(SKIP_2) | instid1(VALU_DEP_4)
	v_or_b32_e32 v26, 0x800000, v22
	v_cmp_eq_u32_e32 vcc_lo, 0, v20
	v_add_nc_u32_e32 v20, 0xffffff91, v20
	v_cndmask_b32_e64 v23, v23, 0x6f, vcc_lo
	s_delay_alu instid0(VALU_DEP_2) | instskip(SKIP_1) | instid1(VALU_DEP_3)
	v_cndmask_b32_e64 v20, v20, 0xffffff92, vcc_lo
	v_cndmask_b32_e32 v22, v26, v22, vcc_lo
	v_lshl_add_u32 v26, 0x200000, v23, -1
	v_lshlrev_b32_e64 v37, v23, 0x100000
	s_delay_alu instid0(VALU_DEP_3) | instskip(SKIP_1) | instid1(VALU_DEP_4)
	v_lshrrev_b32_e32 v27, v23, v22
	v_add_nc_u32_e32 v23, v23, v20
	v_and_b32_e32 v22, v26, v22
	s_delay_alu instid0(VALU_DEP_3) | instskip(NEXT) | instid1(VALU_DEP_2)
	v_bfe_u32 v36, v27, 21, 1
	v_cmp_eq_u32_e64 s13, v22, v37
	s_delay_alu instid0(VALU_DEP_2) | instskip(NEXT) | instid1(VALU_DEP_1)
	v_add_nc_u32_e32 v26, -1, v36
	v_cndmask_b32_e64 v22, 0, v26, s13
	v_lshrrev_b32_e32 v26, 23, v27
	s_mov_b32 s13, exec_lo
	s_delay_alu instid0(VALU_DEP_2) | instskip(NEXT) | instid1(VALU_DEP_2)
	v_add_nc_u32_e32 v22, v22, v27
	v_xor_b32_e32 v26, 1, v26
	s_delay_alu instid0(VALU_DEP_2) | instskip(NEXT) | instid1(VALU_DEP_1)
	v_and_b32_e32 v20, 0x1fffff, v22
	v_add_nc_u32_e32 v22, v20, v27
                                        ; implicit-def: $vgpr20
	s_delay_alu instid0(VALU_DEP_3)
	v_cmpx_ne_u32_e64 v23, v26
	s_xor_b32 s13, exec_lo, s13
; %bb.16031:                            ;   in Loop: Header=BB6_15906 Depth=3
	s_delay_alu instid0(VALU_DEP_2) | instskip(SKIP_2) | instid1(VALU_DEP_2)
	v_cmp_lt_u32_e32 vcc_lo, 0xffffff, v22
	v_sub_nc_u32_e32 v20, v23, v26
	v_cndmask_b32_e64 v23, 0, 1, vcc_lo
	v_add_co_ci_u32_e32 v20, vcc_lo, 0, v20, vcc_lo
	s_delay_alu instid0(VALU_DEP_2)
	v_lshrrev_b32_e32 v22, v23, v22
; %bb.16032:                            ;   in Loop: Header=BB6_15906 Depth=3
	s_and_not1_saveexec_b32 s13, s13
; %bb.16033:                            ;   in Loop: Header=BB6_15906 Depth=3
	s_delay_alu instid0(VALU_DEP_1)
	v_bfe_u32 v20, v22, 23, 1
; %bb.16034:                            ;   in Loop: Header=BB6_15906 Depth=3
	s_or_b32 exec_lo, exec_lo, s13
	v_lshrrev_b32_e32 v22, 21, v22
	s_delay_alu instid0(VALU_DEP_2) | instskip(SKIP_2) | instid1(VALU_DEP_4)
	v_cmp_gt_i32_e32 vcc_lo, 32, v20
	v_lshrrev_b32_e32 v14, 24, v14
	v_min_i32_e32 v23, 31, v20
	v_cndmask_b32_e32 v22, 3, v22, vcc_lo
	s_delay_alu instid0(VALU_DEP_3) | instskip(NEXT) | instid1(VALU_DEP_3)
	v_and_b32_e32 v14, 0x80, v14
	v_lshlrev_b32_e32 v23, 2, v23
	s_delay_alu instid0(VALU_DEP_3) | instskip(SKIP_1) | instid1(VALU_DEP_2)
	v_and_b32_e32 v26, 3, v22
	v_or_b32_e32 v20, v20, v22
	v_or3_b32 v14, v23, v14, v26
	s_delay_alu instid0(VALU_DEP_2) | instskip(NEXT) | instid1(VALU_DEP_2)
	v_cmp_ne_u32_e32 vcc_lo, 0, v20
	v_cndmask_b32_e32 v113, 0, v14, vcc_lo
.LBB6_16035:                            ;   in Loop: Header=BB6_15906 Depth=3
	s_or_b32 exec_lo, exec_lo, s30
.LBB6_16036:                            ;   in Loop: Header=BB6_15906 Depth=3
	s_delay_alu instid0(SALU_CYCLE_1)
	s_or_b32 exec_lo, exec_lo, s17
	flat_load_u8 v14, v[8:9] offset:320 slc dlc
	s_mov_b32 s13, 0
	s_mov_b32 s30, exec_lo
                                        ; implicit-def: $sgpr17
	s_waitcnt vmcnt(0) lgkmcnt(0)
	v_cmpx_lt_i16_e32 0x7f, v14
	s_xor_b32 s30, exec_lo, s30
	s_cbranch_execnz .LBB6_16853
; %bb.16037:                            ;   in Loop: Header=BB6_15906 Depth=3
	s_or_saveexec_b32 s30, s30
	v_mov_b32_e32 v20, s17
	s_xor_b32 exec_lo, exec_lo, s30
	s_cbranch_execnz .LBB6_16856
.LBB6_16038:                            ;   in Loop: Header=BB6_15906 Depth=3
	s_or_b32 exec_lo, exec_lo, s30
	s_and_saveexec_b32 s17, s13
	s_cbranch_execz .LBB6_16040
.LBB6_16039:                            ;   in Loop: Header=BB6_15906 Depth=3
	v_and_b32_e32 v20, 0xffff, v14
	v_lshlrev_b32_e32 v14, 24, v14
	s_delay_alu instid0(VALU_DEP_2) | instskip(NEXT) | instid1(VALU_DEP_2)
	v_and_b32_e32 v22, 3, v20
	v_and_b32_e32 v14, 0x80000000, v14
	s_delay_alu instid0(VALU_DEP_2) | instskip(NEXT) | instid1(VALU_DEP_1)
	v_clz_i32_u32_e32 v23, v22
	v_min_u32_e32 v23, 32, v23
	s_delay_alu instid0(VALU_DEP_1) | instskip(SKIP_1) | instid1(VALU_DEP_2)
	v_subrev_nc_u32_e32 v26, 29, v23
	v_sub_nc_u32_e32 v23, 30, v23
	v_lshlrev_b32_e32 v26, v26, v20
	v_bfe_u32 v20, v20, 2, 5
	s_delay_alu instid0(VALU_DEP_2) | instskip(NEXT) | instid1(VALU_DEP_2)
	v_and_b32_e32 v26, 3, v26
	v_cmp_eq_u32_e32 vcc_lo, 0, v20
	v_cndmask_b32_e32 v20, v20, v23, vcc_lo
	s_delay_alu instid0(VALU_DEP_3) | instskip(NEXT) | instid1(VALU_DEP_2)
	v_cndmask_b32_e32 v22, v22, v26, vcc_lo
	v_lshl_add_u32 v20, v20, 23, 0x37800000
	s_delay_alu instid0(VALU_DEP_2) | instskip(NEXT) | instid1(VALU_DEP_1)
	v_lshlrev_b32_e32 v22, 21, v22
	v_or3_b32 v20, v14, v20, v22
.LBB6_16040:                            ;   in Loop: Header=BB6_15906 Depth=3
	s_or_b32 exec_lo, exec_lo, s17
	s_delay_alu instid0(VALU_DEP_1) | instskip(SKIP_2) | instid1(VALU_DEP_2)
	v_mul_f32_e32 v14, v15, v20
	v_mov_b32_e32 v44, 0x80
	s_mov_b32 s17, exec_lo
	v_and_b32_e32 v20, 0x7f800000, v14
	s_delay_alu instid0(VALU_DEP_1)
	v_cmpx_ne_u32_e32 0x7f800000, v20
	s_cbranch_execz .LBB6_16048
; %bb.16041:                            ;   in Loop: Header=BB6_15906 Depth=3
	v_mov_b32_e32 v44, 0
	s_mov_b32 s30, exec_lo
	v_cmpx_ne_u32_e32 0, v14
	s_cbranch_execz .LBB6_16047
; %bb.16042:                            ;   in Loop: Header=BB6_15906 Depth=3
	v_bfe_u32 v20, v14, 23, 8
	s_delay_alu instid0(VALU_DEP_1) | instskip(SKIP_1) | instid1(VALU_DEP_2)
	v_sub_nc_u32_e32 v23, 0x70, v20
	v_cmp_gt_u32_e32 vcc_lo, 0x71, v20
	v_dual_cndmask_b32 v23, 0, v23 :: v_dual_and_b32 v22, 0x7fffff, v14
	s_delay_alu instid0(VALU_DEP_1) | instskip(SKIP_2) | instid1(VALU_DEP_4)
	v_or_b32_e32 v26, 0x800000, v22
	v_cmp_eq_u32_e32 vcc_lo, 0, v20
	v_add_nc_u32_e32 v20, 0xffffff91, v20
	v_cndmask_b32_e64 v23, v23, 0x6f, vcc_lo
	s_delay_alu instid0(VALU_DEP_2) | instskip(SKIP_1) | instid1(VALU_DEP_3)
	v_cndmask_b32_e64 v20, v20, 0xffffff92, vcc_lo
	v_cndmask_b32_e32 v22, v26, v22, vcc_lo
	v_lshl_add_u32 v26, 0x200000, v23, -1
	v_lshlrev_b32_e64 v37, v23, 0x100000
	s_delay_alu instid0(VALU_DEP_3) | instskip(SKIP_1) | instid1(VALU_DEP_4)
	v_lshrrev_b32_e32 v27, v23, v22
	v_add_nc_u32_e32 v23, v23, v20
	v_and_b32_e32 v22, v26, v22
	s_delay_alu instid0(VALU_DEP_3) | instskip(NEXT) | instid1(VALU_DEP_2)
	v_bfe_u32 v36, v27, 21, 1
	v_cmp_eq_u32_e64 s13, v22, v37
	s_delay_alu instid0(VALU_DEP_2) | instskip(NEXT) | instid1(VALU_DEP_1)
	v_add_nc_u32_e32 v26, -1, v36
	v_cndmask_b32_e64 v22, 0, v26, s13
	v_lshrrev_b32_e32 v26, 23, v27
	s_mov_b32 s13, exec_lo
	s_delay_alu instid0(VALU_DEP_2) | instskip(NEXT) | instid1(VALU_DEP_2)
	v_add_nc_u32_e32 v22, v22, v27
	v_xor_b32_e32 v26, 1, v26
	s_delay_alu instid0(VALU_DEP_2) | instskip(NEXT) | instid1(VALU_DEP_1)
	v_and_b32_e32 v20, 0x1fffff, v22
	v_add_nc_u32_e32 v22, v20, v27
                                        ; implicit-def: $vgpr20
	s_delay_alu instid0(VALU_DEP_3)
	v_cmpx_ne_u32_e64 v23, v26
	s_xor_b32 s13, exec_lo, s13
; %bb.16043:                            ;   in Loop: Header=BB6_15906 Depth=3
	s_delay_alu instid0(VALU_DEP_2) | instskip(SKIP_2) | instid1(VALU_DEP_2)
	v_cmp_lt_u32_e32 vcc_lo, 0xffffff, v22
	v_sub_nc_u32_e32 v20, v23, v26
	v_cndmask_b32_e64 v23, 0, 1, vcc_lo
	v_add_co_ci_u32_e32 v20, vcc_lo, 0, v20, vcc_lo
	s_delay_alu instid0(VALU_DEP_2)
	v_lshrrev_b32_e32 v22, v23, v22
; %bb.16044:                            ;   in Loop: Header=BB6_15906 Depth=3
	s_and_not1_saveexec_b32 s13, s13
; %bb.16045:                            ;   in Loop: Header=BB6_15906 Depth=3
	s_delay_alu instid0(VALU_DEP_1)
	v_bfe_u32 v20, v22, 23, 1
; %bb.16046:                            ;   in Loop: Header=BB6_15906 Depth=3
	s_or_b32 exec_lo, exec_lo, s13
	v_lshrrev_b32_e32 v22, 21, v22
	s_delay_alu instid0(VALU_DEP_2) | instskip(SKIP_2) | instid1(VALU_DEP_4)
	v_cmp_gt_i32_e32 vcc_lo, 32, v20
	v_lshrrev_b32_e32 v14, 24, v14
	v_min_i32_e32 v23, 31, v20
	v_cndmask_b32_e32 v22, 3, v22, vcc_lo
	s_delay_alu instid0(VALU_DEP_3) | instskip(NEXT) | instid1(VALU_DEP_3)
	v_and_b32_e32 v14, 0x80, v14
	v_lshlrev_b32_e32 v23, 2, v23
	s_delay_alu instid0(VALU_DEP_3) | instskip(SKIP_1) | instid1(VALU_DEP_2)
	v_and_b32_e32 v26, 3, v22
	v_or_b32_e32 v20, v20, v22
	v_or3_b32 v14, v23, v14, v26
	s_delay_alu instid0(VALU_DEP_2) | instskip(NEXT) | instid1(VALU_DEP_2)
	v_cmp_ne_u32_e32 vcc_lo, 0, v20
	v_cndmask_b32_e32 v44, 0, v14, vcc_lo
.LBB6_16047:                            ;   in Loop: Header=BB6_15906 Depth=3
	s_or_b32 exec_lo, exec_lo, s30
.LBB6_16048:                            ;   in Loop: Header=BB6_15906 Depth=3
	s_delay_alu instid0(SALU_CYCLE_1)
	s_or_b32 exec_lo, exec_lo, s17
	flat_load_u8 v14, v[8:9] offset:352 slc dlc
	s_mov_b32 s13, 0
	s_mov_b32 s30, exec_lo
                                        ; implicit-def: $sgpr17
	s_waitcnt vmcnt(0) lgkmcnt(0)
	v_cmpx_lt_i16_e32 0x7f, v14
	s_xor_b32 s30, exec_lo, s30
	s_cbranch_execnz .LBB6_16857
; %bb.16049:                            ;   in Loop: Header=BB6_15906 Depth=3
	s_or_saveexec_b32 s30, s30
	v_mov_b32_e32 v20, s17
	s_xor_b32 exec_lo, exec_lo, s30
	s_cbranch_execnz .LBB6_16860
.LBB6_16050:                            ;   in Loop: Header=BB6_15906 Depth=3
	s_or_b32 exec_lo, exec_lo, s30
	s_and_saveexec_b32 s17, s13
	s_cbranch_execz .LBB6_16052
.LBB6_16051:                            ;   in Loop: Header=BB6_15906 Depth=3
	v_and_b32_e32 v20, 0xffff, v14
	v_lshlrev_b32_e32 v14, 24, v14
	s_delay_alu instid0(VALU_DEP_2) | instskip(NEXT) | instid1(VALU_DEP_2)
	v_and_b32_e32 v22, 3, v20
	v_and_b32_e32 v14, 0x80000000, v14
	s_delay_alu instid0(VALU_DEP_2) | instskip(NEXT) | instid1(VALU_DEP_1)
	v_clz_i32_u32_e32 v23, v22
	v_min_u32_e32 v23, 32, v23
	s_delay_alu instid0(VALU_DEP_1) | instskip(SKIP_1) | instid1(VALU_DEP_2)
	v_subrev_nc_u32_e32 v26, 29, v23
	v_sub_nc_u32_e32 v23, 30, v23
	v_lshlrev_b32_e32 v26, v26, v20
	v_bfe_u32 v20, v20, 2, 5
	s_delay_alu instid0(VALU_DEP_2) | instskip(NEXT) | instid1(VALU_DEP_2)
	v_and_b32_e32 v26, 3, v26
	v_cmp_eq_u32_e32 vcc_lo, 0, v20
	v_cndmask_b32_e32 v20, v20, v23, vcc_lo
	s_delay_alu instid0(VALU_DEP_3) | instskip(NEXT) | instid1(VALU_DEP_2)
	v_cndmask_b32_e32 v22, v22, v26, vcc_lo
	v_lshl_add_u32 v20, v20, 23, 0x37800000
	s_delay_alu instid0(VALU_DEP_2) | instskip(NEXT) | instid1(VALU_DEP_1)
	v_lshlrev_b32_e32 v22, 21, v22
	v_or3_b32 v20, v14, v20, v22
.LBB6_16052:                            ;   in Loop: Header=BB6_15906 Depth=3
	s_or_b32 exec_lo, exec_lo, s17
	s_delay_alu instid0(VALU_DEP_1) | instskip(SKIP_2) | instid1(VALU_DEP_2)
	v_mul_f32_e32 v14, v15, v20
	v_mov_b32_e32 v112, 0x80
	s_mov_b32 s17, exec_lo
	v_and_b32_e32 v20, 0x7f800000, v14
	s_delay_alu instid0(VALU_DEP_1)
	v_cmpx_ne_u32_e32 0x7f800000, v20
	s_cbranch_execz .LBB6_16060
; %bb.16053:                            ;   in Loop: Header=BB6_15906 Depth=3
	v_mov_b32_e32 v112, 0
	s_mov_b32 s30, exec_lo
	v_cmpx_ne_u32_e32 0, v14
	s_cbranch_execz .LBB6_16059
; %bb.16054:                            ;   in Loop: Header=BB6_15906 Depth=3
	v_bfe_u32 v20, v14, 23, 8
	s_delay_alu instid0(VALU_DEP_1) | instskip(SKIP_1) | instid1(VALU_DEP_2)
	v_sub_nc_u32_e32 v23, 0x70, v20
	v_cmp_gt_u32_e32 vcc_lo, 0x71, v20
	v_dual_cndmask_b32 v23, 0, v23 :: v_dual_and_b32 v22, 0x7fffff, v14
	s_delay_alu instid0(VALU_DEP_1) | instskip(SKIP_2) | instid1(VALU_DEP_4)
	v_or_b32_e32 v26, 0x800000, v22
	v_cmp_eq_u32_e32 vcc_lo, 0, v20
	v_add_nc_u32_e32 v20, 0xffffff91, v20
	v_cndmask_b32_e64 v23, v23, 0x6f, vcc_lo
	s_delay_alu instid0(VALU_DEP_2) | instskip(SKIP_1) | instid1(VALU_DEP_3)
	v_cndmask_b32_e64 v20, v20, 0xffffff92, vcc_lo
	v_cndmask_b32_e32 v22, v26, v22, vcc_lo
	v_lshl_add_u32 v26, 0x200000, v23, -1
	v_lshlrev_b32_e64 v37, v23, 0x100000
	s_delay_alu instid0(VALU_DEP_3) | instskip(SKIP_1) | instid1(VALU_DEP_4)
	v_lshrrev_b32_e32 v27, v23, v22
	v_add_nc_u32_e32 v23, v23, v20
	v_and_b32_e32 v22, v26, v22
	s_delay_alu instid0(VALU_DEP_3) | instskip(NEXT) | instid1(VALU_DEP_2)
	v_bfe_u32 v36, v27, 21, 1
	v_cmp_eq_u32_e64 s13, v22, v37
	s_delay_alu instid0(VALU_DEP_2) | instskip(NEXT) | instid1(VALU_DEP_1)
	v_add_nc_u32_e32 v26, -1, v36
	v_cndmask_b32_e64 v22, 0, v26, s13
	v_lshrrev_b32_e32 v26, 23, v27
	s_mov_b32 s13, exec_lo
	s_delay_alu instid0(VALU_DEP_2) | instskip(NEXT) | instid1(VALU_DEP_2)
	v_add_nc_u32_e32 v22, v22, v27
	v_xor_b32_e32 v26, 1, v26
	s_delay_alu instid0(VALU_DEP_2) | instskip(NEXT) | instid1(VALU_DEP_1)
	v_and_b32_e32 v20, 0x1fffff, v22
	v_add_nc_u32_e32 v22, v20, v27
                                        ; implicit-def: $vgpr20
	s_delay_alu instid0(VALU_DEP_3)
	v_cmpx_ne_u32_e64 v23, v26
	s_xor_b32 s13, exec_lo, s13
; %bb.16055:                            ;   in Loop: Header=BB6_15906 Depth=3
	s_delay_alu instid0(VALU_DEP_2) | instskip(SKIP_2) | instid1(VALU_DEP_2)
	v_cmp_lt_u32_e32 vcc_lo, 0xffffff, v22
	v_sub_nc_u32_e32 v20, v23, v26
	v_cndmask_b32_e64 v23, 0, 1, vcc_lo
	v_add_co_ci_u32_e32 v20, vcc_lo, 0, v20, vcc_lo
	s_delay_alu instid0(VALU_DEP_2)
	v_lshrrev_b32_e32 v22, v23, v22
; %bb.16056:                            ;   in Loop: Header=BB6_15906 Depth=3
	s_and_not1_saveexec_b32 s13, s13
; %bb.16057:                            ;   in Loop: Header=BB6_15906 Depth=3
	s_delay_alu instid0(VALU_DEP_1)
	v_bfe_u32 v20, v22, 23, 1
; %bb.16058:                            ;   in Loop: Header=BB6_15906 Depth=3
	s_or_b32 exec_lo, exec_lo, s13
	v_lshrrev_b32_e32 v22, 21, v22
	s_delay_alu instid0(VALU_DEP_2) | instskip(SKIP_2) | instid1(VALU_DEP_4)
	v_cmp_gt_i32_e32 vcc_lo, 32, v20
	v_lshrrev_b32_e32 v14, 24, v14
	v_min_i32_e32 v23, 31, v20
	v_cndmask_b32_e32 v22, 3, v22, vcc_lo
	s_delay_alu instid0(VALU_DEP_3) | instskip(NEXT) | instid1(VALU_DEP_3)
	v_and_b32_e32 v14, 0x80, v14
	v_lshlrev_b32_e32 v23, 2, v23
	s_delay_alu instid0(VALU_DEP_3) | instskip(SKIP_1) | instid1(VALU_DEP_2)
	v_and_b32_e32 v26, 3, v22
	v_or_b32_e32 v20, v20, v22
	v_or3_b32 v14, v23, v14, v26
	s_delay_alu instid0(VALU_DEP_2) | instskip(NEXT) | instid1(VALU_DEP_2)
	v_cmp_ne_u32_e32 vcc_lo, 0, v20
	v_cndmask_b32_e32 v112, 0, v14, vcc_lo
.LBB6_16059:                            ;   in Loop: Header=BB6_15906 Depth=3
	s_or_b32 exec_lo, exec_lo, s30
.LBB6_16060:                            ;   in Loop: Header=BB6_15906 Depth=3
	s_delay_alu instid0(SALU_CYCLE_1)
	s_or_b32 exec_lo, exec_lo, s17
	flat_load_u8 v14, v[8:9] offset:384 slc dlc
	s_mov_b32 s13, 0
	s_mov_b32 s30, exec_lo
                                        ; implicit-def: $sgpr17
	s_waitcnt vmcnt(0) lgkmcnt(0)
	v_cmpx_lt_i16_e32 0x7f, v14
	s_xor_b32 s30, exec_lo, s30
	s_cbranch_execnz .LBB6_16861
; %bb.16061:                            ;   in Loop: Header=BB6_15906 Depth=3
	s_or_saveexec_b32 s30, s30
	v_mov_b32_e32 v20, s17
	s_xor_b32 exec_lo, exec_lo, s30
	s_cbranch_execnz .LBB6_16864
.LBB6_16062:                            ;   in Loop: Header=BB6_15906 Depth=3
	s_or_b32 exec_lo, exec_lo, s30
	s_and_saveexec_b32 s17, s13
	s_cbranch_execz .LBB6_16064
.LBB6_16063:                            ;   in Loop: Header=BB6_15906 Depth=3
	v_and_b32_e32 v20, 0xffff, v14
	v_lshlrev_b32_e32 v14, 24, v14
	s_delay_alu instid0(VALU_DEP_2) | instskip(NEXT) | instid1(VALU_DEP_2)
	v_and_b32_e32 v22, 3, v20
	v_and_b32_e32 v14, 0x80000000, v14
	s_delay_alu instid0(VALU_DEP_2) | instskip(NEXT) | instid1(VALU_DEP_1)
	v_clz_i32_u32_e32 v23, v22
	v_min_u32_e32 v23, 32, v23
	s_delay_alu instid0(VALU_DEP_1) | instskip(SKIP_1) | instid1(VALU_DEP_2)
	v_subrev_nc_u32_e32 v26, 29, v23
	v_sub_nc_u32_e32 v23, 30, v23
	v_lshlrev_b32_e32 v26, v26, v20
	v_bfe_u32 v20, v20, 2, 5
	s_delay_alu instid0(VALU_DEP_2) | instskip(NEXT) | instid1(VALU_DEP_2)
	v_and_b32_e32 v26, 3, v26
	v_cmp_eq_u32_e32 vcc_lo, 0, v20
	v_cndmask_b32_e32 v20, v20, v23, vcc_lo
	s_delay_alu instid0(VALU_DEP_3) | instskip(NEXT) | instid1(VALU_DEP_2)
	v_cndmask_b32_e32 v22, v22, v26, vcc_lo
	v_lshl_add_u32 v20, v20, 23, 0x37800000
	s_delay_alu instid0(VALU_DEP_2) | instskip(NEXT) | instid1(VALU_DEP_1)
	v_lshlrev_b32_e32 v22, 21, v22
	v_or3_b32 v20, v14, v20, v22
.LBB6_16064:                            ;   in Loop: Header=BB6_15906 Depth=3
	s_or_b32 exec_lo, exec_lo, s17
	s_delay_alu instid0(VALU_DEP_1) | instskip(SKIP_1) | instid1(VALU_DEP_1)
	v_dual_mul_f32 v14, v15, v20 :: v_dual_mov_b32 v41, 0x80
	s_mov_b32 s17, exec_lo
	v_and_b32_e32 v20, 0x7f800000, v14
	s_delay_alu instid0(VALU_DEP_1)
	v_cmpx_ne_u32_e32 0x7f800000, v20
	s_cbranch_execz .LBB6_16072
; %bb.16065:                            ;   in Loop: Header=BB6_15906 Depth=3
	v_mov_b32_e32 v41, 0
	s_mov_b32 s30, exec_lo
	v_cmpx_ne_u32_e32 0, v14
	s_cbranch_execz .LBB6_16071
; %bb.16066:                            ;   in Loop: Header=BB6_15906 Depth=3
	v_bfe_u32 v20, v14, 23, 8
	s_delay_alu instid0(VALU_DEP_1) | instskip(SKIP_1) | instid1(VALU_DEP_2)
	v_sub_nc_u32_e32 v23, 0x70, v20
	v_cmp_gt_u32_e32 vcc_lo, 0x71, v20
	v_dual_cndmask_b32 v23, 0, v23 :: v_dual_and_b32 v22, 0x7fffff, v14
	s_delay_alu instid0(VALU_DEP_1) | instskip(SKIP_2) | instid1(VALU_DEP_4)
	v_or_b32_e32 v26, 0x800000, v22
	v_cmp_eq_u32_e32 vcc_lo, 0, v20
	v_add_nc_u32_e32 v20, 0xffffff91, v20
	v_cndmask_b32_e64 v23, v23, 0x6f, vcc_lo
	s_delay_alu instid0(VALU_DEP_2) | instskip(SKIP_1) | instid1(VALU_DEP_3)
	v_cndmask_b32_e64 v20, v20, 0xffffff92, vcc_lo
	v_cndmask_b32_e32 v22, v26, v22, vcc_lo
	v_lshl_add_u32 v26, 0x200000, v23, -1
	v_lshlrev_b32_e64 v37, v23, 0x100000
	s_delay_alu instid0(VALU_DEP_3) | instskip(SKIP_1) | instid1(VALU_DEP_4)
	v_lshrrev_b32_e32 v27, v23, v22
	v_add_nc_u32_e32 v23, v23, v20
	v_and_b32_e32 v22, v26, v22
	s_delay_alu instid0(VALU_DEP_3) | instskip(NEXT) | instid1(VALU_DEP_2)
	v_bfe_u32 v36, v27, 21, 1
	v_cmp_eq_u32_e64 s13, v22, v37
	s_delay_alu instid0(VALU_DEP_2) | instskip(NEXT) | instid1(VALU_DEP_1)
	v_add_nc_u32_e32 v26, -1, v36
	v_cndmask_b32_e64 v22, 0, v26, s13
	v_lshrrev_b32_e32 v26, 23, v27
	s_mov_b32 s13, exec_lo
	s_delay_alu instid0(VALU_DEP_2) | instskip(NEXT) | instid1(VALU_DEP_2)
	v_add_nc_u32_e32 v22, v22, v27
	v_xor_b32_e32 v26, 1, v26
	s_delay_alu instid0(VALU_DEP_2) | instskip(NEXT) | instid1(VALU_DEP_1)
	v_and_b32_e32 v20, 0x1fffff, v22
	v_add_nc_u32_e32 v22, v20, v27
                                        ; implicit-def: $vgpr20
	s_delay_alu instid0(VALU_DEP_3)
	v_cmpx_ne_u32_e64 v23, v26
	s_xor_b32 s13, exec_lo, s13
; %bb.16067:                            ;   in Loop: Header=BB6_15906 Depth=3
	s_delay_alu instid0(VALU_DEP_2) | instskip(SKIP_2) | instid1(VALU_DEP_2)
	v_cmp_lt_u32_e32 vcc_lo, 0xffffff, v22
	v_sub_nc_u32_e32 v20, v23, v26
	v_cndmask_b32_e64 v23, 0, 1, vcc_lo
	v_add_co_ci_u32_e32 v20, vcc_lo, 0, v20, vcc_lo
	s_delay_alu instid0(VALU_DEP_2)
	v_lshrrev_b32_e32 v22, v23, v22
; %bb.16068:                            ;   in Loop: Header=BB6_15906 Depth=3
	s_and_not1_saveexec_b32 s13, s13
; %bb.16069:                            ;   in Loop: Header=BB6_15906 Depth=3
	s_delay_alu instid0(VALU_DEP_1)
	v_bfe_u32 v20, v22, 23, 1
; %bb.16070:                            ;   in Loop: Header=BB6_15906 Depth=3
	s_or_b32 exec_lo, exec_lo, s13
	v_lshrrev_b32_e32 v22, 21, v22
	s_delay_alu instid0(VALU_DEP_2) | instskip(SKIP_2) | instid1(VALU_DEP_4)
	v_cmp_gt_i32_e32 vcc_lo, 32, v20
	v_lshrrev_b32_e32 v14, 24, v14
	v_min_i32_e32 v23, 31, v20
	v_cndmask_b32_e32 v22, 3, v22, vcc_lo
	s_delay_alu instid0(VALU_DEP_3) | instskip(NEXT) | instid1(VALU_DEP_3)
	v_and_b32_e32 v14, 0x80, v14
	v_lshlrev_b32_e32 v23, 2, v23
	s_delay_alu instid0(VALU_DEP_3) | instskip(SKIP_1) | instid1(VALU_DEP_2)
	v_and_b32_e32 v26, 3, v22
	v_or_b32_e32 v20, v20, v22
	v_or3_b32 v14, v23, v14, v26
	s_delay_alu instid0(VALU_DEP_2) | instskip(NEXT) | instid1(VALU_DEP_2)
	v_cmp_ne_u32_e32 vcc_lo, 0, v20
	v_cndmask_b32_e32 v41, 0, v14, vcc_lo
.LBB6_16071:                            ;   in Loop: Header=BB6_15906 Depth=3
	s_or_b32 exec_lo, exec_lo, s30
.LBB6_16072:                            ;   in Loop: Header=BB6_15906 Depth=3
	s_delay_alu instid0(SALU_CYCLE_1)
	s_or_b32 exec_lo, exec_lo, s17
	flat_load_u8 v14, v[8:9] offset:416 slc dlc
	s_mov_b32 s13, 0
	s_mov_b32 s30, exec_lo
                                        ; implicit-def: $sgpr17
	s_waitcnt vmcnt(0) lgkmcnt(0)
	v_cmpx_lt_i16_e32 0x7f, v14
	s_xor_b32 s30, exec_lo, s30
	s_cbranch_execnz .LBB6_16865
; %bb.16073:                            ;   in Loop: Header=BB6_15906 Depth=3
	s_or_saveexec_b32 s30, s30
	v_mov_b32_e32 v20, s17
	s_xor_b32 exec_lo, exec_lo, s30
	s_cbranch_execnz .LBB6_16868
.LBB6_16074:                            ;   in Loop: Header=BB6_15906 Depth=3
	s_or_b32 exec_lo, exec_lo, s30
	s_and_saveexec_b32 s17, s13
	s_cbranch_execz .LBB6_16076
.LBB6_16075:                            ;   in Loop: Header=BB6_15906 Depth=3
	v_and_b32_e32 v20, 0xffff, v14
	v_lshlrev_b32_e32 v14, 24, v14
	s_delay_alu instid0(VALU_DEP_2) | instskip(NEXT) | instid1(VALU_DEP_2)
	v_and_b32_e32 v22, 3, v20
	v_and_b32_e32 v14, 0x80000000, v14
	s_delay_alu instid0(VALU_DEP_2) | instskip(NEXT) | instid1(VALU_DEP_1)
	v_clz_i32_u32_e32 v23, v22
	v_min_u32_e32 v23, 32, v23
	s_delay_alu instid0(VALU_DEP_1) | instskip(SKIP_1) | instid1(VALU_DEP_2)
	v_subrev_nc_u32_e32 v26, 29, v23
	v_sub_nc_u32_e32 v23, 30, v23
	v_lshlrev_b32_e32 v26, v26, v20
	v_bfe_u32 v20, v20, 2, 5
	s_delay_alu instid0(VALU_DEP_2) | instskip(NEXT) | instid1(VALU_DEP_2)
	v_and_b32_e32 v26, 3, v26
	v_cmp_eq_u32_e32 vcc_lo, 0, v20
	v_cndmask_b32_e32 v20, v20, v23, vcc_lo
	s_delay_alu instid0(VALU_DEP_3) | instskip(NEXT) | instid1(VALU_DEP_2)
	v_cndmask_b32_e32 v22, v22, v26, vcc_lo
	v_lshl_add_u32 v20, v20, 23, 0x37800000
	s_delay_alu instid0(VALU_DEP_2) | instskip(NEXT) | instid1(VALU_DEP_1)
	v_lshlrev_b32_e32 v22, 21, v22
	v_or3_b32 v20, v14, v20, v22
.LBB6_16076:                            ;   in Loop: Header=BB6_15906 Depth=3
	s_or_b32 exec_lo, exec_lo, s17
	s_delay_alu instid0(VALU_DEP_1) | instskip(SKIP_2) | instid1(VALU_DEP_2)
	v_mul_f32_e32 v14, v15, v20
	v_mov_b32_e32 v102, 0x80
	s_mov_b32 s17, exec_lo
	v_and_b32_e32 v20, 0x7f800000, v14
	s_delay_alu instid0(VALU_DEP_1)
	v_cmpx_ne_u32_e32 0x7f800000, v20
	s_cbranch_execz .LBB6_16084
; %bb.16077:                            ;   in Loop: Header=BB6_15906 Depth=3
	v_mov_b32_e32 v102, 0
	s_mov_b32 s30, exec_lo
	v_cmpx_ne_u32_e32 0, v14
	s_cbranch_execz .LBB6_16083
; %bb.16078:                            ;   in Loop: Header=BB6_15906 Depth=3
	v_bfe_u32 v20, v14, 23, 8
	s_delay_alu instid0(VALU_DEP_1) | instskip(SKIP_1) | instid1(VALU_DEP_2)
	v_sub_nc_u32_e32 v23, 0x70, v20
	v_cmp_gt_u32_e32 vcc_lo, 0x71, v20
	v_dual_cndmask_b32 v23, 0, v23 :: v_dual_and_b32 v22, 0x7fffff, v14
	s_delay_alu instid0(VALU_DEP_1) | instskip(SKIP_2) | instid1(VALU_DEP_4)
	v_or_b32_e32 v26, 0x800000, v22
	v_cmp_eq_u32_e32 vcc_lo, 0, v20
	v_add_nc_u32_e32 v20, 0xffffff91, v20
	v_cndmask_b32_e64 v23, v23, 0x6f, vcc_lo
	s_delay_alu instid0(VALU_DEP_2) | instskip(SKIP_1) | instid1(VALU_DEP_3)
	v_cndmask_b32_e64 v20, v20, 0xffffff92, vcc_lo
	v_cndmask_b32_e32 v22, v26, v22, vcc_lo
	v_lshl_add_u32 v26, 0x200000, v23, -1
	v_lshlrev_b32_e64 v37, v23, 0x100000
	s_delay_alu instid0(VALU_DEP_3) | instskip(SKIP_1) | instid1(VALU_DEP_4)
	v_lshrrev_b32_e32 v27, v23, v22
	v_add_nc_u32_e32 v23, v23, v20
	v_and_b32_e32 v22, v26, v22
	s_delay_alu instid0(VALU_DEP_3) | instskip(NEXT) | instid1(VALU_DEP_2)
	v_bfe_u32 v36, v27, 21, 1
	v_cmp_eq_u32_e64 s13, v22, v37
	s_delay_alu instid0(VALU_DEP_2) | instskip(NEXT) | instid1(VALU_DEP_1)
	v_add_nc_u32_e32 v26, -1, v36
	v_cndmask_b32_e64 v22, 0, v26, s13
	v_lshrrev_b32_e32 v26, 23, v27
	s_mov_b32 s13, exec_lo
	s_delay_alu instid0(VALU_DEP_2) | instskip(NEXT) | instid1(VALU_DEP_2)
	v_add_nc_u32_e32 v22, v22, v27
	v_xor_b32_e32 v26, 1, v26
	s_delay_alu instid0(VALU_DEP_2) | instskip(NEXT) | instid1(VALU_DEP_1)
	v_and_b32_e32 v20, 0x1fffff, v22
	v_add_nc_u32_e32 v22, v20, v27
                                        ; implicit-def: $vgpr20
	s_delay_alu instid0(VALU_DEP_3)
	v_cmpx_ne_u32_e64 v23, v26
	s_xor_b32 s13, exec_lo, s13
; %bb.16079:                            ;   in Loop: Header=BB6_15906 Depth=3
	s_delay_alu instid0(VALU_DEP_2) | instskip(SKIP_2) | instid1(VALU_DEP_2)
	v_cmp_lt_u32_e32 vcc_lo, 0xffffff, v22
	v_sub_nc_u32_e32 v20, v23, v26
	v_cndmask_b32_e64 v23, 0, 1, vcc_lo
	v_add_co_ci_u32_e32 v20, vcc_lo, 0, v20, vcc_lo
	s_delay_alu instid0(VALU_DEP_2)
	v_lshrrev_b32_e32 v22, v23, v22
; %bb.16080:                            ;   in Loop: Header=BB6_15906 Depth=3
	s_and_not1_saveexec_b32 s13, s13
; %bb.16081:                            ;   in Loop: Header=BB6_15906 Depth=3
	s_delay_alu instid0(VALU_DEP_1)
	v_bfe_u32 v20, v22, 23, 1
; %bb.16082:                            ;   in Loop: Header=BB6_15906 Depth=3
	s_or_b32 exec_lo, exec_lo, s13
	v_lshrrev_b32_e32 v22, 21, v22
	s_delay_alu instid0(VALU_DEP_2) | instskip(SKIP_2) | instid1(VALU_DEP_4)
	v_cmp_gt_i32_e32 vcc_lo, 32, v20
	v_lshrrev_b32_e32 v14, 24, v14
	v_min_i32_e32 v23, 31, v20
	v_cndmask_b32_e32 v22, 3, v22, vcc_lo
	s_delay_alu instid0(VALU_DEP_3) | instskip(NEXT) | instid1(VALU_DEP_3)
	v_and_b32_e32 v14, 0x80, v14
	v_lshlrev_b32_e32 v23, 2, v23
	s_delay_alu instid0(VALU_DEP_3) | instskip(SKIP_1) | instid1(VALU_DEP_2)
	v_and_b32_e32 v26, 3, v22
	v_or_b32_e32 v20, v20, v22
	v_or3_b32 v14, v23, v14, v26
	s_delay_alu instid0(VALU_DEP_2) | instskip(NEXT) | instid1(VALU_DEP_2)
	v_cmp_ne_u32_e32 vcc_lo, 0, v20
	v_cndmask_b32_e32 v102, 0, v14, vcc_lo
.LBB6_16083:                            ;   in Loop: Header=BB6_15906 Depth=3
	s_or_b32 exec_lo, exec_lo, s30
.LBB6_16084:                            ;   in Loop: Header=BB6_15906 Depth=3
	s_delay_alu instid0(SALU_CYCLE_1)
	s_or_b32 exec_lo, exec_lo, s17
	flat_load_u8 v14, v[8:9] offset:448 slc dlc
	s_mov_b32 s13, 0
	s_mov_b32 s30, exec_lo
                                        ; implicit-def: $sgpr17
	s_waitcnt vmcnt(0) lgkmcnt(0)
	v_cmpx_lt_i16_e32 0x7f, v14
	s_xor_b32 s30, exec_lo, s30
	s_cbranch_execnz .LBB6_16869
; %bb.16085:                            ;   in Loop: Header=BB6_15906 Depth=3
	s_or_saveexec_b32 s30, s30
	v_mov_b32_e32 v20, s17
	s_xor_b32 exec_lo, exec_lo, s30
	s_cbranch_execnz .LBB6_16872
.LBB6_16086:                            ;   in Loop: Header=BB6_15906 Depth=3
	s_or_b32 exec_lo, exec_lo, s30
	s_and_saveexec_b32 s17, s13
	s_cbranch_execz .LBB6_16088
.LBB6_16087:                            ;   in Loop: Header=BB6_15906 Depth=3
	v_and_b32_e32 v20, 0xffff, v14
	v_lshlrev_b32_e32 v14, 24, v14
	s_delay_alu instid0(VALU_DEP_2) | instskip(NEXT) | instid1(VALU_DEP_2)
	v_and_b32_e32 v22, 3, v20
	v_and_b32_e32 v14, 0x80000000, v14
	s_delay_alu instid0(VALU_DEP_2) | instskip(NEXT) | instid1(VALU_DEP_1)
	v_clz_i32_u32_e32 v23, v22
	v_min_u32_e32 v23, 32, v23
	s_delay_alu instid0(VALU_DEP_1) | instskip(SKIP_1) | instid1(VALU_DEP_2)
	v_subrev_nc_u32_e32 v26, 29, v23
	v_sub_nc_u32_e32 v23, 30, v23
	v_lshlrev_b32_e32 v26, v26, v20
	v_bfe_u32 v20, v20, 2, 5
	s_delay_alu instid0(VALU_DEP_2) | instskip(NEXT) | instid1(VALU_DEP_2)
	v_and_b32_e32 v26, 3, v26
	v_cmp_eq_u32_e32 vcc_lo, 0, v20
	v_cndmask_b32_e32 v20, v20, v23, vcc_lo
	s_delay_alu instid0(VALU_DEP_3) | instskip(NEXT) | instid1(VALU_DEP_2)
	v_cndmask_b32_e32 v22, v22, v26, vcc_lo
	v_lshl_add_u32 v20, v20, 23, 0x37800000
	s_delay_alu instid0(VALU_DEP_2) | instskip(NEXT) | instid1(VALU_DEP_1)
	v_lshlrev_b32_e32 v22, 21, v22
	v_or3_b32 v20, v14, v20, v22
.LBB6_16088:                            ;   in Loop: Header=BB6_15906 Depth=3
	s_or_b32 exec_lo, exec_lo, s17
	s_delay_alu instid0(VALU_DEP_1) | instskip(SKIP_2) | instid1(VALU_DEP_2)
	v_mul_f32_e32 v14, v15, v20
	v_mov_b32_e32 v182, 0x80
	s_mov_b32 s17, exec_lo
	v_and_b32_e32 v20, 0x7f800000, v14
	s_delay_alu instid0(VALU_DEP_1)
	v_cmpx_ne_u32_e32 0x7f800000, v20
	s_cbranch_execz .LBB6_16096
; %bb.16089:                            ;   in Loop: Header=BB6_15906 Depth=3
	v_mov_b32_e32 v182, 0
	s_mov_b32 s30, exec_lo
	v_cmpx_ne_u32_e32 0, v14
	s_cbranch_execz .LBB6_16095
; %bb.16090:                            ;   in Loop: Header=BB6_15906 Depth=3
	v_bfe_u32 v20, v14, 23, 8
	s_delay_alu instid0(VALU_DEP_1) | instskip(SKIP_1) | instid1(VALU_DEP_2)
	v_sub_nc_u32_e32 v23, 0x70, v20
	v_cmp_gt_u32_e32 vcc_lo, 0x71, v20
	v_dual_cndmask_b32 v23, 0, v23 :: v_dual_and_b32 v22, 0x7fffff, v14
	s_delay_alu instid0(VALU_DEP_1) | instskip(SKIP_2) | instid1(VALU_DEP_4)
	v_or_b32_e32 v26, 0x800000, v22
	v_cmp_eq_u32_e32 vcc_lo, 0, v20
	v_add_nc_u32_e32 v20, 0xffffff91, v20
	v_cndmask_b32_e64 v23, v23, 0x6f, vcc_lo
	s_delay_alu instid0(VALU_DEP_2) | instskip(SKIP_1) | instid1(VALU_DEP_3)
	v_cndmask_b32_e64 v20, v20, 0xffffff92, vcc_lo
	v_cndmask_b32_e32 v22, v26, v22, vcc_lo
	v_lshl_add_u32 v26, 0x200000, v23, -1
	v_lshlrev_b32_e64 v37, v23, 0x100000
	s_delay_alu instid0(VALU_DEP_3) | instskip(SKIP_1) | instid1(VALU_DEP_4)
	v_lshrrev_b32_e32 v27, v23, v22
	v_add_nc_u32_e32 v23, v23, v20
	v_and_b32_e32 v22, v26, v22
	s_delay_alu instid0(VALU_DEP_3) | instskip(NEXT) | instid1(VALU_DEP_2)
	v_bfe_u32 v36, v27, 21, 1
	v_cmp_eq_u32_e64 s13, v22, v37
	s_delay_alu instid0(VALU_DEP_2) | instskip(NEXT) | instid1(VALU_DEP_1)
	v_add_nc_u32_e32 v26, -1, v36
	v_cndmask_b32_e64 v22, 0, v26, s13
	v_lshrrev_b32_e32 v26, 23, v27
	s_mov_b32 s13, exec_lo
	s_delay_alu instid0(VALU_DEP_2) | instskip(NEXT) | instid1(VALU_DEP_2)
	v_add_nc_u32_e32 v22, v22, v27
	v_xor_b32_e32 v26, 1, v26
	s_delay_alu instid0(VALU_DEP_2) | instskip(NEXT) | instid1(VALU_DEP_1)
	v_and_b32_e32 v20, 0x1fffff, v22
	v_add_nc_u32_e32 v22, v20, v27
                                        ; implicit-def: $vgpr20
	s_delay_alu instid0(VALU_DEP_3)
	v_cmpx_ne_u32_e64 v23, v26
	s_xor_b32 s13, exec_lo, s13
; %bb.16091:                            ;   in Loop: Header=BB6_15906 Depth=3
	s_delay_alu instid0(VALU_DEP_2) | instskip(SKIP_2) | instid1(VALU_DEP_2)
	v_cmp_lt_u32_e32 vcc_lo, 0xffffff, v22
	v_sub_nc_u32_e32 v20, v23, v26
	v_cndmask_b32_e64 v23, 0, 1, vcc_lo
	v_add_co_ci_u32_e32 v20, vcc_lo, 0, v20, vcc_lo
	s_delay_alu instid0(VALU_DEP_2)
	v_lshrrev_b32_e32 v22, v23, v22
; %bb.16092:                            ;   in Loop: Header=BB6_15906 Depth=3
	s_and_not1_saveexec_b32 s13, s13
; %bb.16093:                            ;   in Loop: Header=BB6_15906 Depth=3
	s_delay_alu instid0(VALU_DEP_1)
	v_bfe_u32 v20, v22, 23, 1
; %bb.16094:                            ;   in Loop: Header=BB6_15906 Depth=3
	s_or_b32 exec_lo, exec_lo, s13
	v_lshrrev_b32_e32 v22, 21, v22
	s_delay_alu instid0(VALU_DEP_2) | instskip(SKIP_2) | instid1(VALU_DEP_4)
	v_cmp_gt_i32_e32 vcc_lo, 32, v20
	v_lshrrev_b32_e32 v14, 24, v14
	v_min_i32_e32 v23, 31, v20
	v_cndmask_b32_e32 v22, 3, v22, vcc_lo
	s_delay_alu instid0(VALU_DEP_3) | instskip(NEXT) | instid1(VALU_DEP_3)
	v_and_b32_e32 v14, 0x80, v14
	v_lshlrev_b32_e32 v23, 2, v23
	s_delay_alu instid0(VALU_DEP_3) | instskip(SKIP_1) | instid1(VALU_DEP_2)
	v_and_b32_e32 v26, 3, v22
	v_or_b32_e32 v20, v20, v22
	v_or3_b32 v14, v23, v14, v26
	s_delay_alu instid0(VALU_DEP_2) | instskip(NEXT) | instid1(VALU_DEP_2)
	v_cmp_ne_u32_e32 vcc_lo, 0, v20
	v_cndmask_b32_e32 v182, 0, v14, vcc_lo
.LBB6_16095:                            ;   in Loop: Header=BB6_15906 Depth=3
	s_or_b32 exec_lo, exec_lo, s30
.LBB6_16096:                            ;   in Loop: Header=BB6_15906 Depth=3
	s_delay_alu instid0(SALU_CYCLE_1)
	s_or_b32 exec_lo, exec_lo, s17
	flat_load_u8 v14, v[8:9] offset:480 slc dlc
	s_mov_b32 s13, 0
	s_mov_b32 s30, exec_lo
                                        ; implicit-def: $sgpr17
	s_waitcnt vmcnt(0) lgkmcnt(0)
	v_cmpx_lt_i16_e32 0x7f, v14
	s_xor_b32 s30, exec_lo, s30
	s_cbranch_execnz .LBB6_16873
; %bb.16097:                            ;   in Loop: Header=BB6_15906 Depth=3
	s_or_saveexec_b32 s30, s30
	v_mov_b32_e32 v20, s17
	s_xor_b32 exec_lo, exec_lo, s30
	s_cbranch_execnz .LBB6_16876
.LBB6_16098:                            ;   in Loop: Header=BB6_15906 Depth=3
	s_or_b32 exec_lo, exec_lo, s30
	s_and_saveexec_b32 s17, s13
	s_cbranch_execz .LBB6_16100
.LBB6_16099:                            ;   in Loop: Header=BB6_15906 Depth=3
	v_and_b32_e32 v20, 0xffff, v14
	v_lshlrev_b32_e32 v14, 24, v14
	s_delay_alu instid0(VALU_DEP_2) | instskip(NEXT) | instid1(VALU_DEP_2)
	v_and_b32_e32 v22, 3, v20
	v_and_b32_e32 v14, 0x80000000, v14
	s_delay_alu instid0(VALU_DEP_2) | instskip(NEXT) | instid1(VALU_DEP_1)
	v_clz_i32_u32_e32 v23, v22
	v_min_u32_e32 v23, 32, v23
	s_delay_alu instid0(VALU_DEP_1) | instskip(SKIP_1) | instid1(VALU_DEP_2)
	v_subrev_nc_u32_e32 v26, 29, v23
	v_sub_nc_u32_e32 v23, 30, v23
	v_lshlrev_b32_e32 v26, v26, v20
	v_bfe_u32 v20, v20, 2, 5
	s_delay_alu instid0(VALU_DEP_2) | instskip(NEXT) | instid1(VALU_DEP_2)
	v_and_b32_e32 v26, 3, v26
	v_cmp_eq_u32_e32 vcc_lo, 0, v20
	v_cndmask_b32_e32 v20, v20, v23, vcc_lo
	s_delay_alu instid0(VALU_DEP_3) | instskip(NEXT) | instid1(VALU_DEP_2)
	v_cndmask_b32_e32 v22, v22, v26, vcc_lo
	v_lshl_add_u32 v20, v20, 23, 0x37800000
	s_delay_alu instid0(VALU_DEP_2) | instskip(NEXT) | instid1(VALU_DEP_1)
	v_lshlrev_b32_e32 v22, 21, v22
	v_or3_b32 v20, v14, v20, v22
.LBB6_16100:                            ;   in Loop: Header=BB6_15906 Depth=3
	s_or_b32 exec_lo, exec_lo, s17
	s_delay_alu instid0(VALU_DEP_1) | instskip(SKIP_1) | instid1(VALU_DEP_1)
	v_dual_mul_f32 v14, v15, v20 :: v_dual_mov_b32 v55, 0x80
	s_mov_b32 s17, exec_lo
	v_and_b32_e32 v20, 0x7f800000, v14
	s_delay_alu instid0(VALU_DEP_1)
	v_cmpx_ne_u32_e32 0x7f800000, v20
	s_cbranch_execz .LBB6_16108
; %bb.16101:                            ;   in Loop: Header=BB6_15906 Depth=3
	v_mov_b32_e32 v55, 0
	s_mov_b32 s30, exec_lo
	v_cmpx_ne_u32_e32 0, v14
	s_cbranch_execz .LBB6_16107
; %bb.16102:                            ;   in Loop: Header=BB6_15906 Depth=3
	v_bfe_u32 v20, v14, 23, 8
	s_delay_alu instid0(VALU_DEP_1) | instskip(SKIP_1) | instid1(VALU_DEP_2)
	v_sub_nc_u32_e32 v23, 0x70, v20
	v_cmp_gt_u32_e32 vcc_lo, 0x71, v20
	v_dual_cndmask_b32 v23, 0, v23 :: v_dual_and_b32 v22, 0x7fffff, v14
	s_delay_alu instid0(VALU_DEP_1) | instskip(SKIP_2) | instid1(VALU_DEP_4)
	v_or_b32_e32 v26, 0x800000, v22
	v_cmp_eq_u32_e32 vcc_lo, 0, v20
	v_add_nc_u32_e32 v20, 0xffffff91, v20
	v_cndmask_b32_e64 v23, v23, 0x6f, vcc_lo
	s_delay_alu instid0(VALU_DEP_2) | instskip(SKIP_1) | instid1(VALU_DEP_3)
	v_cndmask_b32_e64 v20, v20, 0xffffff92, vcc_lo
	v_cndmask_b32_e32 v22, v26, v22, vcc_lo
	v_lshl_add_u32 v26, 0x200000, v23, -1
	v_lshlrev_b32_e64 v37, v23, 0x100000
	s_delay_alu instid0(VALU_DEP_3) | instskip(SKIP_1) | instid1(VALU_DEP_4)
	v_lshrrev_b32_e32 v27, v23, v22
	v_add_nc_u32_e32 v23, v23, v20
	v_and_b32_e32 v22, v26, v22
	s_delay_alu instid0(VALU_DEP_3) | instskip(NEXT) | instid1(VALU_DEP_2)
	v_bfe_u32 v36, v27, 21, 1
	v_cmp_eq_u32_e64 s13, v22, v37
	s_delay_alu instid0(VALU_DEP_2) | instskip(NEXT) | instid1(VALU_DEP_1)
	v_add_nc_u32_e32 v26, -1, v36
	v_cndmask_b32_e64 v22, 0, v26, s13
	v_lshrrev_b32_e32 v26, 23, v27
	s_mov_b32 s13, exec_lo
	s_delay_alu instid0(VALU_DEP_2) | instskip(NEXT) | instid1(VALU_DEP_2)
	v_add_nc_u32_e32 v22, v22, v27
	v_xor_b32_e32 v26, 1, v26
	s_delay_alu instid0(VALU_DEP_2) | instskip(NEXT) | instid1(VALU_DEP_1)
	v_and_b32_e32 v20, 0x1fffff, v22
	v_add_nc_u32_e32 v22, v20, v27
                                        ; implicit-def: $vgpr20
	s_delay_alu instid0(VALU_DEP_3)
	v_cmpx_ne_u32_e64 v23, v26
	s_xor_b32 s13, exec_lo, s13
; %bb.16103:                            ;   in Loop: Header=BB6_15906 Depth=3
	s_delay_alu instid0(VALU_DEP_2) | instskip(SKIP_2) | instid1(VALU_DEP_2)
	v_cmp_lt_u32_e32 vcc_lo, 0xffffff, v22
	v_sub_nc_u32_e32 v20, v23, v26
	v_cndmask_b32_e64 v23, 0, 1, vcc_lo
	v_add_co_ci_u32_e32 v20, vcc_lo, 0, v20, vcc_lo
	s_delay_alu instid0(VALU_DEP_2)
	v_lshrrev_b32_e32 v22, v23, v22
; %bb.16104:                            ;   in Loop: Header=BB6_15906 Depth=3
	s_and_not1_saveexec_b32 s13, s13
; %bb.16105:                            ;   in Loop: Header=BB6_15906 Depth=3
	s_delay_alu instid0(VALU_DEP_1)
	v_bfe_u32 v20, v22, 23, 1
; %bb.16106:                            ;   in Loop: Header=BB6_15906 Depth=3
	s_or_b32 exec_lo, exec_lo, s13
	v_lshrrev_b32_e32 v22, 21, v22
	s_delay_alu instid0(VALU_DEP_2) | instskip(SKIP_2) | instid1(VALU_DEP_4)
	v_cmp_gt_i32_e32 vcc_lo, 32, v20
	v_lshrrev_b32_e32 v14, 24, v14
	v_min_i32_e32 v23, 31, v20
	v_cndmask_b32_e32 v22, 3, v22, vcc_lo
	s_delay_alu instid0(VALU_DEP_3) | instskip(NEXT) | instid1(VALU_DEP_3)
	v_and_b32_e32 v14, 0x80, v14
	v_lshlrev_b32_e32 v23, 2, v23
	s_delay_alu instid0(VALU_DEP_3) | instskip(SKIP_1) | instid1(VALU_DEP_2)
	v_and_b32_e32 v26, 3, v22
	v_or_b32_e32 v20, v20, v22
	v_or3_b32 v14, v23, v14, v26
	s_delay_alu instid0(VALU_DEP_2) | instskip(NEXT) | instid1(VALU_DEP_2)
	v_cmp_ne_u32_e32 vcc_lo, 0, v20
	v_cndmask_b32_e32 v55, 0, v14, vcc_lo
.LBB6_16107:                            ;   in Loop: Header=BB6_15906 Depth=3
	s_or_b32 exec_lo, exec_lo, s30
.LBB6_16108:                            ;   in Loop: Header=BB6_15906 Depth=3
	s_delay_alu instid0(SALU_CYCLE_1)
	s_or_b32 exec_lo, exec_lo, s17
	flat_load_u8 v14, v[8:9] offset:512 slc dlc
	s_mov_b32 s13, 0
	s_mov_b32 s30, exec_lo
                                        ; implicit-def: $sgpr17
	s_waitcnt vmcnt(0) lgkmcnt(0)
	v_cmpx_lt_i16_e32 0x7f, v14
	s_xor_b32 s30, exec_lo, s30
	s_cbranch_execnz .LBB6_16877
; %bb.16109:                            ;   in Loop: Header=BB6_15906 Depth=3
	s_or_saveexec_b32 s30, s30
	v_mov_b32_e32 v20, s17
	s_xor_b32 exec_lo, exec_lo, s30
	s_cbranch_execnz .LBB6_16880
.LBB6_16110:                            ;   in Loop: Header=BB6_15906 Depth=3
	s_or_b32 exec_lo, exec_lo, s30
	s_and_saveexec_b32 s17, s13
	s_cbranch_execz .LBB6_16112
.LBB6_16111:                            ;   in Loop: Header=BB6_15906 Depth=3
	v_and_b32_e32 v20, 0xffff, v14
	v_lshlrev_b32_e32 v14, 24, v14
	s_delay_alu instid0(VALU_DEP_2) | instskip(NEXT) | instid1(VALU_DEP_2)
	v_and_b32_e32 v22, 3, v20
	v_and_b32_e32 v14, 0x80000000, v14
	s_delay_alu instid0(VALU_DEP_2) | instskip(NEXT) | instid1(VALU_DEP_1)
	v_clz_i32_u32_e32 v23, v22
	v_min_u32_e32 v23, 32, v23
	s_delay_alu instid0(VALU_DEP_1) | instskip(SKIP_1) | instid1(VALU_DEP_2)
	v_subrev_nc_u32_e32 v26, 29, v23
	v_sub_nc_u32_e32 v23, 30, v23
	v_lshlrev_b32_e32 v26, v26, v20
	v_bfe_u32 v20, v20, 2, 5
	s_delay_alu instid0(VALU_DEP_2) | instskip(NEXT) | instid1(VALU_DEP_2)
	v_and_b32_e32 v26, 3, v26
	v_cmp_eq_u32_e32 vcc_lo, 0, v20
	v_cndmask_b32_e32 v20, v20, v23, vcc_lo
	s_delay_alu instid0(VALU_DEP_3) | instskip(NEXT) | instid1(VALU_DEP_2)
	v_cndmask_b32_e32 v22, v22, v26, vcc_lo
	v_lshl_add_u32 v20, v20, 23, 0x37800000
	s_delay_alu instid0(VALU_DEP_2) | instskip(NEXT) | instid1(VALU_DEP_1)
	v_lshlrev_b32_e32 v22, 21, v22
	v_or3_b32 v20, v14, v20, v22
.LBB6_16112:                            ;   in Loop: Header=BB6_15906 Depth=3
	s_or_b32 exec_lo, exec_lo, s17
	s_delay_alu instid0(VALU_DEP_1) | instskip(SKIP_2) | instid1(VALU_DEP_2)
	v_mul_f32_e32 v14, v15, v20
	v_mov_b32_e32 v178, 0x80
	s_mov_b32 s17, exec_lo
	v_and_b32_e32 v20, 0x7f800000, v14
	s_delay_alu instid0(VALU_DEP_1)
	v_cmpx_ne_u32_e32 0x7f800000, v20
	s_cbranch_execz .LBB6_16120
; %bb.16113:                            ;   in Loop: Header=BB6_15906 Depth=3
	v_mov_b32_e32 v178, 0
	s_mov_b32 s30, exec_lo
	v_cmpx_ne_u32_e32 0, v14
	s_cbranch_execz .LBB6_16119
; %bb.16114:                            ;   in Loop: Header=BB6_15906 Depth=3
	v_bfe_u32 v20, v14, 23, 8
	s_delay_alu instid0(VALU_DEP_1) | instskip(SKIP_1) | instid1(VALU_DEP_2)
	v_sub_nc_u32_e32 v23, 0x70, v20
	v_cmp_gt_u32_e32 vcc_lo, 0x71, v20
	v_dual_cndmask_b32 v23, 0, v23 :: v_dual_and_b32 v22, 0x7fffff, v14
	s_delay_alu instid0(VALU_DEP_1) | instskip(SKIP_2) | instid1(VALU_DEP_4)
	v_or_b32_e32 v26, 0x800000, v22
	v_cmp_eq_u32_e32 vcc_lo, 0, v20
	v_add_nc_u32_e32 v20, 0xffffff91, v20
	v_cndmask_b32_e64 v23, v23, 0x6f, vcc_lo
	s_delay_alu instid0(VALU_DEP_2) | instskip(SKIP_1) | instid1(VALU_DEP_3)
	v_cndmask_b32_e64 v20, v20, 0xffffff92, vcc_lo
	v_cndmask_b32_e32 v22, v26, v22, vcc_lo
	v_lshl_add_u32 v26, 0x200000, v23, -1
	v_lshlrev_b32_e64 v37, v23, 0x100000
	s_delay_alu instid0(VALU_DEP_3) | instskip(SKIP_1) | instid1(VALU_DEP_4)
	v_lshrrev_b32_e32 v27, v23, v22
	v_add_nc_u32_e32 v23, v23, v20
	v_and_b32_e32 v22, v26, v22
	s_delay_alu instid0(VALU_DEP_3) | instskip(NEXT) | instid1(VALU_DEP_2)
	v_bfe_u32 v36, v27, 21, 1
	v_cmp_eq_u32_e64 s13, v22, v37
	s_delay_alu instid0(VALU_DEP_2) | instskip(NEXT) | instid1(VALU_DEP_1)
	v_add_nc_u32_e32 v26, -1, v36
	v_cndmask_b32_e64 v22, 0, v26, s13
	v_lshrrev_b32_e32 v26, 23, v27
	s_mov_b32 s13, exec_lo
	s_delay_alu instid0(VALU_DEP_2) | instskip(NEXT) | instid1(VALU_DEP_2)
	v_add_nc_u32_e32 v22, v22, v27
	v_xor_b32_e32 v26, 1, v26
	s_delay_alu instid0(VALU_DEP_2) | instskip(NEXT) | instid1(VALU_DEP_1)
	v_and_b32_e32 v20, 0x1fffff, v22
	v_add_nc_u32_e32 v22, v20, v27
                                        ; implicit-def: $vgpr20
	s_delay_alu instid0(VALU_DEP_3)
	v_cmpx_ne_u32_e64 v23, v26
	s_xor_b32 s13, exec_lo, s13
; %bb.16115:                            ;   in Loop: Header=BB6_15906 Depth=3
	s_delay_alu instid0(VALU_DEP_2) | instskip(SKIP_2) | instid1(VALU_DEP_2)
	v_cmp_lt_u32_e32 vcc_lo, 0xffffff, v22
	v_sub_nc_u32_e32 v20, v23, v26
	v_cndmask_b32_e64 v23, 0, 1, vcc_lo
	v_add_co_ci_u32_e32 v20, vcc_lo, 0, v20, vcc_lo
	s_delay_alu instid0(VALU_DEP_2)
	v_lshrrev_b32_e32 v22, v23, v22
; %bb.16116:                            ;   in Loop: Header=BB6_15906 Depth=3
	s_and_not1_saveexec_b32 s13, s13
; %bb.16117:                            ;   in Loop: Header=BB6_15906 Depth=3
	s_delay_alu instid0(VALU_DEP_1)
	v_bfe_u32 v20, v22, 23, 1
; %bb.16118:                            ;   in Loop: Header=BB6_15906 Depth=3
	s_or_b32 exec_lo, exec_lo, s13
	v_lshrrev_b32_e32 v22, 21, v22
	s_delay_alu instid0(VALU_DEP_2) | instskip(SKIP_2) | instid1(VALU_DEP_4)
	v_cmp_gt_i32_e32 vcc_lo, 32, v20
	v_lshrrev_b32_e32 v14, 24, v14
	v_min_i32_e32 v23, 31, v20
	v_cndmask_b32_e32 v22, 3, v22, vcc_lo
	s_delay_alu instid0(VALU_DEP_3) | instskip(NEXT) | instid1(VALU_DEP_3)
	v_and_b32_e32 v14, 0x80, v14
	v_lshlrev_b32_e32 v23, 2, v23
	s_delay_alu instid0(VALU_DEP_3) | instskip(SKIP_1) | instid1(VALU_DEP_2)
	v_and_b32_e32 v26, 3, v22
	v_or_b32_e32 v20, v20, v22
	v_or3_b32 v14, v23, v14, v26
	s_delay_alu instid0(VALU_DEP_2) | instskip(NEXT) | instid1(VALU_DEP_2)
	v_cmp_ne_u32_e32 vcc_lo, 0, v20
	v_cndmask_b32_e32 v178, 0, v14, vcc_lo
.LBB6_16119:                            ;   in Loop: Header=BB6_15906 Depth=3
	s_or_b32 exec_lo, exec_lo, s30
.LBB6_16120:                            ;   in Loop: Header=BB6_15906 Depth=3
	s_delay_alu instid0(SALU_CYCLE_1)
	s_or_b32 exec_lo, exec_lo, s17
	flat_load_u8 v14, v[8:9] offset:544 slc dlc
	s_mov_b32 s13, 0
	s_mov_b32 s30, exec_lo
                                        ; implicit-def: $sgpr17
	s_waitcnt vmcnt(0) lgkmcnt(0)
	v_cmpx_lt_i16_e32 0x7f, v14
	s_xor_b32 s30, exec_lo, s30
	s_cbranch_execnz .LBB6_16881
; %bb.16121:                            ;   in Loop: Header=BB6_15906 Depth=3
	s_or_saveexec_b32 s30, s30
	v_mov_b32_e32 v20, s17
	s_xor_b32 exec_lo, exec_lo, s30
	s_cbranch_execnz .LBB6_16884
.LBB6_16122:                            ;   in Loop: Header=BB6_15906 Depth=3
	s_or_b32 exec_lo, exec_lo, s30
	s_and_saveexec_b32 s17, s13
	s_cbranch_execz .LBB6_16124
.LBB6_16123:                            ;   in Loop: Header=BB6_15906 Depth=3
	v_and_b32_e32 v20, 0xffff, v14
	v_lshlrev_b32_e32 v14, 24, v14
	s_delay_alu instid0(VALU_DEP_2) | instskip(NEXT) | instid1(VALU_DEP_2)
	v_and_b32_e32 v22, 3, v20
	v_and_b32_e32 v14, 0x80000000, v14
	s_delay_alu instid0(VALU_DEP_2) | instskip(NEXT) | instid1(VALU_DEP_1)
	v_clz_i32_u32_e32 v23, v22
	v_min_u32_e32 v23, 32, v23
	s_delay_alu instid0(VALU_DEP_1) | instskip(SKIP_1) | instid1(VALU_DEP_2)
	v_subrev_nc_u32_e32 v26, 29, v23
	v_sub_nc_u32_e32 v23, 30, v23
	v_lshlrev_b32_e32 v26, v26, v20
	v_bfe_u32 v20, v20, 2, 5
	s_delay_alu instid0(VALU_DEP_2) | instskip(NEXT) | instid1(VALU_DEP_2)
	v_and_b32_e32 v26, 3, v26
	v_cmp_eq_u32_e32 vcc_lo, 0, v20
	v_cndmask_b32_e32 v20, v20, v23, vcc_lo
	s_delay_alu instid0(VALU_DEP_3) | instskip(NEXT) | instid1(VALU_DEP_2)
	v_cndmask_b32_e32 v22, v22, v26, vcc_lo
	v_lshl_add_u32 v20, v20, 23, 0x37800000
	s_delay_alu instid0(VALU_DEP_2) | instskip(NEXT) | instid1(VALU_DEP_1)
	v_lshlrev_b32_e32 v22, 21, v22
	v_or3_b32 v20, v14, v20, v22
.LBB6_16124:                            ;   in Loop: Header=BB6_15906 Depth=3
	s_or_b32 exec_lo, exec_lo, s17
	s_delay_alu instid0(VALU_DEP_1) | instskip(SKIP_1) | instid1(VALU_DEP_1)
	v_dual_mul_f32 v14, v15, v20 :: v_dual_mov_b32 v177, 0x80
	s_mov_b32 s17, exec_lo
	v_and_b32_e32 v20, 0x7f800000, v14
	s_delay_alu instid0(VALU_DEP_1)
	v_cmpx_ne_u32_e32 0x7f800000, v20
	s_cbranch_execz .LBB6_16132
; %bb.16125:                            ;   in Loop: Header=BB6_15906 Depth=3
	v_mov_b32_e32 v177, 0
	s_mov_b32 s30, exec_lo
	v_cmpx_ne_u32_e32 0, v14
	s_cbranch_execz .LBB6_16131
; %bb.16126:                            ;   in Loop: Header=BB6_15906 Depth=3
	v_bfe_u32 v20, v14, 23, 8
	s_delay_alu instid0(VALU_DEP_1) | instskip(SKIP_1) | instid1(VALU_DEP_2)
	v_sub_nc_u32_e32 v23, 0x70, v20
	v_cmp_gt_u32_e32 vcc_lo, 0x71, v20
	v_dual_cndmask_b32 v23, 0, v23 :: v_dual_and_b32 v22, 0x7fffff, v14
	s_delay_alu instid0(VALU_DEP_1) | instskip(SKIP_2) | instid1(VALU_DEP_4)
	v_or_b32_e32 v26, 0x800000, v22
	v_cmp_eq_u32_e32 vcc_lo, 0, v20
	v_add_nc_u32_e32 v20, 0xffffff91, v20
	v_cndmask_b32_e64 v23, v23, 0x6f, vcc_lo
	s_delay_alu instid0(VALU_DEP_2) | instskip(SKIP_1) | instid1(VALU_DEP_3)
	v_cndmask_b32_e64 v20, v20, 0xffffff92, vcc_lo
	v_cndmask_b32_e32 v22, v26, v22, vcc_lo
	v_lshl_add_u32 v26, 0x200000, v23, -1
	v_lshlrev_b32_e64 v37, v23, 0x100000
	s_delay_alu instid0(VALU_DEP_3) | instskip(SKIP_1) | instid1(VALU_DEP_4)
	v_lshrrev_b32_e32 v27, v23, v22
	v_add_nc_u32_e32 v23, v23, v20
	v_and_b32_e32 v22, v26, v22
	s_delay_alu instid0(VALU_DEP_3) | instskip(NEXT) | instid1(VALU_DEP_2)
	v_bfe_u32 v36, v27, 21, 1
	v_cmp_eq_u32_e64 s13, v22, v37
	s_delay_alu instid0(VALU_DEP_2) | instskip(NEXT) | instid1(VALU_DEP_1)
	v_add_nc_u32_e32 v26, -1, v36
	v_cndmask_b32_e64 v22, 0, v26, s13
	v_lshrrev_b32_e32 v26, 23, v27
	s_mov_b32 s13, exec_lo
	s_delay_alu instid0(VALU_DEP_2) | instskip(NEXT) | instid1(VALU_DEP_2)
	v_add_nc_u32_e32 v22, v22, v27
	v_xor_b32_e32 v26, 1, v26
	s_delay_alu instid0(VALU_DEP_2) | instskip(NEXT) | instid1(VALU_DEP_1)
	v_and_b32_e32 v20, 0x1fffff, v22
	v_add_nc_u32_e32 v22, v20, v27
                                        ; implicit-def: $vgpr20
	s_delay_alu instid0(VALU_DEP_3)
	v_cmpx_ne_u32_e64 v23, v26
	s_xor_b32 s13, exec_lo, s13
; %bb.16127:                            ;   in Loop: Header=BB6_15906 Depth=3
	s_delay_alu instid0(VALU_DEP_2) | instskip(SKIP_2) | instid1(VALU_DEP_2)
	v_cmp_lt_u32_e32 vcc_lo, 0xffffff, v22
	v_sub_nc_u32_e32 v20, v23, v26
	v_cndmask_b32_e64 v23, 0, 1, vcc_lo
	v_add_co_ci_u32_e32 v20, vcc_lo, 0, v20, vcc_lo
	s_delay_alu instid0(VALU_DEP_2)
	v_lshrrev_b32_e32 v22, v23, v22
; %bb.16128:                            ;   in Loop: Header=BB6_15906 Depth=3
	s_and_not1_saveexec_b32 s13, s13
; %bb.16129:                            ;   in Loop: Header=BB6_15906 Depth=3
	s_delay_alu instid0(VALU_DEP_1)
	v_bfe_u32 v20, v22, 23, 1
; %bb.16130:                            ;   in Loop: Header=BB6_15906 Depth=3
	s_or_b32 exec_lo, exec_lo, s13
	v_lshrrev_b32_e32 v22, 21, v22
	s_delay_alu instid0(VALU_DEP_2) | instskip(SKIP_2) | instid1(VALU_DEP_4)
	v_cmp_gt_i32_e32 vcc_lo, 32, v20
	v_lshrrev_b32_e32 v14, 24, v14
	v_min_i32_e32 v23, 31, v20
	v_cndmask_b32_e32 v22, 3, v22, vcc_lo
	s_delay_alu instid0(VALU_DEP_3) | instskip(NEXT) | instid1(VALU_DEP_3)
	v_and_b32_e32 v14, 0x80, v14
	v_lshlrev_b32_e32 v23, 2, v23
	s_delay_alu instid0(VALU_DEP_3) | instskip(SKIP_1) | instid1(VALU_DEP_2)
	v_and_b32_e32 v26, 3, v22
	v_or_b32_e32 v20, v20, v22
	v_or3_b32 v14, v23, v14, v26
	s_delay_alu instid0(VALU_DEP_2) | instskip(NEXT) | instid1(VALU_DEP_2)
	v_cmp_ne_u32_e32 vcc_lo, 0, v20
	v_cndmask_b32_e32 v177, 0, v14, vcc_lo
.LBB6_16131:                            ;   in Loop: Header=BB6_15906 Depth=3
	s_or_b32 exec_lo, exec_lo, s30
.LBB6_16132:                            ;   in Loop: Header=BB6_15906 Depth=3
	s_delay_alu instid0(SALU_CYCLE_1)
	s_or_b32 exec_lo, exec_lo, s17
	flat_load_u8 v14, v[8:9] offset:576 slc dlc
	s_mov_b32 s13, 0
	s_mov_b32 s30, exec_lo
                                        ; implicit-def: $sgpr17
	s_waitcnt vmcnt(0) lgkmcnt(0)
	v_cmpx_lt_i16_e32 0x7f, v14
	s_xor_b32 s30, exec_lo, s30
	s_cbranch_execnz .LBB6_16885
; %bb.16133:                            ;   in Loop: Header=BB6_15906 Depth=3
	s_or_saveexec_b32 s30, s30
	v_mov_b32_e32 v20, s17
	s_xor_b32 exec_lo, exec_lo, s30
	s_cbranch_execnz .LBB6_16888
.LBB6_16134:                            ;   in Loop: Header=BB6_15906 Depth=3
	s_or_b32 exec_lo, exec_lo, s30
	s_and_saveexec_b32 s17, s13
	s_cbranch_execz .LBB6_16136
.LBB6_16135:                            ;   in Loop: Header=BB6_15906 Depth=3
	v_and_b32_e32 v20, 0xffff, v14
	v_lshlrev_b32_e32 v14, 24, v14
	s_delay_alu instid0(VALU_DEP_2) | instskip(NEXT) | instid1(VALU_DEP_2)
	v_and_b32_e32 v22, 3, v20
	v_and_b32_e32 v14, 0x80000000, v14
	s_delay_alu instid0(VALU_DEP_2) | instskip(NEXT) | instid1(VALU_DEP_1)
	v_clz_i32_u32_e32 v23, v22
	v_min_u32_e32 v23, 32, v23
	s_delay_alu instid0(VALU_DEP_1) | instskip(SKIP_1) | instid1(VALU_DEP_2)
	v_subrev_nc_u32_e32 v26, 29, v23
	v_sub_nc_u32_e32 v23, 30, v23
	v_lshlrev_b32_e32 v26, v26, v20
	v_bfe_u32 v20, v20, 2, 5
	s_delay_alu instid0(VALU_DEP_2) | instskip(NEXT) | instid1(VALU_DEP_2)
	v_and_b32_e32 v26, 3, v26
	v_cmp_eq_u32_e32 vcc_lo, 0, v20
	v_cndmask_b32_e32 v20, v20, v23, vcc_lo
	s_delay_alu instid0(VALU_DEP_3) | instskip(NEXT) | instid1(VALU_DEP_2)
	v_cndmask_b32_e32 v22, v22, v26, vcc_lo
	v_lshl_add_u32 v20, v20, 23, 0x37800000
	s_delay_alu instid0(VALU_DEP_2) | instskip(NEXT) | instid1(VALU_DEP_1)
	v_lshlrev_b32_e32 v22, 21, v22
	v_or3_b32 v20, v14, v20, v22
.LBB6_16136:                            ;   in Loop: Header=BB6_15906 Depth=3
	s_or_b32 exec_lo, exec_lo, s17
	s_delay_alu instid0(VALU_DEP_1) | instskip(SKIP_1) | instid1(VALU_DEP_1)
	v_dual_mul_f32 v14, v15, v20 :: v_dual_mov_b32 v167, 0x80
	s_mov_b32 s17, exec_lo
	v_and_b32_e32 v20, 0x7f800000, v14
	s_delay_alu instid0(VALU_DEP_1)
	v_cmpx_ne_u32_e32 0x7f800000, v20
	s_cbranch_execz .LBB6_16144
; %bb.16137:                            ;   in Loop: Header=BB6_15906 Depth=3
	v_mov_b32_e32 v167, 0
	s_mov_b32 s30, exec_lo
	v_cmpx_ne_u32_e32 0, v14
	s_cbranch_execz .LBB6_16143
; %bb.16138:                            ;   in Loop: Header=BB6_15906 Depth=3
	v_bfe_u32 v20, v14, 23, 8
	s_delay_alu instid0(VALU_DEP_1) | instskip(SKIP_1) | instid1(VALU_DEP_2)
	v_sub_nc_u32_e32 v23, 0x70, v20
	v_cmp_gt_u32_e32 vcc_lo, 0x71, v20
	v_dual_cndmask_b32 v23, 0, v23 :: v_dual_and_b32 v22, 0x7fffff, v14
	s_delay_alu instid0(VALU_DEP_1) | instskip(SKIP_2) | instid1(VALU_DEP_4)
	v_or_b32_e32 v26, 0x800000, v22
	v_cmp_eq_u32_e32 vcc_lo, 0, v20
	v_add_nc_u32_e32 v20, 0xffffff91, v20
	v_cndmask_b32_e64 v23, v23, 0x6f, vcc_lo
	s_delay_alu instid0(VALU_DEP_2) | instskip(SKIP_1) | instid1(VALU_DEP_3)
	v_cndmask_b32_e64 v20, v20, 0xffffff92, vcc_lo
	v_cndmask_b32_e32 v22, v26, v22, vcc_lo
	v_lshl_add_u32 v26, 0x200000, v23, -1
	v_lshlrev_b32_e64 v37, v23, 0x100000
	s_delay_alu instid0(VALU_DEP_3) | instskip(SKIP_1) | instid1(VALU_DEP_4)
	v_lshrrev_b32_e32 v27, v23, v22
	v_add_nc_u32_e32 v23, v23, v20
	v_and_b32_e32 v22, v26, v22
	s_delay_alu instid0(VALU_DEP_3) | instskip(NEXT) | instid1(VALU_DEP_2)
	v_bfe_u32 v36, v27, 21, 1
	v_cmp_eq_u32_e64 s13, v22, v37
	s_delay_alu instid0(VALU_DEP_2) | instskip(NEXT) | instid1(VALU_DEP_1)
	v_add_nc_u32_e32 v26, -1, v36
	v_cndmask_b32_e64 v22, 0, v26, s13
	v_lshrrev_b32_e32 v26, 23, v27
	s_mov_b32 s13, exec_lo
	s_delay_alu instid0(VALU_DEP_2) | instskip(NEXT) | instid1(VALU_DEP_2)
	v_add_nc_u32_e32 v22, v22, v27
	v_xor_b32_e32 v26, 1, v26
	s_delay_alu instid0(VALU_DEP_2) | instskip(NEXT) | instid1(VALU_DEP_1)
	v_and_b32_e32 v20, 0x1fffff, v22
	v_add_nc_u32_e32 v22, v20, v27
                                        ; implicit-def: $vgpr20
	s_delay_alu instid0(VALU_DEP_3)
	v_cmpx_ne_u32_e64 v23, v26
	s_xor_b32 s13, exec_lo, s13
; %bb.16139:                            ;   in Loop: Header=BB6_15906 Depth=3
	s_delay_alu instid0(VALU_DEP_2) | instskip(SKIP_2) | instid1(VALU_DEP_2)
	v_cmp_lt_u32_e32 vcc_lo, 0xffffff, v22
	v_sub_nc_u32_e32 v20, v23, v26
	v_cndmask_b32_e64 v23, 0, 1, vcc_lo
	v_add_co_ci_u32_e32 v20, vcc_lo, 0, v20, vcc_lo
	s_delay_alu instid0(VALU_DEP_2)
	v_lshrrev_b32_e32 v22, v23, v22
; %bb.16140:                            ;   in Loop: Header=BB6_15906 Depth=3
	s_and_not1_saveexec_b32 s13, s13
; %bb.16141:                            ;   in Loop: Header=BB6_15906 Depth=3
	s_delay_alu instid0(VALU_DEP_1)
	v_bfe_u32 v20, v22, 23, 1
; %bb.16142:                            ;   in Loop: Header=BB6_15906 Depth=3
	s_or_b32 exec_lo, exec_lo, s13
	v_lshrrev_b32_e32 v22, 21, v22
	s_delay_alu instid0(VALU_DEP_2) | instskip(SKIP_2) | instid1(VALU_DEP_4)
	v_cmp_gt_i32_e32 vcc_lo, 32, v20
	v_lshrrev_b32_e32 v14, 24, v14
	v_min_i32_e32 v23, 31, v20
	v_cndmask_b32_e32 v22, 3, v22, vcc_lo
	s_delay_alu instid0(VALU_DEP_3) | instskip(NEXT) | instid1(VALU_DEP_3)
	v_and_b32_e32 v14, 0x80, v14
	v_lshlrev_b32_e32 v23, 2, v23
	s_delay_alu instid0(VALU_DEP_3) | instskip(SKIP_1) | instid1(VALU_DEP_2)
	v_and_b32_e32 v26, 3, v22
	v_or_b32_e32 v20, v20, v22
	v_or3_b32 v14, v23, v14, v26
	s_delay_alu instid0(VALU_DEP_2) | instskip(NEXT) | instid1(VALU_DEP_2)
	v_cmp_ne_u32_e32 vcc_lo, 0, v20
	v_cndmask_b32_e32 v167, 0, v14, vcc_lo
.LBB6_16143:                            ;   in Loop: Header=BB6_15906 Depth=3
	s_or_b32 exec_lo, exec_lo, s30
.LBB6_16144:                            ;   in Loop: Header=BB6_15906 Depth=3
	s_delay_alu instid0(SALU_CYCLE_1)
	s_or_b32 exec_lo, exec_lo, s17
	flat_load_u8 v14, v[8:9] offset:608 slc dlc
	s_mov_b32 s13, 0
	s_mov_b32 s30, exec_lo
                                        ; implicit-def: $sgpr17
	s_waitcnt vmcnt(0) lgkmcnt(0)
	v_cmpx_lt_i16_e32 0x7f, v14
	s_xor_b32 s30, exec_lo, s30
	s_cbranch_execnz .LBB6_16889
; %bb.16145:                            ;   in Loop: Header=BB6_15906 Depth=3
	s_or_saveexec_b32 s30, s30
	v_mov_b32_e32 v20, s17
	s_xor_b32 exec_lo, exec_lo, s30
	s_cbranch_execnz .LBB6_16892
.LBB6_16146:                            ;   in Loop: Header=BB6_15906 Depth=3
	s_or_b32 exec_lo, exec_lo, s30
	s_and_saveexec_b32 s17, s13
	s_cbranch_execz .LBB6_16148
.LBB6_16147:                            ;   in Loop: Header=BB6_15906 Depth=3
	v_and_b32_e32 v20, 0xffff, v14
	v_lshlrev_b32_e32 v14, 24, v14
	s_delay_alu instid0(VALU_DEP_2) | instskip(NEXT) | instid1(VALU_DEP_2)
	v_and_b32_e32 v22, 3, v20
	v_and_b32_e32 v14, 0x80000000, v14
	s_delay_alu instid0(VALU_DEP_2) | instskip(NEXT) | instid1(VALU_DEP_1)
	v_clz_i32_u32_e32 v23, v22
	v_min_u32_e32 v23, 32, v23
	s_delay_alu instid0(VALU_DEP_1) | instskip(SKIP_1) | instid1(VALU_DEP_2)
	v_subrev_nc_u32_e32 v26, 29, v23
	v_sub_nc_u32_e32 v23, 30, v23
	v_lshlrev_b32_e32 v26, v26, v20
	v_bfe_u32 v20, v20, 2, 5
	s_delay_alu instid0(VALU_DEP_2) | instskip(NEXT) | instid1(VALU_DEP_2)
	v_and_b32_e32 v26, 3, v26
	v_cmp_eq_u32_e32 vcc_lo, 0, v20
	v_cndmask_b32_e32 v20, v20, v23, vcc_lo
	s_delay_alu instid0(VALU_DEP_3) | instskip(NEXT) | instid1(VALU_DEP_2)
	v_cndmask_b32_e32 v22, v22, v26, vcc_lo
	v_lshl_add_u32 v20, v20, 23, 0x37800000
	s_delay_alu instid0(VALU_DEP_2) | instskip(NEXT) | instid1(VALU_DEP_1)
	v_lshlrev_b32_e32 v22, 21, v22
	v_or3_b32 v20, v14, v20, v22
.LBB6_16148:                            ;   in Loop: Header=BB6_15906 Depth=3
	s_or_b32 exec_lo, exec_lo, s17
	s_delay_alu instid0(VALU_DEP_1) | instskip(SKIP_1) | instid1(VALU_DEP_1)
	v_dual_mul_f32 v14, v15, v20 :: v_dual_mov_b32 v165, 0x80
	s_mov_b32 s17, exec_lo
	v_and_b32_e32 v20, 0x7f800000, v14
	s_delay_alu instid0(VALU_DEP_1)
	v_cmpx_ne_u32_e32 0x7f800000, v20
	s_cbranch_execz .LBB6_16156
; %bb.16149:                            ;   in Loop: Header=BB6_15906 Depth=3
	v_mov_b32_e32 v165, 0
	s_mov_b32 s30, exec_lo
	v_cmpx_ne_u32_e32 0, v14
	s_cbranch_execz .LBB6_16155
; %bb.16150:                            ;   in Loop: Header=BB6_15906 Depth=3
	v_bfe_u32 v20, v14, 23, 8
	s_delay_alu instid0(VALU_DEP_1) | instskip(SKIP_1) | instid1(VALU_DEP_2)
	v_sub_nc_u32_e32 v23, 0x70, v20
	v_cmp_gt_u32_e32 vcc_lo, 0x71, v20
	v_dual_cndmask_b32 v23, 0, v23 :: v_dual_and_b32 v22, 0x7fffff, v14
	s_delay_alu instid0(VALU_DEP_1) | instskip(SKIP_2) | instid1(VALU_DEP_4)
	v_or_b32_e32 v26, 0x800000, v22
	v_cmp_eq_u32_e32 vcc_lo, 0, v20
	v_add_nc_u32_e32 v20, 0xffffff91, v20
	v_cndmask_b32_e64 v23, v23, 0x6f, vcc_lo
	s_delay_alu instid0(VALU_DEP_2) | instskip(SKIP_1) | instid1(VALU_DEP_3)
	v_cndmask_b32_e64 v20, v20, 0xffffff92, vcc_lo
	v_cndmask_b32_e32 v22, v26, v22, vcc_lo
	v_lshl_add_u32 v26, 0x200000, v23, -1
	v_lshlrev_b32_e64 v37, v23, 0x100000
	s_delay_alu instid0(VALU_DEP_3) | instskip(SKIP_1) | instid1(VALU_DEP_4)
	v_lshrrev_b32_e32 v27, v23, v22
	v_add_nc_u32_e32 v23, v23, v20
	v_and_b32_e32 v22, v26, v22
	s_delay_alu instid0(VALU_DEP_3) | instskip(NEXT) | instid1(VALU_DEP_2)
	v_bfe_u32 v36, v27, 21, 1
	v_cmp_eq_u32_e64 s13, v22, v37
	s_delay_alu instid0(VALU_DEP_2) | instskip(NEXT) | instid1(VALU_DEP_1)
	v_add_nc_u32_e32 v26, -1, v36
	v_cndmask_b32_e64 v22, 0, v26, s13
	v_lshrrev_b32_e32 v26, 23, v27
	s_mov_b32 s13, exec_lo
	s_delay_alu instid0(VALU_DEP_2) | instskip(NEXT) | instid1(VALU_DEP_2)
	v_add_nc_u32_e32 v22, v22, v27
	v_xor_b32_e32 v26, 1, v26
	s_delay_alu instid0(VALU_DEP_2) | instskip(NEXT) | instid1(VALU_DEP_1)
	v_and_b32_e32 v20, 0x1fffff, v22
	v_add_nc_u32_e32 v22, v20, v27
                                        ; implicit-def: $vgpr20
	s_delay_alu instid0(VALU_DEP_3)
	v_cmpx_ne_u32_e64 v23, v26
	s_xor_b32 s13, exec_lo, s13
; %bb.16151:                            ;   in Loop: Header=BB6_15906 Depth=3
	s_delay_alu instid0(VALU_DEP_2) | instskip(SKIP_2) | instid1(VALU_DEP_2)
	v_cmp_lt_u32_e32 vcc_lo, 0xffffff, v22
	v_sub_nc_u32_e32 v20, v23, v26
	v_cndmask_b32_e64 v23, 0, 1, vcc_lo
	v_add_co_ci_u32_e32 v20, vcc_lo, 0, v20, vcc_lo
	s_delay_alu instid0(VALU_DEP_2)
	v_lshrrev_b32_e32 v22, v23, v22
; %bb.16152:                            ;   in Loop: Header=BB6_15906 Depth=3
	s_and_not1_saveexec_b32 s13, s13
; %bb.16153:                            ;   in Loop: Header=BB6_15906 Depth=3
	s_delay_alu instid0(VALU_DEP_1)
	v_bfe_u32 v20, v22, 23, 1
; %bb.16154:                            ;   in Loop: Header=BB6_15906 Depth=3
	s_or_b32 exec_lo, exec_lo, s13
	v_lshrrev_b32_e32 v22, 21, v22
	s_delay_alu instid0(VALU_DEP_2) | instskip(SKIP_2) | instid1(VALU_DEP_4)
	v_cmp_gt_i32_e32 vcc_lo, 32, v20
	v_lshrrev_b32_e32 v14, 24, v14
	v_min_i32_e32 v23, 31, v20
	v_cndmask_b32_e32 v22, 3, v22, vcc_lo
	s_delay_alu instid0(VALU_DEP_3) | instskip(NEXT) | instid1(VALU_DEP_3)
	v_and_b32_e32 v14, 0x80, v14
	v_lshlrev_b32_e32 v23, 2, v23
	s_delay_alu instid0(VALU_DEP_3) | instskip(SKIP_1) | instid1(VALU_DEP_2)
	v_and_b32_e32 v26, 3, v22
	v_or_b32_e32 v20, v20, v22
	v_or3_b32 v14, v23, v14, v26
	s_delay_alu instid0(VALU_DEP_2) | instskip(NEXT) | instid1(VALU_DEP_2)
	v_cmp_ne_u32_e32 vcc_lo, 0, v20
	v_cndmask_b32_e32 v165, 0, v14, vcc_lo
.LBB6_16155:                            ;   in Loop: Header=BB6_15906 Depth=3
	s_or_b32 exec_lo, exec_lo, s30
.LBB6_16156:                            ;   in Loop: Header=BB6_15906 Depth=3
	s_delay_alu instid0(SALU_CYCLE_1)
	s_or_b32 exec_lo, exec_lo, s17
	flat_load_u8 v14, v[8:9] offset:640 slc dlc
	s_mov_b32 s13, 0
	s_mov_b32 s30, exec_lo
                                        ; implicit-def: $sgpr17
	s_waitcnt vmcnt(0) lgkmcnt(0)
	v_cmpx_lt_i16_e32 0x7f, v14
	s_xor_b32 s30, exec_lo, s30
	s_cbranch_execnz .LBB6_16893
; %bb.16157:                            ;   in Loop: Header=BB6_15906 Depth=3
	s_or_saveexec_b32 s30, s30
	v_mov_b32_e32 v20, s17
	s_xor_b32 exec_lo, exec_lo, s30
	s_cbranch_execnz .LBB6_16896
.LBB6_16158:                            ;   in Loop: Header=BB6_15906 Depth=3
	s_or_b32 exec_lo, exec_lo, s30
	s_and_saveexec_b32 s17, s13
	s_cbranch_execz .LBB6_16160
.LBB6_16159:                            ;   in Loop: Header=BB6_15906 Depth=3
	v_and_b32_e32 v20, 0xffff, v14
	v_lshlrev_b32_e32 v14, 24, v14
	s_delay_alu instid0(VALU_DEP_2) | instskip(NEXT) | instid1(VALU_DEP_2)
	v_and_b32_e32 v22, 3, v20
	v_and_b32_e32 v14, 0x80000000, v14
	s_delay_alu instid0(VALU_DEP_2) | instskip(NEXT) | instid1(VALU_DEP_1)
	v_clz_i32_u32_e32 v23, v22
	v_min_u32_e32 v23, 32, v23
	s_delay_alu instid0(VALU_DEP_1) | instskip(SKIP_1) | instid1(VALU_DEP_2)
	v_subrev_nc_u32_e32 v26, 29, v23
	v_sub_nc_u32_e32 v23, 30, v23
	v_lshlrev_b32_e32 v26, v26, v20
	v_bfe_u32 v20, v20, 2, 5
	s_delay_alu instid0(VALU_DEP_2) | instskip(NEXT) | instid1(VALU_DEP_2)
	v_and_b32_e32 v26, 3, v26
	v_cmp_eq_u32_e32 vcc_lo, 0, v20
	v_cndmask_b32_e32 v20, v20, v23, vcc_lo
	s_delay_alu instid0(VALU_DEP_3) | instskip(NEXT) | instid1(VALU_DEP_2)
	v_cndmask_b32_e32 v22, v22, v26, vcc_lo
	v_lshl_add_u32 v20, v20, 23, 0x37800000
	s_delay_alu instid0(VALU_DEP_2) | instskip(NEXT) | instid1(VALU_DEP_1)
	v_lshlrev_b32_e32 v22, 21, v22
	v_or3_b32 v20, v14, v20, v22
.LBB6_16160:                            ;   in Loop: Header=BB6_15906 Depth=3
	s_or_b32 exec_lo, exec_lo, s17
	s_delay_alu instid0(VALU_DEP_1) | instskip(SKIP_2) | instid1(VALU_DEP_2)
	v_mul_f32_e32 v14, v15, v20
	v_mov_b32_e32 v164, 0x80
	s_mov_b32 s17, exec_lo
	v_and_b32_e32 v20, 0x7f800000, v14
	s_delay_alu instid0(VALU_DEP_1)
	v_cmpx_ne_u32_e32 0x7f800000, v20
	s_cbranch_execz .LBB6_16168
; %bb.16161:                            ;   in Loop: Header=BB6_15906 Depth=3
	v_mov_b32_e32 v164, 0
	s_mov_b32 s30, exec_lo
	v_cmpx_ne_u32_e32 0, v14
	s_cbranch_execz .LBB6_16167
; %bb.16162:                            ;   in Loop: Header=BB6_15906 Depth=3
	v_bfe_u32 v20, v14, 23, 8
	s_delay_alu instid0(VALU_DEP_1) | instskip(SKIP_1) | instid1(VALU_DEP_2)
	v_sub_nc_u32_e32 v23, 0x70, v20
	v_cmp_gt_u32_e32 vcc_lo, 0x71, v20
	v_dual_cndmask_b32 v23, 0, v23 :: v_dual_and_b32 v22, 0x7fffff, v14
	s_delay_alu instid0(VALU_DEP_1) | instskip(SKIP_2) | instid1(VALU_DEP_4)
	v_or_b32_e32 v26, 0x800000, v22
	v_cmp_eq_u32_e32 vcc_lo, 0, v20
	v_add_nc_u32_e32 v20, 0xffffff91, v20
	v_cndmask_b32_e64 v23, v23, 0x6f, vcc_lo
	s_delay_alu instid0(VALU_DEP_2) | instskip(SKIP_1) | instid1(VALU_DEP_3)
	v_cndmask_b32_e64 v20, v20, 0xffffff92, vcc_lo
	v_cndmask_b32_e32 v22, v26, v22, vcc_lo
	v_lshl_add_u32 v26, 0x200000, v23, -1
	v_lshlrev_b32_e64 v37, v23, 0x100000
	s_delay_alu instid0(VALU_DEP_3) | instskip(SKIP_1) | instid1(VALU_DEP_4)
	v_lshrrev_b32_e32 v27, v23, v22
	v_add_nc_u32_e32 v23, v23, v20
	v_and_b32_e32 v22, v26, v22
	s_delay_alu instid0(VALU_DEP_3) | instskip(NEXT) | instid1(VALU_DEP_2)
	v_bfe_u32 v36, v27, 21, 1
	v_cmp_eq_u32_e64 s13, v22, v37
	s_delay_alu instid0(VALU_DEP_2) | instskip(NEXT) | instid1(VALU_DEP_1)
	v_add_nc_u32_e32 v26, -1, v36
	v_cndmask_b32_e64 v22, 0, v26, s13
	v_lshrrev_b32_e32 v26, 23, v27
	s_mov_b32 s13, exec_lo
	s_delay_alu instid0(VALU_DEP_2) | instskip(NEXT) | instid1(VALU_DEP_2)
	v_add_nc_u32_e32 v22, v22, v27
	v_xor_b32_e32 v26, 1, v26
	s_delay_alu instid0(VALU_DEP_2) | instskip(NEXT) | instid1(VALU_DEP_1)
	v_and_b32_e32 v20, 0x1fffff, v22
	v_add_nc_u32_e32 v22, v20, v27
                                        ; implicit-def: $vgpr20
	s_delay_alu instid0(VALU_DEP_3)
	v_cmpx_ne_u32_e64 v23, v26
	s_xor_b32 s13, exec_lo, s13
; %bb.16163:                            ;   in Loop: Header=BB6_15906 Depth=3
	s_delay_alu instid0(VALU_DEP_2) | instskip(SKIP_2) | instid1(VALU_DEP_2)
	v_cmp_lt_u32_e32 vcc_lo, 0xffffff, v22
	v_sub_nc_u32_e32 v20, v23, v26
	v_cndmask_b32_e64 v23, 0, 1, vcc_lo
	v_add_co_ci_u32_e32 v20, vcc_lo, 0, v20, vcc_lo
	s_delay_alu instid0(VALU_DEP_2)
	v_lshrrev_b32_e32 v22, v23, v22
; %bb.16164:                            ;   in Loop: Header=BB6_15906 Depth=3
	s_and_not1_saveexec_b32 s13, s13
; %bb.16165:                            ;   in Loop: Header=BB6_15906 Depth=3
	s_delay_alu instid0(VALU_DEP_1)
	v_bfe_u32 v20, v22, 23, 1
; %bb.16166:                            ;   in Loop: Header=BB6_15906 Depth=3
	s_or_b32 exec_lo, exec_lo, s13
	v_lshrrev_b32_e32 v22, 21, v22
	s_delay_alu instid0(VALU_DEP_2) | instskip(SKIP_2) | instid1(VALU_DEP_4)
	v_cmp_gt_i32_e32 vcc_lo, 32, v20
	v_lshrrev_b32_e32 v14, 24, v14
	v_min_i32_e32 v23, 31, v20
	v_cndmask_b32_e32 v22, 3, v22, vcc_lo
	s_delay_alu instid0(VALU_DEP_3) | instskip(NEXT) | instid1(VALU_DEP_3)
	v_and_b32_e32 v14, 0x80, v14
	v_lshlrev_b32_e32 v23, 2, v23
	s_delay_alu instid0(VALU_DEP_3) | instskip(SKIP_1) | instid1(VALU_DEP_2)
	v_and_b32_e32 v26, 3, v22
	v_or_b32_e32 v20, v20, v22
	v_or3_b32 v14, v23, v14, v26
	s_delay_alu instid0(VALU_DEP_2) | instskip(NEXT) | instid1(VALU_DEP_2)
	v_cmp_ne_u32_e32 vcc_lo, 0, v20
	v_cndmask_b32_e32 v164, 0, v14, vcc_lo
.LBB6_16167:                            ;   in Loop: Header=BB6_15906 Depth=3
	s_or_b32 exec_lo, exec_lo, s30
.LBB6_16168:                            ;   in Loop: Header=BB6_15906 Depth=3
	s_delay_alu instid0(SALU_CYCLE_1)
	s_or_b32 exec_lo, exec_lo, s17
	flat_load_u8 v14, v[8:9] offset:672 slc dlc
	s_mov_b32 s13, 0
	s_mov_b32 s30, exec_lo
                                        ; implicit-def: $sgpr17
	s_waitcnt vmcnt(0) lgkmcnt(0)
	v_cmpx_lt_i16_e32 0x7f, v14
	s_xor_b32 s30, exec_lo, s30
	s_cbranch_execnz .LBB6_16897
; %bb.16169:                            ;   in Loop: Header=BB6_15906 Depth=3
	s_or_saveexec_b32 s30, s30
	v_mov_b32_e32 v20, s17
	s_xor_b32 exec_lo, exec_lo, s30
	s_cbranch_execnz .LBB6_16900
.LBB6_16170:                            ;   in Loop: Header=BB6_15906 Depth=3
	s_or_b32 exec_lo, exec_lo, s30
	s_and_saveexec_b32 s17, s13
	s_cbranch_execz .LBB6_16172
.LBB6_16171:                            ;   in Loop: Header=BB6_15906 Depth=3
	v_and_b32_e32 v20, 0xffff, v14
	v_lshlrev_b32_e32 v14, 24, v14
	s_delay_alu instid0(VALU_DEP_2) | instskip(NEXT) | instid1(VALU_DEP_2)
	v_and_b32_e32 v22, 3, v20
	v_and_b32_e32 v14, 0x80000000, v14
	s_delay_alu instid0(VALU_DEP_2) | instskip(NEXT) | instid1(VALU_DEP_1)
	v_clz_i32_u32_e32 v23, v22
	v_min_u32_e32 v23, 32, v23
	s_delay_alu instid0(VALU_DEP_1) | instskip(SKIP_1) | instid1(VALU_DEP_2)
	v_subrev_nc_u32_e32 v26, 29, v23
	v_sub_nc_u32_e32 v23, 30, v23
	v_lshlrev_b32_e32 v26, v26, v20
	v_bfe_u32 v20, v20, 2, 5
	s_delay_alu instid0(VALU_DEP_2) | instskip(NEXT) | instid1(VALU_DEP_2)
	v_and_b32_e32 v26, 3, v26
	v_cmp_eq_u32_e32 vcc_lo, 0, v20
	v_cndmask_b32_e32 v20, v20, v23, vcc_lo
	s_delay_alu instid0(VALU_DEP_3) | instskip(NEXT) | instid1(VALU_DEP_2)
	v_cndmask_b32_e32 v22, v22, v26, vcc_lo
	v_lshl_add_u32 v20, v20, 23, 0x37800000
	s_delay_alu instid0(VALU_DEP_2) | instskip(NEXT) | instid1(VALU_DEP_1)
	v_lshlrev_b32_e32 v22, 21, v22
	v_or3_b32 v20, v14, v20, v22
.LBB6_16172:                            ;   in Loop: Header=BB6_15906 Depth=3
	s_or_b32 exec_lo, exec_lo, s17
	s_delay_alu instid0(VALU_DEP_1) | instskip(SKIP_2) | instid1(VALU_DEP_2)
	v_mul_f32_e32 v14, v15, v20
	v_mov_b32_e32 v162, 0x80
	s_mov_b32 s17, exec_lo
	v_and_b32_e32 v20, 0x7f800000, v14
	s_delay_alu instid0(VALU_DEP_1)
	v_cmpx_ne_u32_e32 0x7f800000, v20
	s_cbranch_execz .LBB6_16180
; %bb.16173:                            ;   in Loop: Header=BB6_15906 Depth=3
	v_mov_b32_e32 v162, 0
	s_mov_b32 s30, exec_lo
	v_cmpx_ne_u32_e32 0, v14
	s_cbranch_execz .LBB6_16179
; %bb.16174:                            ;   in Loop: Header=BB6_15906 Depth=3
	v_bfe_u32 v20, v14, 23, 8
	s_delay_alu instid0(VALU_DEP_1) | instskip(SKIP_1) | instid1(VALU_DEP_2)
	v_sub_nc_u32_e32 v23, 0x70, v20
	v_cmp_gt_u32_e32 vcc_lo, 0x71, v20
	v_dual_cndmask_b32 v23, 0, v23 :: v_dual_and_b32 v22, 0x7fffff, v14
	s_delay_alu instid0(VALU_DEP_1) | instskip(SKIP_2) | instid1(VALU_DEP_4)
	v_or_b32_e32 v26, 0x800000, v22
	v_cmp_eq_u32_e32 vcc_lo, 0, v20
	v_add_nc_u32_e32 v20, 0xffffff91, v20
	v_cndmask_b32_e64 v23, v23, 0x6f, vcc_lo
	s_delay_alu instid0(VALU_DEP_2) | instskip(SKIP_1) | instid1(VALU_DEP_3)
	v_cndmask_b32_e64 v20, v20, 0xffffff92, vcc_lo
	v_cndmask_b32_e32 v22, v26, v22, vcc_lo
	v_lshl_add_u32 v26, 0x200000, v23, -1
	v_lshlrev_b32_e64 v37, v23, 0x100000
	s_delay_alu instid0(VALU_DEP_3) | instskip(SKIP_1) | instid1(VALU_DEP_4)
	v_lshrrev_b32_e32 v27, v23, v22
	v_add_nc_u32_e32 v23, v23, v20
	v_and_b32_e32 v22, v26, v22
	s_delay_alu instid0(VALU_DEP_3) | instskip(NEXT) | instid1(VALU_DEP_2)
	v_bfe_u32 v36, v27, 21, 1
	v_cmp_eq_u32_e64 s13, v22, v37
	s_delay_alu instid0(VALU_DEP_2) | instskip(NEXT) | instid1(VALU_DEP_1)
	v_add_nc_u32_e32 v26, -1, v36
	v_cndmask_b32_e64 v22, 0, v26, s13
	v_lshrrev_b32_e32 v26, 23, v27
	s_mov_b32 s13, exec_lo
	s_delay_alu instid0(VALU_DEP_2) | instskip(NEXT) | instid1(VALU_DEP_2)
	v_add_nc_u32_e32 v22, v22, v27
	v_xor_b32_e32 v26, 1, v26
	s_delay_alu instid0(VALU_DEP_2) | instskip(NEXT) | instid1(VALU_DEP_1)
	v_and_b32_e32 v20, 0x1fffff, v22
	v_add_nc_u32_e32 v22, v20, v27
                                        ; implicit-def: $vgpr20
	s_delay_alu instid0(VALU_DEP_3)
	v_cmpx_ne_u32_e64 v23, v26
	s_xor_b32 s13, exec_lo, s13
; %bb.16175:                            ;   in Loop: Header=BB6_15906 Depth=3
	s_delay_alu instid0(VALU_DEP_2) | instskip(SKIP_2) | instid1(VALU_DEP_2)
	v_cmp_lt_u32_e32 vcc_lo, 0xffffff, v22
	v_sub_nc_u32_e32 v20, v23, v26
	v_cndmask_b32_e64 v23, 0, 1, vcc_lo
	v_add_co_ci_u32_e32 v20, vcc_lo, 0, v20, vcc_lo
	s_delay_alu instid0(VALU_DEP_2)
	v_lshrrev_b32_e32 v22, v23, v22
; %bb.16176:                            ;   in Loop: Header=BB6_15906 Depth=3
	s_and_not1_saveexec_b32 s13, s13
; %bb.16177:                            ;   in Loop: Header=BB6_15906 Depth=3
	s_delay_alu instid0(VALU_DEP_1)
	v_bfe_u32 v20, v22, 23, 1
; %bb.16178:                            ;   in Loop: Header=BB6_15906 Depth=3
	s_or_b32 exec_lo, exec_lo, s13
	v_lshrrev_b32_e32 v22, 21, v22
	s_delay_alu instid0(VALU_DEP_2) | instskip(SKIP_2) | instid1(VALU_DEP_4)
	v_cmp_gt_i32_e32 vcc_lo, 32, v20
	v_lshrrev_b32_e32 v14, 24, v14
	v_min_i32_e32 v23, 31, v20
	v_cndmask_b32_e32 v22, 3, v22, vcc_lo
	s_delay_alu instid0(VALU_DEP_3) | instskip(NEXT) | instid1(VALU_DEP_3)
	v_and_b32_e32 v14, 0x80, v14
	v_lshlrev_b32_e32 v23, 2, v23
	s_delay_alu instid0(VALU_DEP_3) | instskip(SKIP_1) | instid1(VALU_DEP_2)
	v_and_b32_e32 v26, 3, v22
	v_or_b32_e32 v20, v20, v22
	v_or3_b32 v14, v23, v14, v26
	s_delay_alu instid0(VALU_DEP_2) | instskip(NEXT) | instid1(VALU_DEP_2)
	v_cmp_ne_u32_e32 vcc_lo, 0, v20
	v_cndmask_b32_e32 v162, 0, v14, vcc_lo
.LBB6_16179:                            ;   in Loop: Header=BB6_15906 Depth=3
	s_or_b32 exec_lo, exec_lo, s30
.LBB6_16180:                            ;   in Loop: Header=BB6_15906 Depth=3
	s_delay_alu instid0(SALU_CYCLE_1)
	s_or_b32 exec_lo, exec_lo, s17
	flat_load_u8 v14, v[8:9] offset:704 slc dlc
	s_mov_b32 s13, 0
	s_mov_b32 s30, exec_lo
                                        ; implicit-def: $sgpr17
	s_waitcnt vmcnt(0) lgkmcnt(0)
	v_cmpx_lt_i16_e32 0x7f, v14
	s_xor_b32 s30, exec_lo, s30
	s_cbranch_execnz .LBB6_16901
; %bb.16181:                            ;   in Loop: Header=BB6_15906 Depth=3
	s_or_saveexec_b32 s30, s30
	v_mov_b32_e32 v20, s17
	s_xor_b32 exec_lo, exec_lo, s30
	s_cbranch_execnz .LBB6_16904
.LBB6_16182:                            ;   in Loop: Header=BB6_15906 Depth=3
	s_or_b32 exec_lo, exec_lo, s30
	s_and_saveexec_b32 s17, s13
	s_cbranch_execz .LBB6_16184
.LBB6_16183:                            ;   in Loop: Header=BB6_15906 Depth=3
	v_and_b32_e32 v20, 0xffff, v14
	v_lshlrev_b32_e32 v14, 24, v14
	s_delay_alu instid0(VALU_DEP_2) | instskip(NEXT) | instid1(VALU_DEP_2)
	v_and_b32_e32 v22, 3, v20
	v_and_b32_e32 v14, 0x80000000, v14
	s_delay_alu instid0(VALU_DEP_2) | instskip(NEXT) | instid1(VALU_DEP_1)
	v_clz_i32_u32_e32 v23, v22
	v_min_u32_e32 v23, 32, v23
	s_delay_alu instid0(VALU_DEP_1) | instskip(SKIP_1) | instid1(VALU_DEP_2)
	v_subrev_nc_u32_e32 v26, 29, v23
	v_sub_nc_u32_e32 v23, 30, v23
	v_lshlrev_b32_e32 v26, v26, v20
	v_bfe_u32 v20, v20, 2, 5
	s_delay_alu instid0(VALU_DEP_2) | instskip(NEXT) | instid1(VALU_DEP_2)
	v_and_b32_e32 v26, 3, v26
	v_cmp_eq_u32_e32 vcc_lo, 0, v20
	v_cndmask_b32_e32 v20, v20, v23, vcc_lo
	s_delay_alu instid0(VALU_DEP_3) | instskip(NEXT) | instid1(VALU_DEP_2)
	v_cndmask_b32_e32 v22, v22, v26, vcc_lo
	v_lshl_add_u32 v20, v20, 23, 0x37800000
	s_delay_alu instid0(VALU_DEP_2) | instskip(NEXT) | instid1(VALU_DEP_1)
	v_lshlrev_b32_e32 v22, 21, v22
	v_or3_b32 v20, v14, v20, v22
.LBB6_16184:                            ;   in Loop: Header=BB6_15906 Depth=3
	s_or_b32 exec_lo, exec_lo, s17
	s_delay_alu instid0(VALU_DEP_1) | instskip(SKIP_1) | instid1(VALU_DEP_1)
	v_dual_mul_f32 v14, v15, v20 :: v_dual_mov_b32 v161, 0x80
	s_mov_b32 s17, exec_lo
	v_and_b32_e32 v20, 0x7f800000, v14
	s_delay_alu instid0(VALU_DEP_1)
	v_cmpx_ne_u32_e32 0x7f800000, v20
	s_cbranch_execz .LBB6_16192
; %bb.16185:                            ;   in Loop: Header=BB6_15906 Depth=3
	v_mov_b32_e32 v161, 0
	s_mov_b32 s30, exec_lo
	v_cmpx_ne_u32_e32 0, v14
	s_cbranch_execz .LBB6_16191
; %bb.16186:                            ;   in Loop: Header=BB6_15906 Depth=3
	v_bfe_u32 v20, v14, 23, 8
	s_delay_alu instid0(VALU_DEP_1) | instskip(SKIP_1) | instid1(VALU_DEP_2)
	v_sub_nc_u32_e32 v23, 0x70, v20
	v_cmp_gt_u32_e32 vcc_lo, 0x71, v20
	v_dual_cndmask_b32 v23, 0, v23 :: v_dual_and_b32 v22, 0x7fffff, v14
	s_delay_alu instid0(VALU_DEP_1) | instskip(SKIP_2) | instid1(VALU_DEP_4)
	v_or_b32_e32 v26, 0x800000, v22
	v_cmp_eq_u32_e32 vcc_lo, 0, v20
	v_add_nc_u32_e32 v20, 0xffffff91, v20
	v_cndmask_b32_e64 v23, v23, 0x6f, vcc_lo
	s_delay_alu instid0(VALU_DEP_2) | instskip(SKIP_1) | instid1(VALU_DEP_3)
	v_cndmask_b32_e64 v20, v20, 0xffffff92, vcc_lo
	v_cndmask_b32_e32 v22, v26, v22, vcc_lo
	v_lshl_add_u32 v26, 0x200000, v23, -1
	v_lshlrev_b32_e64 v37, v23, 0x100000
	s_delay_alu instid0(VALU_DEP_3) | instskip(SKIP_1) | instid1(VALU_DEP_4)
	v_lshrrev_b32_e32 v27, v23, v22
	v_add_nc_u32_e32 v23, v23, v20
	v_and_b32_e32 v22, v26, v22
	s_delay_alu instid0(VALU_DEP_3) | instskip(NEXT) | instid1(VALU_DEP_2)
	v_bfe_u32 v36, v27, 21, 1
	v_cmp_eq_u32_e64 s13, v22, v37
	s_delay_alu instid0(VALU_DEP_2) | instskip(NEXT) | instid1(VALU_DEP_1)
	v_add_nc_u32_e32 v26, -1, v36
	v_cndmask_b32_e64 v22, 0, v26, s13
	v_lshrrev_b32_e32 v26, 23, v27
	s_mov_b32 s13, exec_lo
	s_delay_alu instid0(VALU_DEP_2) | instskip(NEXT) | instid1(VALU_DEP_2)
	v_add_nc_u32_e32 v22, v22, v27
	v_xor_b32_e32 v26, 1, v26
	s_delay_alu instid0(VALU_DEP_2) | instskip(NEXT) | instid1(VALU_DEP_1)
	v_and_b32_e32 v20, 0x1fffff, v22
	v_add_nc_u32_e32 v22, v20, v27
                                        ; implicit-def: $vgpr20
	s_delay_alu instid0(VALU_DEP_3)
	v_cmpx_ne_u32_e64 v23, v26
	s_xor_b32 s13, exec_lo, s13
; %bb.16187:                            ;   in Loop: Header=BB6_15906 Depth=3
	s_delay_alu instid0(VALU_DEP_2) | instskip(SKIP_2) | instid1(VALU_DEP_2)
	v_cmp_lt_u32_e32 vcc_lo, 0xffffff, v22
	v_sub_nc_u32_e32 v20, v23, v26
	v_cndmask_b32_e64 v23, 0, 1, vcc_lo
	v_add_co_ci_u32_e32 v20, vcc_lo, 0, v20, vcc_lo
	s_delay_alu instid0(VALU_DEP_2)
	v_lshrrev_b32_e32 v22, v23, v22
; %bb.16188:                            ;   in Loop: Header=BB6_15906 Depth=3
	s_and_not1_saveexec_b32 s13, s13
; %bb.16189:                            ;   in Loop: Header=BB6_15906 Depth=3
	s_delay_alu instid0(VALU_DEP_1)
	v_bfe_u32 v20, v22, 23, 1
; %bb.16190:                            ;   in Loop: Header=BB6_15906 Depth=3
	s_or_b32 exec_lo, exec_lo, s13
	v_lshrrev_b32_e32 v22, 21, v22
	s_delay_alu instid0(VALU_DEP_2) | instskip(SKIP_2) | instid1(VALU_DEP_4)
	v_cmp_gt_i32_e32 vcc_lo, 32, v20
	v_lshrrev_b32_e32 v14, 24, v14
	v_min_i32_e32 v23, 31, v20
	v_cndmask_b32_e32 v22, 3, v22, vcc_lo
	s_delay_alu instid0(VALU_DEP_3) | instskip(NEXT) | instid1(VALU_DEP_3)
	v_and_b32_e32 v14, 0x80, v14
	v_lshlrev_b32_e32 v23, 2, v23
	s_delay_alu instid0(VALU_DEP_3) | instskip(SKIP_1) | instid1(VALU_DEP_2)
	v_and_b32_e32 v26, 3, v22
	v_or_b32_e32 v20, v20, v22
	v_or3_b32 v14, v23, v14, v26
	s_delay_alu instid0(VALU_DEP_2) | instskip(NEXT) | instid1(VALU_DEP_2)
	v_cmp_ne_u32_e32 vcc_lo, 0, v20
	v_cndmask_b32_e32 v161, 0, v14, vcc_lo
.LBB6_16191:                            ;   in Loop: Header=BB6_15906 Depth=3
	s_or_b32 exec_lo, exec_lo, s30
.LBB6_16192:                            ;   in Loop: Header=BB6_15906 Depth=3
	s_delay_alu instid0(SALU_CYCLE_1)
	s_or_b32 exec_lo, exec_lo, s17
	flat_load_u8 v14, v[8:9] offset:736 slc dlc
	s_mov_b32 s13, 0
	s_mov_b32 s30, exec_lo
                                        ; implicit-def: $sgpr17
	s_waitcnt vmcnt(0) lgkmcnt(0)
	v_cmpx_lt_i16_e32 0x7f, v14
	s_xor_b32 s30, exec_lo, s30
	s_cbranch_execnz .LBB6_16905
; %bb.16193:                            ;   in Loop: Header=BB6_15906 Depth=3
	s_or_saveexec_b32 s30, s30
	v_mov_b32_e32 v20, s17
	s_xor_b32 exec_lo, exec_lo, s30
	s_cbranch_execnz .LBB6_16908
.LBB6_16194:                            ;   in Loop: Header=BB6_15906 Depth=3
	s_or_b32 exec_lo, exec_lo, s30
	s_and_saveexec_b32 s17, s13
	s_cbranch_execz .LBB6_16196
.LBB6_16195:                            ;   in Loop: Header=BB6_15906 Depth=3
	v_and_b32_e32 v20, 0xffff, v14
	v_lshlrev_b32_e32 v14, 24, v14
	s_delay_alu instid0(VALU_DEP_2) | instskip(NEXT) | instid1(VALU_DEP_2)
	v_and_b32_e32 v22, 3, v20
	v_and_b32_e32 v14, 0x80000000, v14
	s_delay_alu instid0(VALU_DEP_2) | instskip(NEXT) | instid1(VALU_DEP_1)
	v_clz_i32_u32_e32 v23, v22
	v_min_u32_e32 v23, 32, v23
	s_delay_alu instid0(VALU_DEP_1) | instskip(SKIP_1) | instid1(VALU_DEP_2)
	v_subrev_nc_u32_e32 v26, 29, v23
	v_sub_nc_u32_e32 v23, 30, v23
	v_lshlrev_b32_e32 v26, v26, v20
	v_bfe_u32 v20, v20, 2, 5
	s_delay_alu instid0(VALU_DEP_2) | instskip(NEXT) | instid1(VALU_DEP_2)
	v_and_b32_e32 v26, 3, v26
	v_cmp_eq_u32_e32 vcc_lo, 0, v20
	v_cndmask_b32_e32 v20, v20, v23, vcc_lo
	s_delay_alu instid0(VALU_DEP_3) | instskip(NEXT) | instid1(VALU_DEP_2)
	v_cndmask_b32_e32 v22, v22, v26, vcc_lo
	v_lshl_add_u32 v20, v20, 23, 0x37800000
	s_delay_alu instid0(VALU_DEP_2) | instskip(NEXT) | instid1(VALU_DEP_1)
	v_lshlrev_b32_e32 v22, 21, v22
	v_or3_b32 v20, v14, v20, v22
.LBB6_16196:                            ;   in Loop: Header=BB6_15906 Depth=3
	s_or_b32 exec_lo, exec_lo, s17
	s_delay_alu instid0(VALU_DEP_1) | instskip(SKIP_1) | instid1(VALU_DEP_1)
	v_dual_mul_f32 v14, v15, v20 :: v_dual_mov_b32 v151, 0x80
	s_mov_b32 s17, exec_lo
	v_and_b32_e32 v20, 0x7f800000, v14
	s_delay_alu instid0(VALU_DEP_1)
	v_cmpx_ne_u32_e32 0x7f800000, v20
	s_cbranch_execz .LBB6_16204
; %bb.16197:                            ;   in Loop: Header=BB6_15906 Depth=3
	v_mov_b32_e32 v151, 0
	s_mov_b32 s30, exec_lo
	v_cmpx_ne_u32_e32 0, v14
	s_cbranch_execz .LBB6_16203
; %bb.16198:                            ;   in Loop: Header=BB6_15906 Depth=3
	v_bfe_u32 v20, v14, 23, 8
	s_delay_alu instid0(VALU_DEP_1) | instskip(SKIP_1) | instid1(VALU_DEP_2)
	v_sub_nc_u32_e32 v23, 0x70, v20
	v_cmp_gt_u32_e32 vcc_lo, 0x71, v20
	v_dual_cndmask_b32 v23, 0, v23 :: v_dual_and_b32 v22, 0x7fffff, v14
	s_delay_alu instid0(VALU_DEP_1) | instskip(SKIP_2) | instid1(VALU_DEP_4)
	v_or_b32_e32 v26, 0x800000, v22
	v_cmp_eq_u32_e32 vcc_lo, 0, v20
	v_add_nc_u32_e32 v20, 0xffffff91, v20
	v_cndmask_b32_e64 v23, v23, 0x6f, vcc_lo
	s_delay_alu instid0(VALU_DEP_2) | instskip(SKIP_1) | instid1(VALU_DEP_3)
	v_cndmask_b32_e64 v20, v20, 0xffffff92, vcc_lo
	v_cndmask_b32_e32 v22, v26, v22, vcc_lo
	v_lshl_add_u32 v26, 0x200000, v23, -1
	v_lshlrev_b32_e64 v37, v23, 0x100000
	s_delay_alu instid0(VALU_DEP_3) | instskip(SKIP_1) | instid1(VALU_DEP_4)
	v_lshrrev_b32_e32 v27, v23, v22
	v_add_nc_u32_e32 v23, v23, v20
	v_and_b32_e32 v22, v26, v22
	s_delay_alu instid0(VALU_DEP_3) | instskip(NEXT) | instid1(VALU_DEP_2)
	v_bfe_u32 v36, v27, 21, 1
	v_cmp_eq_u32_e64 s13, v22, v37
	s_delay_alu instid0(VALU_DEP_2) | instskip(NEXT) | instid1(VALU_DEP_1)
	v_add_nc_u32_e32 v26, -1, v36
	v_cndmask_b32_e64 v22, 0, v26, s13
	v_lshrrev_b32_e32 v26, 23, v27
	s_mov_b32 s13, exec_lo
	s_delay_alu instid0(VALU_DEP_2) | instskip(NEXT) | instid1(VALU_DEP_2)
	v_add_nc_u32_e32 v22, v22, v27
	v_xor_b32_e32 v26, 1, v26
	s_delay_alu instid0(VALU_DEP_2) | instskip(NEXT) | instid1(VALU_DEP_1)
	v_and_b32_e32 v20, 0x1fffff, v22
	v_add_nc_u32_e32 v22, v20, v27
                                        ; implicit-def: $vgpr20
	s_delay_alu instid0(VALU_DEP_3)
	v_cmpx_ne_u32_e64 v23, v26
	s_xor_b32 s13, exec_lo, s13
; %bb.16199:                            ;   in Loop: Header=BB6_15906 Depth=3
	s_delay_alu instid0(VALU_DEP_2) | instskip(SKIP_2) | instid1(VALU_DEP_2)
	v_cmp_lt_u32_e32 vcc_lo, 0xffffff, v22
	v_sub_nc_u32_e32 v20, v23, v26
	v_cndmask_b32_e64 v23, 0, 1, vcc_lo
	v_add_co_ci_u32_e32 v20, vcc_lo, 0, v20, vcc_lo
	s_delay_alu instid0(VALU_DEP_2)
	v_lshrrev_b32_e32 v22, v23, v22
; %bb.16200:                            ;   in Loop: Header=BB6_15906 Depth=3
	s_and_not1_saveexec_b32 s13, s13
; %bb.16201:                            ;   in Loop: Header=BB6_15906 Depth=3
	s_delay_alu instid0(VALU_DEP_1)
	v_bfe_u32 v20, v22, 23, 1
; %bb.16202:                            ;   in Loop: Header=BB6_15906 Depth=3
	s_or_b32 exec_lo, exec_lo, s13
	v_lshrrev_b32_e32 v22, 21, v22
	s_delay_alu instid0(VALU_DEP_2) | instskip(SKIP_2) | instid1(VALU_DEP_4)
	v_cmp_gt_i32_e32 vcc_lo, 32, v20
	v_lshrrev_b32_e32 v14, 24, v14
	v_min_i32_e32 v23, 31, v20
	v_cndmask_b32_e32 v22, 3, v22, vcc_lo
	s_delay_alu instid0(VALU_DEP_3) | instskip(NEXT) | instid1(VALU_DEP_3)
	v_and_b32_e32 v14, 0x80, v14
	v_lshlrev_b32_e32 v23, 2, v23
	s_delay_alu instid0(VALU_DEP_3) | instskip(SKIP_1) | instid1(VALU_DEP_2)
	v_and_b32_e32 v26, 3, v22
	v_or_b32_e32 v20, v20, v22
	v_or3_b32 v14, v23, v14, v26
	s_delay_alu instid0(VALU_DEP_2) | instskip(NEXT) | instid1(VALU_DEP_2)
	v_cmp_ne_u32_e32 vcc_lo, 0, v20
	v_cndmask_b32_e32 v151, 0, v14, vcc_lo
.LBB6_16203:                            ;   in Loop: Header=BB6_15906 Depth=3
	s_or_b32 exec_lo, exec_lo, s30
.LBB6_16204:                            ;   in Loop: Header=BB6_15906 Depth=3
	s_delay_alu instid0(SALU_CYCLE_1)
	s_or_b32 exec_lo, exec_lo, s17
	flat_load_u8 v14, v[8:9] offset:768 slc dlc
	s_mov_b32 s13, 0
	s_mov_b32 s30, exec_lo
                                        ; implicit-def: $sgpr17
	s_waitcnt vmcnt(0) lgkmcnt(0)
	v_cmpx_lt_i16_e32 0x7f, v14
	s_xor_b32 s30, exec_lo, s30
	s_cbranch_execnz .LBB6_16909
; %bb.16205:                            ;   in Loop: Header=BB6_15906 Depth=3
	s_or_saveexec_b32 s30, s30
	v_mov_b32_e32 v20, s17
	s_xor_b32 exec_lo, exec_lo, s30
	s_cbranch_execnz .LBB6_16912
.LBB6_16206:                            ;   in Loop: Header=BB6_15906 Depth=3
	s_or_b32 exec_lo, exec_lo, s30
	s_and_saveexec_b32 s17, s13
	s_cbranch_execz .LBB6_16208
.LBB6_16207:                            ;   in Loop: Header=BB6_15906 Depth=3
	v_and_b32_e32 v20, 0xffff, v14
	v_lshlrev_b32_e32 v14, 24, v14
	s_delay_alu instid0(VALU_DEP_2) | instskip(NEXT) | instid1(VALU_DEP_2)
	v_and_b32_e32 v22, 3, v20
	v_and_b32_e32 v14, 0x80000000, v14
	s_delay_alu instid0(VALU_DEP_2) | instskip(NEXT) | instid1(VALU_DEP_1)
	v_clz_i32_u32_e32 v23, v22
	v_min_u32_e32 v23, 32, v23
	s_delay_alu instid0(VALU_DEP_1) | instskip(SKIP_1) | instid1(VALU_DEP_2)
	v_subrev_nc_u32_e32 v26, 29, v23
	v_sub_nc_u32_e32 v23, 30, v23
	v_lshlrev_b32_e32 v26, v26, v20
	v_bfe_u32 v20, v20, 2, 5
	s_delay_alu instid0(VALU_DEP_2) | instskip(NEXT) | instid1(VALU_DEP_2)
	v_and_b32_e32 v26, 3, v26
	v_cmp_eq_u32_e32 vcc_lo, 0, v20
	v_cndmask_b32_e32 v20, v20, v23, vcc_lo
	s_delay_alu instid0(VALU_DEP_3) | instskip(NEXT) | instid1(VALU_DEP_2)
	v_cndmask_b32_e32 v22, v22, v26, vcc_lo
	v_lshl_add_u32 v20, v20, 23, 0x37800000
	s_delay_alu instid0(VALU_DEP_2) | instskip(NEXT) | instid1(VALU_DEP_1)
	v_lshlrev_b32_e32 v22, 21, v22
	v_or3_b32 v20, v14, v20, v22
.LBB6_16208:                            ;   in Loop: Header=BB6_15906 Depth=3
	s_or_b32 exec_lo, exec_lo, s17
	s_delay_alu instid0(VALU_DEP_1) | instskip(SKIP_2) | instid1(VALU_DEP_2)
	v_mul_f32_e32 v14, v15, v20
	v_mov_b32_e32 v84, 0x80
	s_mov_b32 s17, exec_lo
	v_and_b32_e32 v20, 0x7f800000, v14
	s_delay_alu instid0(VALU_DEP_1)
	v_cmpx_ne_u32_e32 0x7f800000, v20
	s_cbranch_execz .LBB6_16216
; %bb.16209:                            ;   in Loop: Header=BB6_15906 Depth=3
	v_mov_b32_e32 v84, 0
	s_mov_b32 s30, exec_lo
	v_cmpx_ne_u32_e32 0, v14
	s_cbranch_execz .LBB6_16215
; %bb.16210:                            ;   in Loop: Header=BB6_15906 Depth=3
	v_bfe_u32 v20, v14, 23, 8
	s_delay_alu instid0(VALU_DEP_1) | instskip(SKIP_1) | instid1(VALU_DEP_2)
	v_sub_nc_u32_e32 v23, 0x70, v20
	v_cmp_gt_u32_e32 vcc_lo, 0x71, v20
	v_dual_cndmask_b32 v23, 0, v23 :: v_dual_and_b32 v22, 0x7fffff, v14
	s_delay_alu instid0(VALU_DEP_1) | instskip(SKIP_2) | instid1(VALU_DEP_4)
	v_or_b32_e32 v26, 0x800000, v22
	v_cmp_eq_u32_e32 vcc_lo, 0, v20
	v_add_nc_u32_e32 v20, 0xffffff91, v20
	v_cndmask_b32_e64 v23, v23, 0x6f, vcc_lo
	s_delay_alu instid0(VALU_DEP_2) | instskip(SKIP_1) | instid1(VALU_DEP_3)
	v_cndmask_b32_e64 v20, v20, 0xffffff92, vcc_lo
	v_cndmask_b32_e32 v22, v26, v22, vcc_lo
	v_lshl_add_u32 v26, 0x200000, v23, -1
	v_lshlrev_b32_e64 v37, v23, 0x100000
	s_delay_alu instid0(VALU_DEP_3) | instskip(SKIP_1) | instid1(VALU_DEP_4)
	v_lshrrev_b32_e32 v27, v23, v22
	v_add_nc_u32_e32 v23, v23, v20
	v_and_b32_e32 v22, v26, v22
	s_delay_alu instid0(VALU_DEP_3) | instskip(NEXT) | instid1(VALU_DEP_2)
	v_bfe_u32 v36, v27, 21, 1
	v_cmp_eq_u32_e64 s13, v22, v37
	s_delay_alu instid0(VALU_DEP_2) | instskip(NEXT) | instid1(VALU_DEP_1)
	v_add_nc_u32_e32 v26, -1, v36
	v_cndmask_b32_e64 v22, 0, v26, s13
	v_lshrrev_b32_e32 v26, 23, v27
	s_mov_b32 s13, exec_lo
	s_delay_alu instid0(VALU_DEP_2) | instskip(NEXT) | instid1(VALU_DEP_2)
	v_add_nc_u32_e32 v22, v22, v27
	v_xor_b32_e32 v26, 1, v26
	s_delay_alu instid0(VALU_DEP_2) | instskip(NEXT) | instid1(VALU_DEP_1)
	v_and_b32_e32 v20, 0x1fffff, v22
	v_add_nc_u32_e32 v22, v20, v27
                                        ; implicit-def: $vgpr20
	s_delay_alu instid0(VALU_DEP_3)
	v_cmpx_ne_u32_e64 v23, v26
	s_xor_b32 s13, exec_lo, s13
; %bb.16211:                            ;   in Loop: Header=BB6_15906 Depth=3
	s_delay_alu instid0(VALU_DEP_2) | instskip(SKIP_2) | instid1(VALU_DEP_2)
	v_cmp_lt_u32_e32 vcc_lo, 0xffffff, v22
	v_sub_nc_u32_e32 v20, v23, v26
	v_cndmask_b32_e64 v23, 0, 1, vcc_lo
	v_add_co_ci_u32_e32 v20, vcc_lo, 0, v20, vcc_lo
	s_delay_alu instid0(VALU_DEP_2)
	v_lshrrev_b32_e32 v22, v23, v22
; %bb.16212:                            ;   in Loop: Header=BB6_15906 Depth=3
	s_and_not1_saveexec_b32 s13, s13
; %bb.16213:                            ;   in Loop: Header=BB6_15906 Depth=3
	s_delay_alu instid0(VALU_DEP_1)
	v_bfe_u32 v20, v22, 23, 1
; %bb.16214:                            ;   in Loop: Header=BB6_15906 Depth=3
	s_or_b32 exec_lo, exec_lo, s13
	v_lshrrev_b32_e32 v22, 21, v22
	s_delay_alu instid0(VALU_DEP_2) | instskip(SKIP_2) | instid1(VALU_DEP_4)
	v_cmp_gt_i32_e32 vcc_lo, 32, v20
	v_lshrrev_b32_e32 v14, 24, v14
	v_min_i32_e32 v23, 31, v20
	v_cndmask_b32_e32 v22, 3, v22, vcc_lo
	s_delay_alu instid0(VALU_DEP_3) | instskip(NEXT) | instid1(VALU_DEP_3)
	v_and_b32_e32 v14, 0x80, v14
	v_lshlrev_b32_e32 v23, 2, v23
	s_delay_alu instid0(VALU_DEP_3) | instskip(SKIP_1) | instid1(VALU_DEP_2)
	v_and_b32_e32 v26, 3, v22
	v_or_b32_e32 v20, v20, v22
	v_or3_b32 v14, v23, v14, v26
	s_delay_alu instid0(VALU_DEP_2) | instskip(NEXT) | instid1(VALU_DEP_2)
	v_cmp_ne_u32_e32 vcc_lo, 0, v20
	v_cndmask_b32_e32 v84, 0, v14, vcc_lo
.LBB6_16215:                            ;   in Loop: Header=BB6_15906 Depth=3
	s_or_b32 exec_lo, exec_lo, s30
.LBB6_16216:                            ;   in Loop: Header=BB6_15906 Depth=3
	s_delay_alu instid0(SALU_CYCLE_1)
	s_or_b32 exec_lo, exec_lo, s17
	flat_load_u8 v14, v[8:9] offset:800 slc dlc
	s_mov_b32 s13, 0
	s_mov_b32 s30, exec_lo
                                        ; implicit-def: $sgpr17
	s_waitcnt vmcnt(0) lgkmcnt(0)
	v_cmpx_lt_i16_e32 0x7f, v14
	s_xor_b32 s30, exec_lo, s30
	s_cbranch_execnz .LBB6_16913
; %bb.16217:                            ;   in Loop: Header=BB6_15906 Depth=3
	s_or_saveexec_b32 s30, s30
	v_mov_b32_e32 v20, s17
	s_xor_b32 exec_lo, exec_lo, s30
	s_cbranch_execnz .LBB6_16916
.LBB6_16218:                            ;   in Loop: Header=BB6_15906 Depth=3
	s_or_b32 exec_lo, exec_lo, s30
	s_and_saveexec_b32 s17, s13
	s_cbranch_execz .LBB6_16220
.LBB6_16219:                            ;   in Loop: Header=BB6_15906 Depth=3
	v_and_b32_e32 v20, 0xffff, v14
	v_lshlrev_b32_e32 v14, 24, v14
	s_delay_alu instid0(VALU_DEP_2) | instskip(NEXT) | instid1(VALU_DEP_2)
	v_and_b32_e32 v22, 3, v20
	v_and_b32_e32 v14, 0x80000000, v14
	s_delay_alu instid0(VALU_DEP_2) | instskip(NEXT) | instid1(VALU_DEP_1)
	v_clz_i32_u32_e32 v23, v22
	v_min_u32_e32 v23, 32, v23
	s_delay_alu instid0(VALU_DEP_1) | instskip(SKIP_1) | instid1(VALU_DEP_2)
	v_subrev_nc_u32_e32 v26, 29, v23
	v_sub_nc_u32_e32 v23, 30, v23
	v_lshlrev_b32_e32 v26, v26, v20
	v_bfe_u32 v20, v20, 2, 5
	s_delay_alu instid0(VALU_DEP_2) | instskip(NEXT) | instid1(VALU_DEP_2)
	v_and_b32_e32 v26, 3, v26
	v_cmp_eq_u32_e32 vcc_lo, 0, v20
	v_cndmask_b32_e32 v20, v20, v23, vcc_lo
	s_delay_alu instid0(VALU_DEP_3) | instskip(NEXT) | instid1(VALU_DEP_2)
	v_cndmask_b32_e32 v22, v22, v26, vcc_lo
	v_lshl_add_u32 v20, v20, 23, 0x37800000
	s_delay_alu instid0(VALU_DEP_2) | instskip(NEXT) | instid1(VALU_DEP_1)
	v_lshlrev_b32_e32 v22, 21, v22
	v_or3_b32 v20, v14, v20, v22
.LBB6_16220:                            ;   in Loop: Header=BB6_15906 Depth=3
	s_or_b32 exec_lo, exec_lo, s17
	s_delay_alu instid0(VALU_DEP_1) | instskip(SKIP_1) | instid1(VALU_DEP_1)
	v_dual_mul_f32 v14, v15, v20 :: v_dual_mov_b32 v83, 0x80
	s_mov_b32 s17, exec_lo
	v_and_b32_e32 v20, 0x7f800000, v14
	s_delay_alu instid0(VALU_DEP_1)
	v_cmpx_ne_u32_e32 0x7f800000, v20
	s_cbranch_execz .LBB6_16228
; %bb.16221:                            ;   in Loop: Header=BB6_15906 Depth=3
	v_mov_b32_e32 v83, 0
	s_mov_b32 s30, exec_lo
	v_cmpx_ne_u32_e32 0, v14
	s_cbranch_execz .LBB6_16227
; %bb.16222:                            ;   in Loop: Header=BB6_15906 Depth=3
	v_bfe_u32 v20, v14, 23, 8
	s_delay_alu instid0(VALU_DEP_1) | instskip(SKIP_1) | instid1(VALU_DEP_2)
	v_sub_nc_u32_e32 v23, 0x70, v20
	v_cmp_gt_u32_e32 vcc_lo, 0x71, v20
	v_dual_cndmask_b32 v23, 0, v23 :: v_dual_and_b32 v22, 0x7fffff, v14
	s_delay_alu instid0(VALU_DEP_1) | instskip(SKIP_2) | instid1(VALU_DEP_4)
	v_or_b32_e32 v26, 0x800000, v22
	v_cmp_eq_u32_e32 vcc_lo, 0, v20
	v_add_nc_u32_e32 v20, 0xffffff91, v20
	v_cndmask_b32_e64 v23, v23, 0x6f, vcc_lo
	s_delay_alu instid0(VALU_DEP_2) | instskip(SKIP_1) | instid1(VALU_DEP_3)
	v_cndmask_b32_e64 v20, v20, 0xffffff92, vcc_lo
	v_cndmask_b32_e32 v22, v26, v22, vcc_lo
	v_lshl_add_u32 v26, 0x200000, v23, -1
	v_lshlrev_b32_e64 v37, v23, 0x100000
	s_delay_alu instid0(VALU_DEP_3) | instskip(SKIP_1) | instid1(VALU_DEP_4)
	v_lshrrev_b32_e32 v27, v23, v22
	v_add_nc_u32_e32 v23, v23, v20
	v_and_b32_e32 v22, v26, v22
	s_delay_alu instid0(VALU_DEP_3) | instskip(NEXT) | instid1(VALU_DEP_2)
	v_bfe_u32 v36, v27, 21, 1
	v_cmp_eq_u32_e64 s13, v22, v37
	s_delay_alu instid0(VALU_DEP_2) | instskip(NEXT) | instid1(VALU_DEP_1)
	v_add_nc_u32_e32 v26, -1, v36
	v_cndmask_b32_e64 v22, 0, v26, s13
	v_lshrrev_b32_e32 v26, 23, v27
	s_mov_b32 s13, exec_lo
	s_delay_alu instid0(VALU_DEP_2) | instskip(NEXT) | instid1(VALU_DEP_2)
	v_add_nc_u32_e32 v22, v22, v27
	v_xor_b32_e32 v26, 1, v26
	s_delay_alu instid0(VALU_DEP_2) | instskip(NEXT) | instid1(VALU_DEP_1)
	v_and_b32_e32 v20, 0x1fffff, v22
	v_add_nc_u32_e32 v22, v20, v27
                                        ; implicit-def: $vgpr20
	s_delay_alu instid0(VALU_DEP_3)
	v_cmpx_ne_u32_e64 v23, v26
	s_xor_b32 s13, exec_lo, s13
; %bb.16223:                            ;   in Loop: Header=BB6_15906 Depth=3
	s_delay_alu instid0(VALU_DEP_2) | instskip(SKIP_2) | instid1(VALU_DEP_2)
	v_cmp_lt_u32_e32 vcc_lo, 0xffffff, v22
	v_sub_nc_u32_e32 v20, v23, v26
	v_cndmask_b32_e64 v23, 0, 1, vcc_lo
	v_add_co_ci_u32_e32 v20, vcc_lo, 0, v20, vcc_lo
	s_delay_alu instid0(VALU_DEP_2)
	v_lshrrev_b32_e32 v22, v23, v22
; %bb.16224:                            ;   in Loop: Header=BB6_15906 Depth=3
	s_and_not1_saveexec_b32 s13, s13
; %bb.16225:                            ;   in Loop: Header=BB6_15906 Depth=3
	s_delay_alu instid0(VALU_DEP_1)
	v_bfe_u32 v20, v22, 23, 1
; %bb.16226:                            ;   in Loop: Header=BB6_15906 Depth=3
	s_or_b32 exec_lo, exec_lo, s13
	v_lshrrev_b32_e32 v22, 21, v22
	s_delay_alu instid0(VALU_DEP_2) | instskip(SKIP_2) | instid1(VALU_DEP_4)
	v_cmp_gt_i32_e32 vcc_lo, 32, v20
	v_lshrrev_b32_e32 v14, 24, v14
	v_min_i32_e32 v23, 31, v20
	v_cndmask_b32_e32 v22, 3, v22, vcc_lo
	s_delay_alu instid0(VALU_DEP_3) | instskip(NEXT) | instid1(VALU_DEP_3)
	v_and_b32_e32 v14, 0x80, v14
	v_lshlrev_b32_e32 v23, 2, v23
	s_delay_alu instid0(VALU_DEP_3) | instskip(SKIP_1) | instid1(VALU_DEP_2)
	v_and_b32_e32 v26, 3, v22
	v_or_b32_e32 v20, v20, v22
	v_or3_b32 v14, v23, v14, v26
	s_delay_alu instid0(VALU_DEP_2) | instskip(NEXT) | instid1(VALU_DEP_2)
	v_cmp_ne_u32_e32 vcc_lo, 0, v20
	v_cndmask_b32_e32 v83, 0, v14, vcc_lo
.LBB6_16227:                            ;   in Loop: Header=BB6_15906 Depth=3
	s_or_b32 exec_lo, exec_lo, s30
.LBB6_16228:                            ;   in Loop: Header=BB6_15906 Depth=3
	s_delay_alu instid0(SALU_CYCLE_1)
	s_or_b32 exec_lo, exec_lo, s17
	flat_load_u8 v14, v[8:9] offset:832 slc dlc
	s_mov_b32 s13, 0
	s_mov_b32 s30, exec_lo
                                        ; implicit-def: $sgpr17
	s_waitcnt vmcnt(0) lgkmcnt(0)
	v_cmpx_lt_i16_e32 0x7f, v14
	s_xor_b32 s30, exec_lo, s30
	s_cbranch_execnz .LBB6_16917
; %bb.16229:                            ;   in Loop: Header=BB6_15906 Depth=3
	s_or_saveexec_b32 s30, s30
	v_mov_b32_e32 v20, s17
	s_xor_b32 exec_lo, exec_lo, s30
	s_cbranch_execnz .LBB6_16920
.LBB6_16230:                            ;   in Loop: Header=BB6_15906 Depth=3
	s_or_b32 exec_lo, exec_lo, s30
	s_and_saveexec_b32 s17, s13
	s_cbranch_execz .LBB6_16232
.LBB6_16231:                            ;   in Loop: Header=BB6_15906 Depth=3
	v_and_b32_e32 v20, 0xffff, v14
	v_lshlrev_b32_e32 v14, 24, v14
	s_delay_alu instid0(VALU_DEP_2) | instskip(NEXT) | instid1(VALU_DEP_2)
	v_and_b32_e32 v22, 3, v20
	v_and_b32_e32 v14, 0x80000000, v14
	s_delay_alu instid0(VALU_DEP_2) | instskip(NEXT) | instid1(VALU_DEP_1)
	v_clz_i32_u32_e32 v23, v22
	v_min_u32_e32 v23, 32, v23
	s_delay_alu instid0(VALU_DEP_1) | instskip(SKIP_1) | instid1(VALU_DEP_2)
	v_subrev_nc_u32_e32 v26, 29, v23
	v_sub_nc_u32_e32 v23, 30, v23
	v_lshlrev_b32_e32 v26, v26, v20
	v_bfe_u32 v20, v20, 2, 5
	s_delay_alu instid0(VALU_DEP_2) | instskip(NEXT) | instid1(VALU_DEP_2)
	v_and_b32_e32 v26, 3, v26
	v_cmp_eq_u32_e32 vcc_lo, 0, v20
	v_cndmask_b32_e32 v20, v20, v23, vcc_lo
	s_delay_alu instid0(VALU_DEP_3) | instskip(NEXT) | instid1(VALU_DEP_2)
	v_cndmask_b32_e32 v22, v22, v26, vcc_lo
	v_lshl_add_u32 v20, v20, 23, 0x37800000
	s_delay_alu instid0(VALU_DEP_2) | instskip(NEXT) | instid1(VALU_DEP_1)
	v_lshlrev_b32_e32 v22, 21, v22
	v_or3_b32 v20, v14, v20, v22
.LBB6_16232:                            ;   in Loop: Header=BB6_15906 Depth=3
	s_or_b32 exec_lo, exec_lo, s17
	s_delay_alu instid0(VALU_DEP_1) | instskip(SKIP_1) | instid1(VALU_DEP_1)
	v_dual_mul_f32 v14, v15, v20 :: v_dual_mov_b32 v81, 0x80
	s_mov_b32 s17, exec_lo
	v_and_b32_e32 v20, 0x7f800000, v14
	s_delay_alu instid0(VALU_DEP_1)
	v_cmpx_ne_u32_e32 0x7f800000, v20
	s_cbranch_execz .LBB6_16240
; %bb.16233:                            ;   in Loop: Header=BB6_15906 Depth=3
	v_mov_b32_e32 v81, 0
	s_mov_b32 s30, exec_lo
	v_cmpx_ne_u32_e32 0, v14
	s_cbranch_execz .LBB6_16239
; %bb.16234:                            ;   in Loop: Header=BB6_15906 Depth=3
	v_bfe_u32 v20, v14, 23, 8
	s_delay_alu instid0(VALU_DEP_1) | instskip(SKIP_1) | instid1(VALU_DEP_2)
	v_sub_nc_u32_e32 v23, 0x70, v20
	v_cmp_gt_u32_e32 vcc_lo, 0x71, v20
	v_dual_cndmask_b32 v23, 0, v23 :: v_dual_and_b32 v22, 0x7fffff, v14
	s_delay_alu instid0(VALU_DEP_1) | instskip(SKIP_2) | instid1(VALU_DEP_4)
	v_or_b32_e32 v26, 0x800000, v22
	v_cmp_eq_u32_e32 vcc_lo, 0, v20
	v_add_nc_u32_e32 v20, 0xffffff91, v20
	v_cndmask_b32_e64 v23, v23, 0x6f, vcc_lo
	s_delay_alu instid0(VALU_DEP_2) | instskip(SKIP_1) | instid1(VALU_DEP_3)
	v_cndmask_b32_e64 v20, v20, 0xffffff92, vcc_lo
	v_cndmask_b32_e32 v22, v26, v22, vcc_lo
	v_lshl_add_u32 v26, 0x200000, v23, -1
	v_lshlrev_b32_e64 v37, v23, 0x100000
	s_delay_alu instid0(VALU_DEP_3) | instskip(SKIP_1) | instid1(VALU_DEP_4)
	v_lshrrev_b32_e32 v27, v23, v22
	v_add_nc_u32_e32 v23, v23, v20
	v_and_b32_e32 v22, v26, v22
	s_delay_alu instid0(VALU_DEP_3) | instskip(NEXT) | instid1(VALU_DEP_2)
	v_bfe_u32 v36, v27, 21, 1
	v_cmp_eq_u32_e64 s13, v22, v37
	s_delay_alu instid0(VALU_DEP_2) | instskip(NEXT) | instid1(VALU_DEP_1)
	v_add_nc_u32_e32 v26, -1, v36
	v_cndmask_b32_e64 v22, 0, v26, s13
	v_lshrrev_b32_e32 v26, 23, v27
	s_mov_b32 s13, exec_lo
	s_delay_alu instid0(VALU_DEP_2) | instskip(NEXT) | instid1(VALU_DEP_2)
	v_add_nc_u32_e32 v22, v22, v27
	v_xor_b32_e32 v26, 1, v26
	s_delay_alu instid0(VALU_DEP_2) | instskip(NEXT) | instid1(VALU_DEP_1)
	v_and_b32_e32 v20, 0x1fffff, v22
	v_add_nc_u32_e32 v22, v20, v27
                                        ; implicit-def: $vgpr20
	s_delay_alu instid0(VALU_DEP_3)
	v_cmpx_ne_u32_e64 v23, v26
	s_xor_b32 s13, exec_lo, s13
; %bb.16235:                            ;   in Loop: Header=BB6_15906 Depth=3
	s_delay_alu instid0(VALU_DEP_2) | instskip(SKIP_2) | instid1(VALU_DEP_2)
	v_cmp_lt_u32_e32 vcc_lo, 0xffffff, v22
	v_sub_nc_u32_e32 v20, v23, v26
	v_cndmask_b32_e64 v23, 0, 1, vcc_lo
	v_add_co_ci_u32_e32 v20, vcc_lo, 0, v20, vcc_lo
	s_delay_alu instid0(VALU_DEP_2)
	v_lshrrev_b32_e32 v22, v23, v22
; %bb.16236:                            ;   in Loop: Header=BB6_15906 Depth=3
	s_and_not1_saveexec_b32 s13, s13
; %bb.16237:                            ;   in Loop: Header=BB6_15906 Depth=3
	s_delay_alu instid0(VALU_DEP_1)
	v_bfe_u32 v20, v22, 23, 1
; %bb.16238:                            ;   in Loop: Header=BB6_15906 Depth=3
	s_or_b32 exec_lo, exec_lo, s13
	v_lshrrev_b32_e32 v22, 21, v22
	s_delay_alu instid0(VALU_DEP_2) | instskip(SKIP_2) | instid1(VALU_DEP_4)
	v_cmp_gt_i32_e32 vcc_lo, 32, v20
	v_lshrrev_b32_e32 v14, 24, v14
	v_min_i32_e32 v23, 31, v20
	v_cndmask_b32_e32 v22, 3, v22, vcc_lo
	s_delay_alu instid0(VALU_DEP_3) | instskip(NEXT) | instid1(VALU_DEP_3)
	v_and_b32_e32 v14, 0x80, v14
	v_lshlrev_b32_e32 v23, 2, v23
	s_delay_alu instid0(VALU_DEP_3) | instskip(SKIP_1) | instid1(VALU_DEP_2)
	v_and_b32_e32 v26, 3, v22
	v_or_b32_e32 v20, v20, v22
	v_or3_b32 v14, v23, v14, v26
	s_delay_alu instid0(VALU_DEP_2) | instskip(NEXT) | instid1(VALU_DEP_2)
	v_cmp_ne_u32_e32 vcc_lo, 0, v20
	v_cndmask_b32_e32 v81, 0, v14, vcc_lo
.LBB6_16239:                            ;   in Loop: Header=BB6_15906 Depth=3
	s_or_b32 exec_lo, exec_lo, s30
.LBB6_16240:                            ;   in Loop: Header=BB6_15906 Depth=3
	s_delay_alu instid0(SALU_CYCLE_1)
	s_or_b32 exec_lo, exec_lo, s17
	flat_load_u8 v14, v[8:9] offset:864 slc dlc
	s_mov_b32 s13, 0
	s_mov_b32 s30, exec_lo
                                        ; implicit-def: $sgpr17
	s_waitcnt vmcnt(0) lgkmcnt(0)
	v_cmpx_lt_i16_e32 0x7f, v14
	s_xor_b32 s30, exec_lo, s30
	s_cbranch_execnz .LBB6_16921
; %bb.16241:                            ;   in Loop: Header=BB6_15906 Depth=3
	s_or_saveexec_b32 s30, s30
	v_mov_b32_e32 v20, s17
	s_xor_b32 exec_lo, exec_lo, s30
	s_cbranch_execnz .LBB6_16924
.LBB6_16242:                            ;   in Loop: Header=BB6_15906 Depth=3
	s_or_b32 exec_lo, exec_lo, s30
	s_and_saveexec_b32 s17, s13
	s_cbranch_execz .LBB6_16244
.LBB6_16243:                            ;   in Loop: Header=BB6_15906 Depth=3
	v_and_b32_e32 v20, 0xffff, v14
	v_lshlrev_b32_e32 v14, 24, v14
	s_delay_alu instid0(VALU_DEP_2) | instskip(NEXT) | instid1(VALU_DEP_2)
	v_and_b32_e32 v22, 3, v20
	v_and_b32_e32 v14, 0x80000000, v14
	s_delay_alu instid0(VALU_DEP_2) | instskip(NEXT) | instid1(VALU_DEP_1)
	v_clz_i32_u32_e32 v23, v22
	v_min_u32_e32 v23, 32, v23
	s_delay_alu instid0(VALU_DEP_1) | instskip(SKIP_1) | instid1(VALU_DEP_2)
	v_subrev_nc_u32_e32 v26, 29, v23
	v_sub_nc_u32_e32 v23, 30, v23
	v_lshlrev_b32_e32 v26, v26, v20
	v_bfe_u32 v20, v20, 2, 5
	s_delay_alu instid0(VALU_DEP_2) | instskip(NEXT) | instid1(VALU_DEP_2)
	v_and_b32_e32 v26, 3, v26
	v_cmp_eq_u32_e32 vcc_lo, 0, v20
	v_cndmask_b32_e32 v20, v20, v23, vcc_lo
	s_delay_alu instid0(VALU_DEP_3) | instskip(NEXT) | instid1(VALU_DEP_2)
	v_cndmask_b32_e32 v22, v22, v26, vcc_lo
	v_lshl_add_u32 v20, v20, 23, 0x37800000
	s_delay_alu instid0(VALU_DEP_2) | instskip(NEXT) | instid1(VALU_DEP_1)
	v_lshlrev_b32_e32 v22, 21, v22
	v_or3_b32 v20, v14, v20, v22
.LBB6_16244:                            ;   in Loop: Header=BB6_15906 Depth=3
	s_or_b32 exec_lo, exec_lo, s17
	s_delay_alu instid0(VALU_DEP_1) | instskip(SKIP_2) | instid1(VALU_DEP_2)
	v_mul_f32_e32 v14, v15, v20
	v_mov_b32_e32 v70, 0x80
	s_mov_b32 s17, exec_lo
	v_and_b32_e32 v20, 0x7f800000, v14
	s_delay_alu instid0(VALU_DEP_1)
	v_cmpx_ne_u32_e32 0x7f800000, v20
	s_cbranch_execz .LBB6_16252
; %bb.16245:                            ;   in Loop: Header=BB6_15906 Depth=3
	v_mov_b32_e32 v70, 0
	s_mov_b32 s30, exec_lo
	v_cmpx_ne_u32_e32 0, v14
	s_cbranch_execz .LBB6_16251
; %bb.16246:                            ;   in Loop: Header=BB6_15906 Depth=3
	v_bfe_u32 v20, v14, 23, 8
	s_delay_alu instid0(VALU_DEP_1) | instskip(SKIP_1) | instid1(VALU_DEP_2)
	v_sub_nc_u32_e32 v23, 0x70, v20
	v_cmp_gt_u32_e32 vcc_lo, 0x71, v20
	v_dual_cndmask_b32 v23, 0, v23 :: v_dual_and_b32 v22, 0x7fffff, v14
	s_delay_alu instid0(VALU_DEP_1) | instskip(SKIP_2) | instid1(VALU_DEP_4)
	v_or_b32_e32 v26, 0x800000, v22
	v_cmp_eq_u32_e32 vcc_lo, 0, v20
	v_add_nc_u32_e32 v20, 0xffffff91, v20
	v_cndmask_b32_e64 v23, v23, 0x6f, vcc_lo
	s_delay_alu instid0(VALU_DEP_2) | instskip(SKIP_1) | instid1(VALU_DEP_3)
	v_cndmask_b32_e64 v20, v20, 0xffffff92, vcc_lo
	v_cndmask_b32_e32 v22, v26, v22, vcc_lo
	v_lshl_add_u32 v26, 0x200000, v23, -1
	v_lshlrev_b32_e64 v37, v23, 0x100000
	s_delay_alu instid0(VALU_DEP_3) | instskip(SKIP_1) | instid1(VALU_DEP_4)
	v_lshrrev_b32_e32 v27, v23, v22
	v_add_nc_u32_e32 v23, v23, v20
	v_and_b32_e32 v22, v26, v22
	s_delay_alu instid0(VALU_DEP_3) | instskip(NEXT) | instid1(VALU_DEP_2)
	v_bfe_u32 v36, v27, 21, 1
	v_cmp_eq_u32_e64 s13, v22, v37
	s_delay_alu instid0(VALU_DEP_2) | instskip(NEXT) | instid1(VALU_DEP_1)
	v_add_nc_u32_e32 v26, -1, v36
	v_cndmask_b32_e64 v22, 0, v26, s13
	v_lshrrev_b32_e32 v26, 23, v27
	s_mov_b32 s13, exec_lo
	s_delay_alu instid0(VALU_DEP_2) | instskip(NEXT) | instid1(VALU_DEP_2)
	v_add_nc_u32_e32 v22, v22, v27
	v_xor_b32_e32 v26, 1, v26
	s_delay_alu instid0(VALU_DEP_2) | instskip(NEXT) | instid1(VALU_DEP_1)
	v_and_b32_e32 v20, 0x1fffff, v22
	v_add_nc_u32_e32 v22, v20, v27
                                        ; implicit-def: $vgpr20
	s_delay_alu instid0(VALU_DEP_3)
	v_cmpx_ne_u32_e64 v23, v26
	s_xor_b32 s13, exec_lo, s13
; %bb.16247:                            ;   in Loop: Header=BB6_15906 Depth=3
	s_delay_alu instid0(VALU_DEP_2) | instskip(SKIP_2) | instid1(VALU_DEP_2)
	v_cmp_lt_u32_e32 vcc_lo, 0xffffff, v22
	v_sub_nc_u32_e32 v20, v23, v26
	v_cndmask_b32_e64 v23, 0, 1, vcc_lo
	v_add_co_ci_u32_e32 v20, vcc_lo, 0, v20, vcc_lo
	s_delay_alu instid0(VALU_DEP_2)
	v_lshrrev_b32_e32 v22, v23, v22
; %bb.16248:                            ;   in Loop: Header=BB6_15906 Depth=3
	s_and_not1_saveexec_b32 s13, s13
; %bb.16249:                            ;   in Loop: Header=BB6_15906 Depth=3
	s_delay_alu instid0(VALU_DEP_1)
	v_bfe_u32 v20, v22, 23, 1
; %bb.16250:                            ;   in Loop: Header=BB6_15906 Depth=3
	s_or_b32 exec_lo, exec_lo, s13
	v_lshrrev_b32_e32 v22, 21, v22
	s_delay_alu instid0(VALU_DEP_2) | instskip(SKIP_2) | instid1(VALU_DEP_4)
	v_cmp_gt_i32_e32 vcc_lo, 32, v20
	v_lshrrev_b32_e32 v14, 24, v14
	v_min_i32_e32 v23, 31, v20
	v_cndmask_b32_e32 v22, 3, v22, vcc_lo
	s_delay_alu instid0(VALU_DEP_3) | instskip(NEXT) | instid1(VALU_DEP_3)
	v_and_b32_e32 v14, 0x80, v14
	v_lshlrev_b32_e32 v23, 2, v23
	s_delay_alu instid0(VALU_DEP_3) | instskip(SKIP_1) | instid1(VALU_DEP_2)
	v_and_b32_e32 v26, 3, v22
	v_or_b32_e32 v20, v20, v22
	v_or3_b32 v14, v23, v14, v26
	s_delay_alu instid0(VALU_DEP_2) | instskip(NEXT) | instid1(VALU_DEP_2)
	v_cmp_ne_u32_e32 vcc_lo, 0, v20
	v_cndmask_b32_e32 v70, 0, v14, vcc_lo
.LBB6_16251:                            ;   in Loop: Header=BB6_15906 Depth=3
	s_or_b32 exec_lo, exec_lo, s30
.LBB6_16252:                            ;   in Loop: Header=BB6_15906 Depth=3
	s_delay_alu instid0(SALU_CYCLE_1)
	s_or_b32 exec_lo, exec_lo, s17
	flat_load_u8 v14, v[8:9] offset:896 slc dlc
	s_mov_b32 s13, 0
	s_mov_b32 s30, exec_lo
                                        ; implicit-def: $sgpr17
	s_waitcnt vmcnt(0) lgkmcnt(0)
	v_cmpx_lt_i16_e32 0x7f, v14
	s_xor_b32 s30, exec_lo, s30
	s_cbranch_execnz .LBB6_16925
; %bb.16253:                            ;   in Loop: Header=BB6_15906 Depth=3
	s_or_saveexec_b32 s30, s30
	v_mov_b32_e32 v20, s17
	s_xor_b32 exec_lo, exec_lo, s30
	s_cbranch_execnz .LBB6_16928
.LBB6_16254:                            ;   in Loop: Header=BB6_15906 Depth=3
	s_or_b32 exec_lo, exec_lo, s30
	s_and_saveexec_b32 s17, s13
	s_cbranch_execz .LBB6_16256
.LBB6_16255:                            ;   in Loop: Header=BB6_15906 Depth=3
	v_and_b32_e32 v20, 0xffff, v14
	v_lshlrev_b32_e32 v14, 24, v14
	s_delay_alu instid0(VALU_DEP_2) | instskip(NEXT) | instid1(VALU_DEP_2)
	v_and_b32_e32 v22, 3, v20
	v_and_b32_e32 v14, 0x80000000, v14
	s_delay_alu instid0(VALU_DEP_2) | instskip(NEXT) | instid1(VALU_DEP_1)
	v_clz_i32_u32_e32 v23, v22
	v_min_u32_e32 v23, 32, v23
	s_delay_alu instid0(VALU_DEP_1) | instskip(SKIP_1) | instid1(VALU_DEP_2)
	v_subrev_nc_u32_e32 v26, 29, v23
	v_sub_nc_u32_e32 v23, 30, v23
	v_lshlrev_b32_e32 v26, v26, v20
	v_bfe_u32 v20, v20, 2, 5
	s_delay_alu instid0(VALU_DEP_2) | instskip(NEXT) | instid1(VALU_DEP_2)
	v_and_b32_e32 v26, 3, v26
	v_cmp_eq_u32_e32 vcc_lo, 0, v20
	v_cndmask_b32_e32 v20, v20, v23, vcc_lo
	s_delay_alu instid0(VALU_DEP_3) | instskip(NEXT) | instid1(VALU_DEP_2)
	v_cndmask_b32_e32 v22, v22, v26, vcc_lo
	v_lshl_add_u32 v20, v20, 23, 0x37800000
	s_delay_alu instid0(VALU_DEP_2) | instskip(NEXT) | instid1(VALU_DEP_1)
	v_lshlrev_b32_e32 v22, 21, v22
	v_or3_b32 v20, v14, v20, v22
.LBB6_16256:                            ;   in Loop: Header=BB6_15906 Depth=3
	s_or_b32 exec_lo, exec_lo, s17
	s_delay_alu instid0(VALU_DEP_1) | instskip(SKIP_1) | instid1(VALU_DEP_1)
	v_dual_mul_f32 v14, v15, v20 :: v_dual_mov_b32 v69, 0x80
	s_mov_b32 s17, exec_lo
	v_and_b32_e32 v20, 0x7f800000, v14
	s_delay_alu instid0(VALU_DEP_1)
	v_cmpx_ne_u32_e32 0x7f800000, v20
	s_cbranch_execz .LBB6_16264
; %bb.16257:                            ;   in Loop: Header=BB6_15906 Depth=3
	v_mov_b32_e32 v69, 0
	s_mov_b32 s30, exec_lo
	v_cmpx_ne_u32_e32 0, v14
	s_cbranch_execz .LBB6_16263
; %bb.16258:                            ;   in Loop: Header=BB6_15906 Depth=3
	v_bfe_u32 v20, v14, 23, 8
	s_delay_alu instid0(VALU_DEP_1) | instskip(SKIP_1) | instid1(VALU_DEP_2)
	v_sub_nc_u32_e32 v23, 0x70, v20
	v_cmp_gt_u32_e32 vcc_lo, 0x71, v20
	v_dual_cndmask_b32 v23, 0, v23 :: v_dual_and_b32 v22, 0x7fffff, v14
	s_delay_alu instid0(VALU_DEP_1) | instskip(SKIP_2) | instid1(VALU_DEP_4)
	v_or_b32_e32 v26, 0x800000, v22
	v_cmp_eq_u32_e32 vcc_lo, 0, v20
	v_add_nc_u32_e32 v20, 0xffffff91, v20
	v_cndmask_b32_e64 v23, v23, 0x6f, vcc_lo
	s_delay_alu instid0(VALU_DEP_2) | instskip(SKIP_1) | instid1(VALU_DEP_3)
	v_cndmask_b32_e64 v20, v20, 0xffffff92, vcc_lo
	v_cndmask_b32_e32 v22, v26, v22, vcc_lo
	v_lshl_add_u32 v26, 0x200000, v23, -1
	v_lshlrev_b32_e64 v37, v23, 0x100000
	s_delay_alu instid0(VALU_DEP_3) | instskip(SKIP_1) | instid1(VALU_DEP_4)
	v_lshrrev_b32_e32 v27, v23, v22
	v_add_nc_u32_e32 v23, v23, v20
	v_and_b32_e32 v22, v26, v22
	s_delay_alu instid0(VALU_DEP_3) | instskip(NEXT) | instid1(VALU_DEP_2)
	v_bfe_u32 v36, v27, 21, 1
	v_cmp_eq_u32_e64 s13, v22, v37
	s_delay_alu instid0(VALU_DEP_2) | instskip(NEXT) | instid1(VALU_DEP_1)
	v_add_nc_u32_e32 v26, -1, v36
	v_cndmask_b32_e64 v22, 0, v26, s13
	v_lshrrev_b32_e32 v26, 23, v27
	s_mov_b32 s13, exec_lo
	s_delay_alu instid0(VALU_DEP_2) | instskip(NEXT) | instid1(VALU_DEP_2)
	v_add_nc_u32_e32 v22, v22, v27
	v_xor_b32_e32 v26, 1, v26
	s_delay_alu instid0(VALU_DEP_2) | instskip(NEXT) | instid1(VALU_DEP_1)
	v_and_b32_e32 v20, 0x1fffff, v22
	v_add_nc_u32_e32 v22, v20, v27
                                        ; implicit-def: $vgpr20
	s_delay_alu instid0(VALU_DEP_3)
	v_cmpx_ne_u32_e64 v23, v26
	s_xor_b32 s13, exec_lo, s13
; %bb.16259:                            ;   in Loop: Header=BB6_15906 Depth=3
	s_delay_alu instid0(VALU_DEP_2) | instskip(SKIP_2) | instid1(VALU_DEP_2)
	v_cmp_lt_u32_e32 vcc_lo, 0xffffff, v22
	v_sub_nc_u32_e32 v20, v23, v26
	v_cndmask_b32_e64 v23, 0, 1, vcc_lo
	v_add_co_ci_u32_e32 v20, vcc_lo, 0, v20, vcc_lo
	s_delay_alu instid0(VALU_DEP_2)
	v_lshrrev_b32_e32 v22, v23, v22
; %bb.16260:                            ;   in Loop: Header=BB6_15906 Depth=3
	s_and_not1_saveexec_b32 s13, s13
; %bb.16261:                            ;   in Loop: Header=BB6_15906 Depth=3
	s_delay_alu instid0(VALU_DEP_1)
	v_bfe_u32 v20, v22, 23, 1
; %bb.16262:                            ;   in Loop: Header=BB6_15906 Depth=3
	s_or_b32 exec_lo, exec_lo, s13
	v_lshrrev_b32_e32 v22, 21, v22
	s_delay_alu instid0(VALU_DEP_2) | instskip(SKIP_2) | instid1(VALU_DEP_4)
	v_cmp_gt_i32_e32 vcc_lo, 32, v20
	v_lshrrev_b32_e32 v14, 24, v14
	v_min_i32_e32 v23, 31, v20
	v_cndmask_b32_e32 v22, 3, v22, vcc_lo
	s_delay_alu instid0(VALU_DEP_3) | instskip(NEXT) | instid1(VALU_DEP_3)
	v_and_b32_e32 v14, 0x80, v14
	v_lshlrev_b32_e32 v23, 2, v23
	s_delay_alu instid0(VALU_DEP_3) | instskip(SKIP_1) | instid1(VALU_DEP_2)
	v_and_b32_e32 v26, 3, v22
	v_or_b32_e32 v20, v20, v22
	v_or3_b32 v14, v23, v14, v26
	s_delay_alu instid0(VALU_DEP_2) | instskip(NEXT) | instid1(VALU_DEP_2)
	v_cmp_ne_u32_e32 vcc_lo, 0, v20
	v_cndmask_b32_e32 v69, 0, v14, vcc_lo
.LBB6_16263:                            ;   in Loop: Header=BB6_15906 Depth=3
	s_or_b32 exec_lo, exec_lo, s30
.LBB6_16264:                            ;   in Loop: Header=BB6_15906 Depth=3
	s_delay_alu instid0(SALU_CYCLE_1)
	s_or_b32 exec_lo, exec_lo, s17
	flat_load_u8 v14, v[8:9] offset:928 slc dlc
	s_mov_b32 s13, 0
	s_mov_b32 s30, exec_lo
                                        ; implicit-def: $sgpr17
	s_waitcnt vmcnt(0) lgkmcnt(0)
	v_cmpx_lt_i16_e32 0x7f, v14
	s_xor_b32 s30, exec_lo, s30
	s_cbranch_execnz .LBB6_16929
; %bb.16265:                            ;   in Loop: Header=BB6_15906 Depth=3
	s_or_saveexec_b32 s30, s30
	v_mov_b32_e32 v20, s17
	s_xor_b32 exec_lo, exec_lo, s30
	s_cbranch_execnz .LBB6_16932
.LBB6_16266:                            ;   in Loop: Header=BB6_15906 Depth=3
	s_or_b32 exec_lo, exec_lo, s30
	s_and_saveexec_b32 s17, s13
	s_cbranch_execz .LBB6_16268
.LBB6_16267:                            ;   in Loop: Header=BB6_15906 Depth=3
	v_and_b32_e32 v20, 0xffff, v14
	v_lshlrev_b32_e32 v14, 24, v14
	s_delay_alu instid0(VALU_DEP_2) | instskip(NEXT) | instid1(VALU_DEP_2)
	v_and_b32_e32 v22, 3, v20
	v_and_b32_e32 v14, 0x80000000, v14
	s_delay_alu instid0(VALU_DEP_2) | instskip(NEXT) | instid1(VALU_DEP_1)
	v_clz_i32_u32_e32 v23, v22
	v_min_u32_e32 v23, 32, v23
	s_delay_alu instid0(VALU_DEP_1) | instskip(SKIP_1) | instid1(VALU_DEP_2)
	v_subrev_nc_u32_e32 v26, 29, v23
	v_sub_nc_u32_e32 v23, 30, v23
	v_lshlrev_b32_e32 v26, v26, v20
	v_bfe_u32 v20, v20, 2, 5
	s_delay_alu instid0(VALU_DEP_2) | instskip(NEXT) | instid1(VALU_DEP_2)
	v_and_b32_e32 v26, 3, v26
	v_cmp_eq_u32_e32 vcc_lo, 0, v20
	v_cndmask_b32_e32 v20, v20, v23, vcc_lo
	s_delay_alu instid0(VALU_DEP_3) | instskip(NEXT) | instid1(VALU_DEP_2)
	v_cndmask_b32_e32 v22, v22, v26, vcc_lo
	v_lshl_add_u32 v20, v20, 23, 0x37800000
	s_delay_alu instid0(VALU_DEP_2) | instskip(NEXT) | instid1(VALU_DEP_1)
	v_lshlrev_b32_e32 v22, 21, v22
	v_or3_b32 v20, v14, v20, v22
.LBB6_16268:                            ;   in Loop: Header=BB6_15906 Depth=3
	s_or_b32 exec_lo, exec_lo, s17
	s_delay_alu instid0(VALU_DEP_1) | instskip(SKIP_2) | instid1(VALU_DEP_2)
	v_mul_f32_e32 v14, v15, v20
	v_mov_b32_e32 v22, 0x80
	s_mov_b32 s17, exec_lo
	v_and_b32_e32 v20, 0x7f800000, v14
	s_delay_alu instid0(VALU_DEP_1)
	v_cmpx_ne_u32_e32 0x7f800000, v20
	s_cbranch_execz .LBB6_16276
; %bb.16269:                            ;   in Loop: Header=BB6_15906 Depth=3
	v_mov_b32_e32 v22, 0
	s_mov_b32 s30, exec_lo
	v_cmpx_ne_u32_e32 0, v14
	s_cbranch_execz .LBB6_16275
; %bb.16270:                            ;   in Loop: Header=BB6_15906 Depth=3
	v_bfe_u32 v20, v14, 23, 8
	s_delay_alu instid0(VALU_DEP_1) | instskip(SKIP_1) | instid1(VALU_DEP_2)
	v_sub_nc_u32_e32 v23, 0x70, v20
	v_cmp_gt_u32_e32 vcc_lo, 0x71, v20
	v_dual_cndmask_b32 v23, 0, v23 :: v_dual_and_b32 v22, 0x7fffff, v14
	s_delay_alu instid0(VALU_DEP_1) | instskip(SKIP_2) | instid1(VALU_DEP_4)
	v_or_b32_e32 v26, 0x800000, v22
	v_cmp_eq_u32_e32 vcc_lo, 0, v20
	v_add_nc_u32_e32 v20, 0xffffff91, v20
	v_cndmask_b32_e64 v23, v23, 0x6f, vcc_lo
	s_delay_alu instid0(VALU_DEP_2) | instskip(SKIP_1) | instid1(VALU_DEP_3)
	v_cndmask_b32_e64 v20, v20, 0xffffff92, vcc_lo
	v_cndmask_b32_e32 v22, v26, v22, vcc_lo
	v_lshl_add_u32 v26, 0x200000, v23, -1
	v_lshlrev_b32_e64 v37, v23, 0x100000
	s_delay_alu instid0(VALU_DEP_3) | instskip(SKIP_1) | instid1(VALU_DEP_4)
	v_lshrrev_b32_e32 v27, v23, v22
	v_add_nc_u32_e32 v23, v23, v20
	v_and_b32_e32 v22, v26, v22
	s_delay_alu instid0(VALU_DEP_3) | instskip(NEXT) | instid1(VALU_DEP_2)
	v_bfe_u32 v36, v27, 21, 1
	v_cmp_eq_u32_e64 s13, v22, v37
	s_delay_alu instid0(VALU_DEP_2) | instskip(NEXT) | instid1(VALU_DEP_1)
	v_add_nc_u32_e32 v26, -1, v36
	v_cndmask_b32_e64 v22, 0, v26, s13
	v_lshrrev_b32_e32 v26, 23, v27
	s_mov_b32 s13, exec_lo
	s_delay_alu instid0(VALU_DEP_2) | instskip(NEXT) | instid1(VALU_DEP_2)
	v_add_nc_u32_e32 v22, v22, v27
	v_xor_b32_e32 v26, 1, v26
	s_delay_alu instid0(VALU_DEP_2) | instskip(NEXT) | instid1(VALU_DEP_1)
	v_and_b32_e32 v20, 0x1fffff, v22
	v_add_nc_u32_e32 v22, v20, v27
                                        ; implicit-def: $vgpr20
	s_delay_alu instid0(VALU_DEP_3)
	v_cmpx_ne_u32_e64 v23, v26
	s_xor_b32 s13, exec_lo, s13
; %bb.16271:                            ;   in Loop: Header=BB6_15906 Depth=3
	s_delay_alu instid0(VALU_DEP_2) | instskip(SKIP_2) | instid1(VALU_DEP_2)
	v_cmp_lt_u32_e32 vcc_lo, 0xffffff, v22
	v_sub_nc_u32_e32 v20, v23, v26
	v_cndmask_b32_e64 v23, 0, 1, vcc_lo
	v_add_co_ci_u32_e32 v20, vcc_lo, 0, v20, vcc_lo
	s_delay_alu instid0(VALU_DEP_2)
	v_lshrrev_b32_e32 v22, v23, v22
; %bb.16272:                            ;   in Loop: Header=BB6_15906 Depth=3
	s_and_not1_saveexec_b32 s13, s13
; %bb.16273:                            ;   in Loop: Header=BB6_15906 Depth=3
	s_delay_alu instid0(VALU_DEP_1)
	v_bfe_u32 v20, v22, 23, 1
; %bb.16274:                            ;   in Loop: Header=BB6_15906 Depth=3
	s_or_b32 exec_lo, exec_lo, s13
	v_lshrrev_b32_e32 v22, 21, v22
	s_delay_alu instid0(VALU_DEP_2) | instskip(SKIP_2) | instid1(VALU_DEP_4)
	v_cmp_gt_i32_e32 vcc_lo, 32, v20
	v_lshrrev_b32_e32 v14, 24, v14
	v_min_i32_e32 v23, 31, v20
	v_cndmask_b32_e32 v22, 3, v22, vcc_lo
	s_delay_alu instid0(VALU_DEP_3) | instskip(NEXT) | instid1(VALU_DEP_3)
	v_and_b32_e32 v14, 0x80, v14
	v_lshlrev_b32_e32 v23, 2, v23
	s_delay_alu instid0(VALU_DEP_3) | instskip(SKIP_1) | instid1(VALU_DEP_2)
	v_and_b32_e32 v26, 3, v22
	v_or_b32_e32 v20, v20, v22
	v_or3_b32 v14, v23, v14, v26
	s_delay_alu instid0(VALU_DEP_2) | instskip(NEXT) | instid1(VALU_DEP_2)
	v_cmp_ne_u32_e32 vcc_lo, 0, v20
	v_cndmask_b32_e32 v22, 0, v14, vcc_lo
.LBB6_16275:                            ;   in Loop: Header=BB6_15906 Depth=3
	s_or_b32 exec_lo, exec_lo, s30
.LBB6_16276:                            ;   in Loop: Header=BB6_15906 Depth=3
	s_delay_alu instid0(SALU_CYCLE_1)
	s_or_b32 exec_lo, exec_lo, s17
	flat_load_u8 v14, v[8:9] offset:960 slc dlc
	s_mov_b32 s13, 0
	s_mov_b32 s30, exec_lo
                                        ; implicit-def: $sgpr17
	s_waitcnt vmcnt(0) lgkmcnt(0)
	v_cmpx_lt_i16_e32 0x7f, v14
	s_xor_b32 s30, exec_lo, s30
	s_cbranch_execnz .LBB6_16933
; %bb.16277:                            ;   in Loop: Header=BB6_15906 Depth=3
	s_or_saveexec_b32 s30, s30
	v_mov_b32_e32 v20, s17
	s_xor_b32 exec_lo, exec_lo, s30
	s_cbranch_execnz .LBB6_16936
.LBB6_16278:                            ;   in Loop: Header=BB6_15906 Depth=3
	s_or_b32 exec_lo, exec_lo, s30
	s_and_saveexec_b32 s17, s13
	s_cbranch_execz .LBB6_16280
.LBB6_16279:                            ;   in Loop: Header=BB6_15906 Depth=3
	v_and_b32_e32 v20, 0xffff, v14
	v_lshlrev_b32_e32 v14, 24, v14
	s_delay_alu instid0(VALU_DEP_2) | instskip(NEXT) | instid1(VALU_DEP_2)
	v_and_b32_e32 v23, 3, v20
	v_and_b32_e32 v14, 0x80000000, v14
	s_delay_alu instid0(VALU_DEP_2) | instskip(NEXT) | instid1(VALU_DEP_1)
	v_clz_i32_u32_e32 v26, v23
	v_min_u32_e32 v26, 32, v26
	s_delay_alu instid0(VALU_DEP_1) | instskip(SKIP_1) | instid1(VALU_DEP_2)
	v_subrev_nc_u32_e32 v27, 29, v26
	v_sub_nc_u32_e32 v26, 30, v26
	v_lshlrev_b32_e32 v27, v27, v20
	v_bfe_u32 v20, v20, 2, 5
	s_delay_alu instid0(VALU_DEP_2) | instskip(NEXT) | instid1(VALU_DEP_2)
	v_and_b32_e32 v27, 3, v27
	v_cmp_eq_u32_e32 vcc_lo, 0, v20
	s_delay_alu instid0(VALU_DEP_2) | instskip(NEXT) | instid1(VALU_DEP_1)
	v_dual_cndmask_b32 v20, v20, v26 :: v_dual_cndmask_b32 v23, v23, v27
	v_lshl_add_u32 v20, v20, 23, 0x37800000
	s_delay_alu instid0(VALU_DEP_2) | instskip(NEXT) | instid1(VALU_DEP_1)
	v_lshlrev_b32_e32 v23, 21, v23
	v_or3_b32 v20, v14, v20, v23
.LBB6_16280:                            ;   in Loop: Header=BB6_15906 Depth=3
	s_or_b32 exec_lo, exec_lo, s17
	s_delay_alu instid0(VALU_DEP_1) | instskip(NEXT) | instid1(VALU_DEP_1)
	v_mul_f32_e32 v14, v15, v20
	v_and_b32_e32 v20, 0x7f800000, v14
	s_delay_alu instid0(VALU_DEP_1)
	v_cmp_ne_u32_e32 vcc_lo, 0x7f800000, v20
	v_mov_b32_e32 v20, 0x80
	s_and_saveexec_b32 s17, vcc_lo
	s_cbranch_execz .LBB6_16288
; %bb.16281:                            ;   in Loop: Header=BB6_15906 Depth=3
	v_mov_b32_e32 v20, 0
	s_mov_b32 s30, exec_lo
	v_cmpx_ne_u32_e32 0, v14
	s_cbranch_execz .LBB6_16287
; %bb.16282:                            ;   in Loop: Header=BB6_15906 Depth=3
	v_bfe_u32 v20, v14, 23, 8
	v_and_b32_e32 v23, 0x7fffff, v14
	s_delay_alu instid0(VALU_DEP_2) | instskip(SKIP_1) | instid1(VALU_DEP_3)
	v_sub_nc_u32_e32 v26, 0x70, v20
	v_cmp_gt_u32_e32 vcc_lo, 0x71, v20
	v_or_b32_e32 v27, 0x800000, v23
	s_delay_alu instid0(VALU_DEP_3) | instskip(SKIP_1) | instid1(VALU_DEP_3)
	v_cndmask_b32_e32 v26, 0, v26, vcc_lo
	v_cmp_eq_u32_e32 vcc_lo, 0, v20
	v_dual_cndmask_b32 v23, v27, v23 :: v_dual_add_nc_u32 v20, 0xffffff91, v20
	s_delay_alu instid0(VALU_DEP_3) | instskip(NEXT) | instid1(VALU_DEP_2)
	v_cndmask_b32_e64 v26, v26, 0x6f, vcc_lo
	v_cndmask_b32_e64 v20, v20, 0xffffff92, vcc_lo
	s_delay_alu instid0(VALU_DEP_2) | instskip(SKIP_2) | instid1(VALU_DEP_4)
	v_lshrrev_b32_e32 v36, v26, v23
	v_lshl_add_u32 v27, 0x200000, v26, -1
	v_lshlrev_b32_e64 v38, v26, 0x100000
	v_add_nc_u32_e32 v26, v26, v20
	s_delay_alu instid0(VALU_DEP_4) | instskip(NEXT) | instid1(VALU_DEP_4)
	v_bfe_u32 v37, v36, 21, 1
	v_and_b32_e32 v23, v27, v23
	s_delay_alu instid0(VALU_DEP_2) | instskip(NEXT) | instid1(VALU_DEP_2)
	v_add_nc_u32_e32 v27, -1, v37
	v_cmp_eq_u32_e64 s13, v23, v38
	s_delay_alu instid0(VALU_DEP_1) | instskip(SKIP_2) | instid1(VALU_DEP_2)
	v_cndmask_b32_e64 v23, 0, v27, s13
	v_lshrrev_b32_e32 v27, 23, v36
	s_mov_b32 s13, exec_lo
	v_add_nc_u32_e32 v23, v23, v36
	s_delay_alu instid0(VALU_DEP_2) | instskip(NEXT) | instid1(VALU_DEP_2)
	v_xor_b32_e32 v27, 1, v27
	v_and_b32_e32 v20, 0x1fffff, v23
	s_delay_alu instid0(VALU_DEP_1) | instskip(NEXT) | instid1(VALU_DEP_3)
	v_add_nc_u32_e32 v23, v20, v36
                                        ; implicit-def: $vgpr20
	v_cmpx_ne_u32_e64 v26, v27
	s_xor_b32 s13, exec_lo, s13
; %bb.16283:                            ;   in Loop: Header=BB6_15906 Depth=3
	s_delay_alu instid0(VALU_DEP_2) | instskip(SKIP_2) | instid1(VALU_DEP_2)
	v_cmp_lt_u32_e32 vcc_lo, 0xffffff, v23
	v_sub_nc_u32_e32 v20, v26, v27
	v_cndmask_b32_e64 v26, 0, 1, vcc_lo
	v_add_co_ci_u32_e32 v20, vcc_lo, 0, v20, vcc_lo
	s_delay_alu instid0(VALU_DEP_2)
	v_lshrrev_b32_e32 v23, v26, v23
; %bb.16284:                            ;   in Loop: Header=BB6_15906 Depth=3
	s_and_not1_saveexec_b32 s13, s13
; %bb.16285:                            ;   in Loop: Header=BB6_15906 Depth=3
	s_delay_alu instid0(VALU_DEP_1)
	v_bfe_u32 v20, v23, 23, 1
; %bb.16286:                            ;   in Loop: Header=BB6_15906 Depth=3
	s_or_b32 exec_lo, exec_lo, s13
	v_lshrrev_b32_e32 v23, 21, v23
	s_delay_alu instid0(VALU_DEP_2) | instskip(SKIP_2) | instid1(VALU_DEP_2)
	v_cmp_gt_i32_e32 vcc_lo, 32, v20
	v_lshrrev_b32_e32 v14, 24, v14
	v_min_i32_e32 v26, 31, v20
	v_dual_cndmask_b32 v23, 3, v23 :: v_dual_and_b32 v14, 0x80, v14
	s_delay_alu instid0(VALU_DEP_2) | instskip(NEXT) | instid1(VALU_DEP_2)
	v_lshlrev_b32_e32 v26, 2, v26
	v_or_b32_e32 v20, v20, v23
	s_delay_alu instid0(VALU_DEP_1) | instskip(SKIP_1) | instid1(VALU_DEP_1)
	v_cmp_ne_u32_e32 vcc_lo, 0, v20
	v_and_b32_e32 v27, 3, v23
	v_or3_b32 v14, v26, v14, v27
	s_delay_alu instid0(VALU_DEP_1)
	v_cndmask_b32_e32 v20, 0, v14, vcc_lo
.LBB6_16287:                            ;   in Loop: Header=BB6_15906 Depth=3
	s_or_b32 exec_lo, exec_lo, s30
.LBB6_16288:                            ;   in Loop: Header=BB6_15906 Depth=3
	s_delay_alu instid0(SALU_CYCLE_1)
	s_or_b32 exec_lo, exec_lo, s17
	flat_load_u8 v14, v[8:9] offset:992 slc dlc
	s_mov_b32 s13, 0
	s_mov_b32 s30, exec_lo
                                        ; implicit-def: $sgpr17
	s_waitcnt vmcnt(0) lgkmcnt(0)
	v_cmpx_lt_i16_e32 0x7f, v14
	s_xor_b32 s30, exec_lo, s30
	s_cbranch_execnz .LBB6_16937
; %bb.16289:                            ;   in Loop: Header=BB6_15906 Depth=3
	s_or_saveexec_b32 s30, s30
	v_mov_b32_e32 v23, s17
	s_xor_b32 exec_lo, exec_lo, s30
	s_cbranch_execnz .LBB6_16940
.LBB6_16290:                            ;   in Loop: Header=BB6_15906 Depth=3
	s_or_b32 exec_lo, exec_lo, s30
	s_and_saveexec_b32 s17, s13
	s_cbranch_execz .LBB6_16292
.LBB6_16291:                            ;   in Loop: Header=BB6_15906 Depth=3
	v_and_b32_e32 v23, 0xffff, v14
	v_lshlrev_b32_e32 v14, 24, v14
	s_delay_alu instid0(VALU_DEP_2) | instskip(NEXT) | instid1(VALU_DEP_2)
	v_and_b32_e32 v26, 3, v23
	v_and_b32_e32 v14, 0x80000000, v14
	s_delay_alu instid0(VALU_DEP_2) | instskip(NEXT) | instid1(VALU_DEP_1)
	v_clz_i32_u32_e32 v27, v26
	v_min_u32_e32 v27, 32, v27
	s_delay_alu instid0(VALU_DEP_1) | instskip(SKIP_1) | instid1(VALU_DEP_2)
	v_subrev_nc_u32_e32 v36, 29, v27
	v_sub_nc_u32_e32 v27, 30, v27
	v_lshlrev_b32_e32 v36, v36, v23
	v_bfe_u32 v23, v23, 2, 5
	s_delay_alu instid0(VALU_DEP_1) | instskip(NEXT) | instid1(VALU_DEP_3)
	v_cmp_eq_u32_e32 vcc_lo, 0, v23
	v_dual_cndmask_b32 v23, v23, v27 :: v_dual_and_b32 v36, 3, v36
	s_delay_alu instid0(VALU_DEP_1) | instskip(NEXT) | instid1(VALU_DEP_2)
	v_cndmask_b32_e32 v26, v26, v36, vcc_lo
	v_lshl_add_u32 v23, v23, 23, 0x37800000
	s_delay_alu instid0(VALU_DEP_2) | instskip(NEXT) | instid1(VALU_DEP_1)
	v_lshlrev_b32_e32 v26, 21, v26
	v_or3_b32 v23, v14, v23, v26
.LBB6_16292:                            ;   in Loop: Header=BB6_15906 Depth=3
	s_or_b32 exec_lo, exec_lo, s17
	s_delay_alu instid0(VALU_DEP_1) | instskip(NEXT) | instid1(VALU_DEP_1)
	v_mul_f32_e32 v14, v15, v23
	v_and_b32_e32 v15, 0x7f800000, v14
	s_delay_alu instid0(VALU_DEP_1)
	v_cmp_ne_u32_e32 vcc_lo, 0x7f800000, v15
	v_mov_b32_e32 v15, 0x80
	s_and_saveexec_b32 s17, vcc_lo
	s_cbranch_execz .LBB6_16300
; %bb.16293:                            ;   in Loop: Header=BB6_15906 Depth=3
	v_mov_b32_e32 v15, 0
	s_mov_b32 s30, exec_lo
	v_cmpx_ne_u32_e32 0, v14
	s_cbranch_execz .LBB6_16299
; %bb.16294:                            ;   in Loop: Header=BB6_15906 Depth=3
	v_bfe_u32 v15, v14, 23, 8
	v_and_b32_e32 v23, 0x7fffff, v14
	s_delay_alu instid0(VALU_DEP_2) | instskip(SKIP_1) | instid1(VALU_DEP_3)
	v_sub_nc_u32_e32 v26, 0x70, v15
	v_cmp_gt_u32_e32 vcc_lo, 0x71, v15
	v_or_b32_e32 v27, 0x800000, v23
	s_delay_alu instid0(VALU_DEP_3) | instskip(SKIP_2) | instid1(VALU_DEP_4)
	v_cndmask_b32_e32 v26, 0, v26, vcc_lo
	v_cmp_eq_u32_e32 vcc_lo, 0, v15
	v_add_nc_u32_e32 v15, 0xffffff91, v15
	v_cndmask_b32_e32 v23, v27, v23, vcc_lo
	s_delay_alu instid0(VALU_DEP_4) | instskip(NEXT) | instid1(VALU_DEP_3)
	v_cndmask_b32_e64 v26, v26, 0x6f, vcc_lo
	v_cndmask_b32_e64 v15, v15, 0xffffff92, vcc_lo
	s_delay_alu instid0(VALU_DEP_2) | instskip(SKIP_2) | instid1(VALU_DEP_4)
	v_lshrrev_b32_e32 v36, v26, v23
	v_lshl_add_u32 v27, 0x200000, v26, -1
	v_lshlrev_b32_e64 v38, v26, 0x100000
	v_add_nc_u32_e32 v26, v26, v15
	s_delay_alu instid0(VALU_DEP_4) | instskip(NEXT) | instid1(VALU_DEP_4)
	v_bfe_u32 v37, v36, 21, 1
	v_and_b32_e32 v23, v27, v23
	s_delay_alu instid0(VALU_DEP_2) | instskip(NEXT) | instid1(VALU_DEP_2)
	v_add_nc_u32_e32 v27, -1, v37
	v_cmp_eq_u32_e64 s13, v23, v38
	s_delay_alu instid0(VALU_DEP_1) | instskip(SKIP_2) | instid1(VALU_DEP_2)
	v_cndmask_b32_e64 v23, 0, v27, s13
	v_lshrrev_b32_e32 v27, 23, v36
	s_mov_b32 s13, exec_lo
	v_add_nc_u32_e32 v23, v23, v36
	s_delay_alu instid0(VALU_DEP_2) | instskip(NEXT) | instid1(VALU_DEP_2)
	v_xor_b32_e32 v27, 1, v27
	v_and_b32_e32 v15, 0x1fffff, v23
	s_delay_alu instid0(VALU_DEP_1) | instskip(NEXT) | instid1(VALU_DEP_3)
	v_add_nc_u32_e32 v23, v15, v36
                                        ; implicit-def: $vgpr15
	v_cmpx_ne_u32_e64 v26, v27
	s_xor_b32 s13, exec_lo, s13
; %bb.16295:                            ;   in Loop: Header=BB6_15906 Depth=3
	s_delay_alu instid0(VALU_DEP_2) | instskip(SKIP_2) | instid1(VALU_DEP_2)
	v_cmp_lt_u32_e32 vcc_lo, 0xffffff, v23
	v_sub_nc_u32_e32 v15, v26, v27
	v_cndmask_b32_e64 v26, 0, 1, vcc_lo
	v_add_co_ci_u32_e32 v15, vcc_lo, 0, v15, vcc_lo
	s_delay_alu instid0(VALU_DEP_2)
	v_lshrrev_b32_e32 v23, v26, v23
; %bb.16296:                            ;   in Loop: Header=BB6_15906 Depth=3
	s_and_not1_saveexec_b32 s13, s13
; %bb.16297:                            ;   in Loop: Header=BB6_15906 Depth=3
	s_delay_alu instid0(VALU_DEP_1)
	v_bfe_u32 v15, v23, 23, 1
; %bb.16298:                            ;   in Loop: Header=BB6_15906 Depth=3
	s_or_b32 exec_lo, exec_lo, s13
	v_lshrrev_b32_e32 v23, 21, v23
	s_delay_alu instid0(VALU_DEP_2) | instskip(SKIP_2) | instid1(VALU_DEP_2)
	v_cmp_gt_i32_e32 vcc_lo, 32, v15
	v_lshrrev_b32_e32 v14, 24, v14
	v_min_i32_e32 v26, 31, v15
	v_dual_cndmask_b32 v23, 3, v23 :: v_dual_and_b32 v14, 0x80, v14
	s_delay_alu instid0(VALU_DEP_2) | instskip(NEXT) | instid1(VALU_DEP_2)
	v_lshlrev_b32_e32 v26, 2, v26
	v_and_b32_e32 v27, 3, v23
	v_or_b32_e32 v15, v15, v23
	s_delay_alu instid0(VALU_DEP_2) | instskip(NEXT) | instid1(VALU_DEP_2)
	v_or3_b32 v14, v26, v14, v27
	v_cmp_ne_u32_e32 vcc_lo, 0, v15
	s_delay_alu instid0(VALU_DEP_2)
	v_cndmask_b32_e32 v15, 0, v14, vcc_lo
.LBB6_16299:                            ;   in Loop: Header=BB6_15906 Depth=3
	s_or_b32 exec_lo, exec_lo, s30
.LBB6_16300:                            ;   in Loop: Header=BB6_15906 Depth=3
	s_delay_alu instid0(SALU_CYCLE_1)
	s_or_b32 exec_lo, exec_lo, s17
	s_clause 0x1f
	flat_load_u8 v48, v[10:11] slc dlc
	flat_load_u8 v39, v[10:11] offset:32 slc dlc
	flat_load_u8 v38, v[10:11] offset:64 slc dlc
	flat_load_u8 v37, v[10:11] offset:96 slc dlc
	flat_load_u8 v36, v[10:11] offset:128 slc dlc
	flat_load_u8 v27, v[10:11] offset:160 slc dlc
	flat_load_u8 v26, v[10:11] offset:192 slc dlc
	flat_load_u8 v98, v[10:11] offset:224 slc dlc
	flat_load_u8 v73, v[10:11] offset:256 slc dlc
	flat_load_u8 v115, v[10:11] offset:288 slc dlc
	flat_load_u8 v132, v[10:11] offset:320 slc dlc
	flat_load_u8 v129, v[10:11] offset:352 slc dlc
	flat_load_u8 v72, v[10:11] offset:384 slc dlc
	flat_load_u8 v63, v[10:11] offset:416 slc dlc
	flat_load_u8 v62, v[10:11] offset:448 slc dlc
	flat_load_u8 v61, v[10:11] offset:480 slc dlc
	flat_load_u8 v103, v[10:11] offset:512 slc dlc
	flat_load_u8 v144, v[10:11] offset:544 slc dlc
	flat_load_u8 v96, v[10:11] offset:576 slc dlc
	flat_load_u8 v133, v[10:11] offset:608 slc dlc
	flat_load_u8 v60, v[10:11] offset:640 slc dlc
	flat_load_u8 v59, v[10:11] offset:672 slc dlc
	flat_load_u8 v58, v[10:11] offset:704 slc dlc
	flat_load_u8 v57, v[10:11] offset:736 slc dlc
	flat_load_u8 v45, v[10:11] offset:768 slc dlc
	flat_load_u8 v40, v[10:11] offset:800 slc dlc
	flat_load_u8 v179, v[10:11] offset:832 slc dlc
	flat_load_u8 v166, v[10:11] offset:864 slc dlc
	flat_load_u8 v160, v[10:11] offset:896 slc dlc
	flat_load_u8 v82, v[10:11] offset:928 slc dlc
	flat_load_u8 v23, v[10:11] offset:960 slc dlc
	flat_load_u8 v14, v[10:11] offset:992 slc dlc
	v_and_b32_e32 v52, 0xff, v21
	s_mov_b32 s13, 0
	s_mov_b32 s30, exec_lo
                                        ; implicit-def: $sgpr17
	s_delay_alu instid0(VALU_DEP_1)
	v_cmpx_lt_i16_e32 0x7f, v52
	s_xor_b32 s30, exec_lo, s30
	s_cbranch_execnz .LBB6_16941
; %bb.16301:                            ;   in Loop: Header=BB6_15906 Depth=3
	s_or_saveexec_b32 s30, s30
	v_mov_b32_e32 v49, s17
	s_xor_b32 exec_lo, exec_lo, s30
	s_cbranch_execnz .LBB6_16944
.LBB6_16302:                            ;   in Loop: Header=BB6_15906 Depth=3
	s_or_b32 exec_lo, exec_lo, s30
	s_and_saveexec_b32 s17, s13
	s_cbranch_execz .LBB6_16304
.LBB6_16303:                            ;   in Loop: Header=BB6_15906 Depth=3
	v_lshrrev_b16 v52, 2, v21
	s_delay_alu instid0(VALU_DEP_1) | instskip(NEXT) | instid1(VALU_DEP_1)
	v_and_b32_e32 v52, 31, v52
	v_cmp_eq_u32_e32 vcc_lo, 0, v52
	v_and_b32_e32 v49, 3, v21
	s_delay_alu instid0(VALU_DEP_1) | instskip(NEXT) | instid1(VALU_DEP_1)
	v_clz_i32_u32_e32 v50, v49
	v_min_u32_e32 v50, 32, v50
	s_delay_alu instid0(VALU_DEP_1) | instskip(SKIP_1) | instid1(VALU_DEP_1)
	v_subrev_nc_u32_e32 v51, 29, v50
	v_sub_nc_u32_e32 v50, 30, v50
	v_dual_cndmask_b32 v50, v52, v50 :: v_dual_lshlrev_b32 v51, v51, v21
	v_lshlrev_b32_e32 v21, 24, v21
	s_delay_alu instid0(VALU_DEP_2) | instskip(NEXT) | instid1(VALU_DEP_3)
	v_and_b32_e32 v51, 3, v51
	v_lshl_add_u32 v50, v50, 23, 0x37800000
	s_delay_alu instid0(VALU_DEP_3) | instskip(NEXT) | instid1(VALU_DEP_3)
	v_and_b32_e32 v21, 0x80000000, v21
	v_cndmask_b32_e32 v49, v49, v51, vcc_lo
	s_delay_alu instid0(VALU_DEP_1) | instskip(NEXT) | instid1(VALU_DEP_1)
	v_lshlrev_b32_e32 v49, 21, v49
	v_or3_b32 v49, v21, v50, v49
.LBB6_16304:                            ;   in Loop: Header=BB6_15906 Depth=3
	s_or_b32 exec_lo, exec_lo, s17
	s_waitcnt vmcnt(31) lgkmcnt(31)
	v_and_b32_e32 v52, 0xff, v48
	s_mov_b32 s13, 0
	s_mov_b32 s30, exec_lo
                                        ; implicit-def: $sgpr17
	s_delay_alu instid0(VALU_DEP_1)
	v_cmpx_lt_i16_e32 0x7f, v52
	s_xor_b32 s30, exec_lo, s30
	s_cbranch_execnz .LBB6_16945
; %bb.16305:                            ;   in Loop: Header=BB6_15906 Depth=3
	s_or_saveexec_b32 s30, s30
	v_mov_b32_e32 v21, s17
	s_xor_b32 exec_lo, exec_lo, s30
	s_cbranch_execnz .LBB6_16948
.LBB6_16306:                            ;   in Loop: Header=BB6_15906 Depth=3
	s_or_b32 exec_lo, exec_lo, s30
	s_and_saveexec_b32 s17, s13
	s_cbranch_execz .LBB6_16308
.LBB6_16307:                            ;   in Loop: Header=BB6_15906 Depth=3
	v_lshrrev_b16 v52, 2, v48
	s_delay_alu instid0(VALU_DEP_1) | instskip(NEXT) | instid1(VALU_DEP_1)
	v_and_b32_e32 v52, 31, v52
	v_cmp_eq_u32_e32 vcc_lo, 0, v52
	v_and_b32_e32 v21, 3, v48
	s_delay_alu instid0(VALU_DEP_1) | instskip(NEXT) | instid1(VALU_DEP_1)
	v_clz_i32_u32_e32 v50, v21
	v_min_u32_e32 v50, 32, v50
	s_delay_alu instid0(VALU_DEP_1) | instskip(SKIP_1) | instid1(VALU_DEP_1)
	v_subrev_nc_u32_e32 v51, 29, v50
	v_sub_nc_u32_e32 v50, 30, v50
	v_dual_cndmask_b32 v50, v52, v50 :: v_dual_lshlrev_b32 v51, v51, v48
	v_lshlrev_b32_e32 v48, 24, v48
	s_delay_alu instid0(VALU_DEP_2) | instskip(NEXT) | instid1(VALU_DEP_3)
	v_and_b32_e32 v51, 3, v51
	v_lshl_add_u32 v50, v50, 23, 0x37800000
	s_delay_alu instid0(VALU_DEP_2) | instskip(NEXT) | instid1(VALU_DEP_1)
	v_dual_cndmask_b32 v21, v21, v51 :: v_dual_and_b32 v48, 0x80000000, v48
	v_lshlrev_b32_e32 v21, 21, v21
	s_delay_alu instid0(VALU_DEP_1)
	v_or3_b32 v21, v48, v50, v21
.LBB6_16308:                            ;   in Loop: Header=BB6_15906 Depth=3
	s_or_b32 exec_lo, exec_lo, s17
	s_delay_alu instid0(VALU_DEP_1) | instskip(NEXT) | instid1(VALU_DEP_1)
	v_add_f32_e32 v48, v49, v21
	v_and_b32_e32 v21, 0x7f800000, v48
	s_delay_alu instid0(VALU_DEP_1)
	v_cmp_ne_u32_e32 vcc_lo, 0x7f800000, v21
	v_mov_b32_e32 v21, 0x80
	s_and_saveexec_b32 s17, vcc_lo
	s_cbranch_execz .LBB6_16316
; %bb.16309:                            ;   in Loop: Header=BB6_15906 Depth=3
	v_mov_b32_e32 v21, 0
	s_mov_b32 s30, exec_lo
	v_cmpx_ne_u32_e32 0, v48
	s_cbranch_execz .LBB6_16315
; %bb.16310:                            ;   in Loop: Header=BB6_15906 Depth=3
	v_bfe_u32 v21, v48, 23, 8
	s_delay_alu instid0(VALU_DEP_1) | instskip(SKIP_1) | instid1(VALU_DEP_2)
	v_sub_nc_u32_e32 v50, 0x70, v21
	v_cmp_gt_u32_e32 vcc_lo, 0x71, v21
	v_dual_cndmask_b32 v50, 0, v50 :: v_dual_and_b32 v49, 0x7fffff, v48
	s_delay_alu instid0(VALU_DEP_1) | instskip(SKIP_2) | instid1(VALU_DEP_4)
	v_or_b32_e32 v51, 0x800000, v49
	v_cmp_eq_u32_e32 vcc_lo, 0, v21
	v_add_nc_u32_e32 v21, 0xffffff91, v21
	v_cndmask_b32_e64 v50, v50, 0x6f, vcc_lo
	s_delay_alu instid0(VALU_DEP_4) | instskip(NEXT) | instid1(VALU_DEP_3)
	v_cndmask_b32_e32 v49, v51, v49, vcc_lo
	v_cndmask_b32_e64 v21, v21, 0xffffff92, vcc_lo
	s_delay_alu instid0(VALU_DEP_3) | instskip(NEXT) | instid1(VALU_DEP_3)
	v_lshl_add_u32 v52, 0x200000, v50, -1
	v_lshrrev_b32_e32 v51, v50, v49
	v_lshlrev_b32_e64 v54, v50, 0x100000
	s_delay_alu instid0(VALU_DEP_3) | instskip(NEXT) | instid1(VALU_DEP_3)
	v_and_b32_e32 v49, v52, v49
	v_bfe_u32 v53, v51, 21, 1
	s_delay_alu instid0(VALU_DEP_2) | instskip(NEXT) | instid1(VALU_DEP_2)
	v_cmp_eq_u32_e64 s13, v49, v54
	v_add_nc_u32_e32 v52, -1, v53
	v_lshrrev_b32_e32 v53, 23, v51
	s_delay_alu instid0(VALU_DEP_2) | instskip(SKIP_1) | instid1(VALU_DEP_3)
	v_cndmask_b32_e64 v49, 0, v52, s13
	v_add_nc_u32_e32 v52, v50, v21
	v_xor_b32_e32 v53, 1, v53
	s_mov_b32 s13, exec_lo
	s_delay_alu instid0(VALU_DEP_3) | instskip(NEXT) | instid1(VALU_DEP_1)
	v_add_nc_u32_e32 v49, v49, v51
	v_and_b32_e32 v21, 0x1fffff, v49
	s_delay_alu instid0(VALU_DEP_1)
	v_add_nc_u32_e32 v49, v21, v51
                                        ; implicit-def: $vgpr21
	v_cmpx_ne_u32_e64 v52, v53
	s_xor_b32 s13, exec_lo, s13
; %bb.16311:                            ;   in Loop: Header=BB6_15906 Depth=3
	s_delay_alu instid0(VALU_DEP_2) | instskip(SKIP_2) | instid1(VALU_DEP_2)
	v_cmp_lt_u32_e32 vcc_lo, 0xffffff, v49
	v_sub_nc_u32_e32 v21, v52, v53
	v_cndmask_b32_e64 v50, 0, 1, vcc_lo
	v_add_co_ci_u32_e32 v21, vcc_lo, 0, v21, vcc_lo
	s_delay_alu instid0(VALU_DEP_2)
	v_lshrrev_b32_e32 v49, v50, v49
; %bb.16312:                            ;   in Loop: Header=BB6_15906 Depth=3
	s_and_not1_saveexec_b32 s13, s13
; %bb.16313:                            ;   in Loop: Header=BB6_15906 Depth=3
	s_delay_alu instid0(VALU_DEP_1)
	v_bfe_u32 v21, v49, 23, 1
; %bb.16314:                            ;   in Loop: Header=BB6_15906 Depth=3
	s_or_b32 exec_lo, exec_lo, s13
	v_lshrrev_b32_e32 v49, 21, v49
	s_delay_alu instid0(VALU_DEP_2) | instskip(SKIP_2) | instid1(VALU_DEP_2)
	v_cmp_gt_i32_e32 vcc_lo, 32, v21
	v_lshrrev_b32_e32 v48, 24, v48
	v_min_i32_e32 v50, 31, v21
	v_dual_cndmask_b32 v49, 3, v49 :: v_dual_and_b32 v48, 0x80, v48
	s_delay_alu instid0(VALU_DEP_1) | instskip(SKIP_1) | instid1(VALU_DEP_2)
	v_or_b32_e32 v21, v21, v49
	v_and_b32_e32 v51, 3, v49
	v_cmp_ne_u32_e32 vcc_lo, 0, v21
	v_lshlrev_b32_e32 v50, 2, v50
	s_delay_alu instid0(VALU_DEP_1) | instskip(NEXT) | instid1(VALU_DEP_1)
	v_or3_b32 v48, v50, v48, v51
	v_cndmask_b32_e32 v21, 0, v48, vcc_lo
.LBB6_16315:                            ;   in Loop: Header=BB6_15906 Depth=3
	s_or_b32 exec_lo, exec_lo, s30
.LBB6_16316:                            ;   in Loop: Header=BB6_15906 Depth=3
	s_delay_alu instid0(SALU_CYCLE_1) | instskip(SKIP_3) | instid1(VALU_DEP_1)
	s_or_b32 exec_lo, exec_lo, s17
	v_and_b32_e32 v49, 0xff, v80
	s_mov_b32 s13, 0
	s_mov_b32 s30, exec_lo
                                        ; implicit-def: $sgpr17
	v_cmpx_lt_i16_e32 0x7f, v49
	s_xor_b32 s30, exec_lo, s30
	s_cbranch_execnz .LBB6_16949
; %bb.16317:                            ;   in Loop: Header=BB6_15906 Depth=3
	s_or_saveexec_b32 s30, s30
	v_mov_b32_e32 v48, s17
	s_xor_b32 exec_lo, exec_lo, s30
	s_cbranch_execnz .LBB6_16952
.LBB6_16318:                            ;   in Loop: Header=BB6_15906 Depth=3
	s_or_b32 exec_lo, exec_lo, s30
	s_and_saveexec_b32 s17, s13
	s_cbranch_execz .LBB6_16320
.LBB6_16319:                            ;   in Loop: Header=BB6_15906 Depth=3
	v_lshrrev_b16 v51, 2, v80
	v_lshlrev_b32_e32 v52, 24, v80
	s_delay_alu instid0(VALU_DEP_2) | instskip(NEXT) | instid1(VALU_DEP_1)
	v_and_b32_e32 v51, 31, v51
	v_cmp_eq_u32_e32 vcc_lo, 0, v51
	v_and_b32_e32 v48, 3, v80
	s_delay_alu instid0(VALU_DEP_1) | instskip(NEXT) | instid1(VALU_DEP_1)
	v_clz_i32_u32_e32 v49, v48
	v_min_u32_e32 v49, 32, v49
	s_delay_alu instid0(VALU_DEP_1) | instskip(SKIP_1) | instid1(VALU_DEP_1)
	v_subrev_nc_u32_e32 v50, 29, v49
	v_sub_nc_u32_e32 v49, 30, v49
	v_dual_cndmask_b32 v49, v51, v49 :: v_dual_lshlrev_b32 v50, v50, v80
	s_delay_alu instid0(VALU_DEP_1) | instskip(NEXT) | instid1(VALU_DEP_2)
	v_and_b32_e32 v50, 3, v50
	v_lshl_add_u32 v49, v49, 23, 0x37800000
	s_delay_alu instid0(VALU_DEP_2) | instskip(SKIP_1) | instid1(VALU_DEP_2)
	v_cndmask_b32_e32 v48, v48, v50, vcc_lo
	v_and_b32_e32 v50, 0x80000000, v52
	v_lshlrev_b32_e32 v48, 21, v48
	s_delay_alu instid0(VALU_DEP_1)
	v_or3_b32 v48, v50, v49, v48
.LBB6_16320:                            ;   in Loop: Header=BB6_15906 Depth=3
	s_or_b32 exec_lo, exec_lo, s17
	s_waitcnt vmcnt(30) lgkmcnt(30)
	v_and_b32_e32 v52, 0xff, v39
	s_mov_b32 s13, 0
	s_mov_b32 s30, exec_lo
                                        ; implicit-def: $sgpr17
	s_delay_alu instid0(VALU_DEP_1)
	v_cmpx_lt_i16_e32 0x7f, v52
	s_xor_b32 s30, exec_lo, s30
	s_cbranch_execnz .LBB6_16953
; %bb.16321:                            ;   in Loop: Header=BB6_15906 Depth=3
	s_or_saveexec_b32 s30, s30
	v_mov_b32_e32 v49, s17
	s_xor_b32 exec_lo, exec_lo, s30
	s_cbranch_execnz .LBB6_16956
.LBB6_16322:                            ;   in Loop: Header=BB6_15906 Depth=3
	s_or_b32 exec_lo, exec_lo, s30
	s_and_saveexec_b32 s17, s13
	s_cbranch_execz .LBB6_16324
.LBB6_16323:                            ;   in Loop: Header=BB6_15906 Depth=3
	v_lshrrev_b16 v52, 2, v39
	s_delay_alu instid0(VALU_DEP_1) | instskip(NEXT) | instid1(VALU_DEP_1)
	v_and_b32_e32 v52, 31, v52
	v_cmp_eq_u32_e32 vcc_lo, 0, v52
	v_and_b32_e32 v49, 3, v39
	s_delay_alu instid0(VALU_DEP_1) | instskip(NEXT) | instid1(VALU_DEP_1)
	v_clz_i32_u32_e32 v50, v49
	v_min_u32_e32 v50, 32, v50
	s_delay_alu instid0(VALU_DEP_1) | instskip(SKIP_1) | instid1(VALU_DEP_1)
	v_subrev_nc_u32_e32 v51, 29, v50
	v_sub_nc_u32_e32 v50, 30, v50
	v_dual_cndmask_b32 v50, v52, v50 :: v_dual_lshlrev_b32 v51, v51, v39
	v_lshlrev_b32_e32 v39, 24, v39
	s_delay_alu instid0(VALU_DEP_2) | instskip(NEXT) | instid1(VALU_DEP_3)
	v_and_b32_e32 v51, 3, v51
	v_lshl_add_u32 v50, v50, 23, 0x37800000
	s_delay_alu instid0(VALU_DEP_3) | instskip(NEXT) | instid1(VALU_DEP_3)
	v_and_b32_e32 v39, 0x80000000, v39
	v_cndmask_b32_e32 v49, v49, v51, vcc_lo
	s_delay_alu instid0(VALU_DEP_1) | instskip(NEXT) | instid1(VALU_DEP_1)
	v_lshlrev_b32_e32 v49, 21, v49
	v_or3_b32 v49, v39, v50, v49
.LBB6_16324:                            ;   in Loop: Header=BB6_15906 Depth=3
	s_or_b32 exec_lo, exec_lo, s17
	s_delay_alu instid0(VALU_DEP_1) | instskip(SKIP_1) | instid1(VALU_DEP_1)
	v_dual_add_f32 v39, v48, v49 :: v_dual_mov_b32 v80, 0x80
	s_mov_b32 s17, exec_lo
	v_and_b32_e32 v48, 0x7f800000, v39
	s_delay_alu instid0(VALU_DEP_1)
	v_cmpx_ne_u32_e32 0x7f800000, v48
	s_cbranch_execz .LBB6_16332
; %bb.16325:                            ;   in Loop: Header=BB6_15906 Depth=3
	v_mov_b32_e32 v80, 0
	s_mov_b32 s30, exec_lo
	v_cmpx_ne_u32_e32 0, v39
	s_cbranch_execz .LBB6_16331
; %bb.16326:                            ;   in Loop: Header=BB6_15906 Depth=3
	v_bfe_u32 v48, v39, 23, 8
	s_delay_alu instid0(VALU_DEP_1) | instskip(SKIP_1) | instid1(VALU_DEP_2)
	v_sub_nc_u32_e32 v50, 0x70, v48
	v_cmp_gt_u32_e32 vcc_lo, 0x71, v48
	v_dual_cndmask_b32 v50, 0, v50 :: v_dual_and_b32 v49, 0x7fffff, v39
	s_delay_alu instid0(VALU_DEP_1) | instskip(SKIP_2) | instid1(VALU_DEP_4)
	v_or_b32_e32 v51, 0x800000, v49
	v_cmp_eq_u32_e32 vcc_lo, 0, v48
	v_add_nc_u32_e32 v48, 0xffffff91, v48
	v_cndmask_b32_e64 v50, v50, 0x6f, vcc_lo
	s_delay_alu instid0(VALU_DEP_4) | instskip(NEXT) | instid1(VALU_DEP_3)
	v_cndmask_b32_e32 v49, v51, v49, vcc_lo
	v_cndmask_b32_e64 v48, v48, 0xffffff92, vcc_lo
	s_delay_alu instid0(VALU_DEP_3) | instskip(NEXT) | instid1(VALU_DEP_3)
	v_lshl_add_u32 v52, 0x200000, v50, -1
	v_lshrrev_b32_e32 v51, v50, v49
	v_lshlrev_b32_e64 v54, v50, 0x100000
	s_delay_alu instid0(VALU_DEP_3) | instskip(NEXT) | instid1(VALU_DEP_3)
	v_and_b32_e32 v49, v52, v49
	v_bfe_u32 v53, v51, 21, 1
	s_delay_alu instid0(VALU_DEP_2) | instskip(NEXT) | instid1(VALU_DEP_2)
	v_cmp_eq_u32_e64 s13, v49, v54
	v_add_nc_u32_e32 v52, -1, v53
	v_lshrrev_b32_e32 v53, 23, v51
	s_delay_alu instid0(VALU_DEP_2) | instskip(SKIP_1) | instid1(VALU_DEP_3)
	v_cndmask_b32_e64 v49, 0, v52, s13
	v_add_nc_u32_e32 v52, v50, v48
	v_xor_b32_e32 v53, 1, v53
	s_mov_b32 s13, exec_lo
	s_delay_alu instid0(VALU_DEP_3) | instskip(NEXT) | instid1(VALU_DEP_1)
	v_add_nc_u32_e32 v49, v49, v51
	v_and_b32_e32 v48, 0x1fffff, v49
	s_delay_alu instid0(VALU_DEP_1)
	v_add_nc_u32_e32 v49, v48, v51
                                        ; implicit-def: $vgpr48
	v_cmpx_ne_u32_e64 v52, v53
	s_xor_b32 s13, exec_lo, s13
; %bb.16327:                            ;   in Loop: Header=BB6_15906 Depth=3
	s_delay_alu instid0(VALU_DEP_2) | instskip(SKIP_2) | instid1(VALU_DEP_2)
	v_cmp_lt_u32_e32 vcc_lo, 0xffffff, v49
	v_sub_nc_u32_e32 v48, v52, v53
	v_cndmask_b32_e64 v50, 0, 1, vcc_lo
	v_add_co_ci_u32_e32 v48, vcc_lo, 0, v48, vcc_lo
	s_delay_alu instid0(VALU_DEP_2)
	v_lshrrev_b32_e32 v49, v50, v49
; %bb.16328:                            ;   in Loop: Header=BB6_15906 Depth=3
	s_and_not1_saveexec_b32 s13, s13
; %bb.16329:                            ;   in Loop: Header=BB6_15906 Depth=3
	s_delay_alu instid0(VALU_DEP_1)
	v_bfe_u32 v48, v49, 23, 1
; %bb.16330:                            ;   in Loop: Header=BB6_15906 Depth=3
	s_or_b32 exec_lo, exec_lo, s13
	v_lshrrev_b32_e32 v49, 21, v49
	s_delay_alu instid0(VALU_DEP_2) | instskip(SKIP_2) | instid1(VALU_DEP_2)
	v_cmp_gt_i32_e32 vcc_lo, 32, v48
	v_min_i32_e32 v50, 31, v48
	v_lshrrev_b32_e32 v39, 24, v39
	v_dual_cndmask_b32 v49, 3, v49 :: v_dual_lshlrev_b32 v50, 2, v50
	s_delay_alu instid0(VALU_DEP_2) | instskip(NEXT) | instid1(VALU_DEP_2)
	v_and_b32_e32 v39, 0x80, v39
	v_or_b32_e32 v48, v48, v49
	s_delay_alu instid0(VALU_DEP_1) | instskip(SKIP_1) | instid1(VALU_DEP_1)
	v_cmp_ne_u32_e32 vcc_lo, 0, v48
	v_and_b32_e32 v51, 3, v49
	v_or3_b32 v39, v50, v39, v51
	s_delay_alu instid0(VALU_DEP_1)
	v_cndmask_b32_e32 v80, 0, v39, vcc_lo
.LBB6_16331:                            ;   in Loop: Header=BB6_15906 Depth=3
	s_or_b32 exec_lo, exec_lo, s30
.LBB6_16332:                            ;   in Loop: Header=BB6_15906 Depth=3
	s_delay_alu instid0(SALU_CYCLE_1) | instskip(SKIP_3) | instid1(VALU_DEP_1)
	s_or_b32 exec_lo, exec_lo, s17
	v_and_b32_e32 v48, 0xff, v85
	s_mov_b32 s13, 0
	s_mov_b32 s30, exec_lo
                                        ; implicit-def: $sgpr17
	v_cmpx_lt_i16_e32 0x7f, v48
	s_xor_b32 s30, exec_lo, s30
	s_cbranch_execnz .LBB6_16957
; %bb.16333:                            ;   in Loop: Header=BB6_15906 Depth=3
	s_or_saveexec_b32 s30, s30
	v_mov_b32_e32 v39, s17
	s_xor_b32 exec_lo, exec_lo, s30
	s_cbranch_execnz .LBB6_16960
.LBB6_16334:                            ;   in Loop: Header=BB6_15906 Depth=3
	s_or_b32 exec_lo, exec_lo, s30
	s_and_saveexec_b32 s17, s13
	s_cbranch_execz .LBB6_16336
.LBB6_16335:                            ;   in Loop: Header=BB6_15906 Depth=3
	v_lshrrev_b16 v50, 2, v85
	v_lshlrev_b32_e32 v51, 24, v85
	s_delay_alu instid0(VALU_DEP_2) | instskip(NEXT) | instid1(VALU_DEP_1)
	v_and_b32_e32 v50, 31, v50
	v_cmp_eq_u32_e32 vcc_lo, 0, v50
	v_and_b32_e32 v39, 3, v85
	s_delay_alu instid0(VALU_DEP_1) | instskip(NEXT) | instid1(VALU_DEP_1)
	v_clz_i32_u32_e32 v48, v39
	v_min_u32_e32 v48, 32, v48
	s_delay_alu instid0(VALU_DEP_1) | instskip(SKIP_1) | instid1(VALU_DEP_1)
	v_subrev_nc_u32_e32 v49, 29, v48
	v_sub_nc_u32_e32 v48, 30, v48
	v_dual_cndmask_b32 v48, v50, v48 :: v_dual_lshlrev_b32 v49, v49, v85
	s_delay_alu instid0(VALU_DEP_1) | instskip(NEXT) | instid1(VALU_DEP_2)
	v_and_b32_e32 v49, 3, v49
	v_lshl_add_u32 v48, v48, 23, 0x37800000
	s_delay_alu instid0(VALU_DEP_2) | instskip(SKIP_1) | instid1(VALU_DEP_2)
	v_cndmask_b32_e32 v39, v39, v49, vcc_lo
	v_and_b32_e32 v49, 0x80000000, v51
	v_lshlrev_b32_e32 v39, 21, v39
	s_delay_alu instid0(VALU_DEP_1)
	v_or3_b32 v39, v49, v48, v39
.LBB6_16336:                            ;   in Loop: Header=BB6_15906 Depth=3
	s_or_b32 exec_lo, exec_lo, s17
	s_waitcnt vmcnt(29) lgkmcnt(29)
	v_and_b32_e32 v49, 0xff, v38
	s_mov_b32 s13, 0
	s_mov_b32 s30, exec_lo
                                        ; implicit-def: $sgpr17
	s_delay_alu instid0(VALU_DEP_1)
	v_cmpx_lt_i16_e32 0x7f, v49
	s_xor_b32 s30, exec_lo, s30
	s_cbranch_execnz .LBB6_16961
; %bb.16337:                            ;   in Loop: Header=BB6_15906 Depth=3
	s_or_saveexec_b32 s30, s30
	v_mov_b32_e32 v48, s17
	s_xor_b32 exec_lo, exec_lo, s30
	s_cbranch_execnz .LBB6_16964
.LBB6_16338:                            ;   in Loop: Header=BB6_15906 Depth=3
	s_or_b32 exec_lo, exec_lo, s30
	s_and_saveexec_b32 s17, s13
	s_cbranch_execz .LBB6_16340
.LBB6_16339:                            ;   in Loop: Header=BB6_15906 Depth=3
	v_lshrrev_b16 v51, 2, v38
	s_delay_alu instid0(VALU_DEP_1) | instskip(NEXT) | instid1(VALU_DEP_1)
	v_and_b32_e32 v51, 31, v51
	v_cmp_eq_u32_e32 vcc_lo, 0, v51
	v_and_b32_e32 v48, 3, v38
	s_delay_alu instid0(VALU_DEP_1) | instskip(NEXT) | instid1(VALU_DEP_1)
	v_clz_i32_u32_e32 v49, v48
	v_min_u32_e32 v49, 32, v49
	s_delay_alu instid0(VALU_DEP_1) | instskip(SKIP_1) | instid1(VALU_DEP_1)
	v_subrev_nc_u32_e32 v50, 29, v49
	v_sub_nc_u32_e32 v49, 30, v49
	v_dual_cndmask_b32 v49, v51, v49 :: v_dual_lshlrev_b32 v50, v50, v38
	v_lshlrev_b32_e32 v38, 24, v38
	s_delay_alu instid0(VALU_DEP_2) | instskip(NEXT) | instid1(VALU_DEP_3)
	v_and_b32_e32 v50, 3, v50
	v_lshl_add_u32 v49, v49, 23, 0x37800000
	s_delay_alu instid0(VALU_DEP_3) | instskip(NEXT) | instid1(VALU_DEP_3)
	v_and_b32_e32 v38, 0x80000000, v38
	v_cndmask_b32_e32 v48, v48, v50, vcc_lo
	s_delay_alu instid0(VALU_DEP_1) | instskip(NEXT) | instid1(VALU_DEP_1)
	v_lshlrev_b32_e32 v48, 21, v48
	v_or3_b32 v48, v38, v49, v48
.LBB6_16340:                            ;   in Loop: Header=BB6_15906 Depth=3
	s_or_b32 exec_lo, exec_lo, s17
	s_delay_alu instid0(VALU_DEP_1) | instskip(SKIP_1) | instid1(VALU_DEP_1)
	v_dual_add_f32 v38, v39, v48 :: v_dual_mov_b32 v85, 0x80
	s_mov_b32 s17, exec_lo
	v_and_b32_e32 v39, 0x7f800000, v38
	s_delay_alu instid0(VALU_DEP_1)
	v_cmpx_ne_u32_e32 0x7f800000, v39
	s_cbranch_execz .LBB6_16348
; %bb.16341:                            ;   in Loop: Header=BB6_15906 Depth=3
	v_mov_b32_e32 v85, 0
	s_mov_b32 s30, exec_lo
	v_cmpx_ne_u32_e32 0, v38
	s_cbranch_execz .LBB6_16347
; %bb.16342:                            ;   in Loop: Header=BB6_15906 Depth=3
	v_bfe_u32 v39, v38, 23, 8
	s_delay_alu instid0(VALU_DEP_1) | instskip(SKIP_1) | instid1(VALU_DEP_2)
	v_sub_nc_u32_e32 v49, 0x70, v39
	v_cmp_gt_u32_e32 vcc_lo, 0x71, v39
	v_dual_cndmask_b32 v49, 0, v49 :: v_dual_and_b32 v48, 0x7fffff, v38
	s_delay_alu instid0(VALU_DEP_1) | instskip(SKIP_2) | instid1(VALU_DEP_4)
	v_or_b32_e32 v50, 0x800000, v48
	v_cmp_eq_u32_e32 vcc_lo, 0, v39
	v_add_nc_u32_e32 v39, 0xffffff91, v39
	v_cndmask_b32_e64 v49, v49, 0x6f, vcc_lo
	s_delay_alu instid0(VALU_DEP_4) | instskip(NEXT) | instid1(VALU_DEP_3)
	v_cndmask_b32_e32 v48, v50, v48, vcc_lo
	v_cndmask_b32_e64 v39, v39, 0xffffff92, vcc_lo
	s_delay_alu instid0(VALU_DEP_3) | instskip(NEXT) | instid1(VALU_DEP_3)
	v_lshl_add_u32 v51, 0x200000, v49, -1
	v_lshrrev_b32_e32 v50, v49, v48
	v_lshlrev_b32_e64 v53, v49, 0x100000
	s_delay_alu instid0(VALU_DEP_4) | instskip(NEXT) | instid1(VALU_DEP_4)
	v_add_nc_u32_e32 v49, v49, v39
	v_and_b32_e32 v48, v51, v48
	s_delay_alu instid0(VALU_DEP_4) | instskip(NEXT) | instid1(VALU_DEP_2)
	v_bfe_u32 v52, v50, 21, 1
	v_cmp_eq_u32_e64 s13, v48, v53
	s_delay_alu instid0(VALU_DEP_2) | instskip(NEXT) | instid1(VALU_DEP_1)
	v_add_nc_u32_e32 v51, -1, v52
	v_cndmask_b32_e64 v48, 0, v51, s13
	v_lshrrev_b32_e32 v51, 23, v50
	s_mov_b32 s13, exec_lo
	s_delay_alu instid0(VALU_DEP_2) | instskip(NEXT) | instid1(VALU_DEP_2)
	v_add_nc_u32_e32 v48, v48, v50
	v_xor_b32_e32 v52, 1, v51
	s_delay_alu instid0(VALU_DEP_2) | instskip(NEXT) | instid1(VALU_DEP_1)
	v_and_b32_e32 v39, 0x1fffff, v48
	v_add_nc_u32_e32 v48, v39, v50
                                        ; implicit-def: $vgpr39
	s_delay_alu instid0(VALU_DEP_3)
	v_cmpx_ne_u32_e64 v49, v52
	s_xor_b32 s13, exec_lo, s13
; %bb.16343:                            ;   in Loop: Header=BB6_15906 Depth=3
	s_delay_alu instid0(VALU_DEP_2) | instskip(SKIP_2) | instid1(VALU_DEP_2)
	v_cmp_lt_u32_e32 vcc_lo, 0xffffff, v48
	v_sub_nc_u32_e32 v39, v49, v52
	v_cndmask_b32_e64 v49, 0, 1, vcc_lo
	v_add_co_ci_u32_e32 v39, vcc_lo, 0, v39, vcc_lo
	s_delay_alu instid0(VALU_DEP_2)
	v_lshrrev_b32_e32 v48, v49, v48
; %bb.16344:                            ;   in Loop: Header=BB6_15906 Depth=3
	s_and_not1_saveexec_b32 s13, s13
; %bb.16345:                            ;   in Loop: Header=BB6_15906 Depth=3
	s_delay_alu instid0(VALU_DEP_1)
	v_bfe_u32 v39, v48, 23, 1
; %bb.16346:                            ;   in Loop: Header=BB6_15906 Depth=3
	s_or_b32 exec_lo, exec_lo, s13
	v_lshrrev_b32_e32 v48, 21, v48
	s_delay_alu instid0(VALU_DEP_2) | instskip(SKIP_2) | instid1(VALU_DEP_2)
	v_cmp_gt_i32_e32 vcc_lo, 32, v39
	v_min_i32_e32 v49, 31, v39
	v_lshrrev_b32_e32 v38, 24, v38
	v_dual_cndmask_b32 v48, 3, v48 :: v_dual_lshlrev_b32 v49, 2, v49
	s_delay_alu instid0(VALU_DEP_2) | instskip(NEXT) | instid1(VALU_DEP_2)
	v_and_b32_e32 v38, 0x80, v38
	v_or_b32_e32 v39, v39, v48
	s_delay_alu instid0(VALU_DEP_1) | instskip(SKIP_1) | instid1(VALU_DEP_1)
	v_cmp_ne_u32_e32 vcc_lo, 0, v39
	v_and_b32_e32 v50, 3, v48
	v_or3_b32 v38, v49, v38, v50
	s_delay_alu instid0(VALU_DEP_1)
	v_cndmask_b32_e32 v85, 0, v38, vcc_lo
.LBB6_16347:                            ;   in Loop: Header=BB6_15906 Depth=3
	s_or_b32 exec_lo, exec_lo, s30
.LBB6_16348:                            ;   in Loop: Header=BB6_15906 Depth=3
	s_delay_alu instid0(SALU_CYCLE_1) | instskip(SKIP_3) | instid1(VALU_DEP_1)
	s_or_b32 exec_lo, exec_lo, s17
	v_and_b32_e32 v39, 0xff, v163
	s_mov_b32 s13, 0
	s_mov_b32 s30, exec_lo
                                        ; implicit-def: $sgpr17
	v_cmpx_lt_i16_e32 0x7f, v39
	s_xor_b32 s30, exec_lo, s30
	s_cbranch_execnz .LBB6_16965
; %bb.16349:                            ;   in Loop: Header=BB6_15906 Depth=3
	s_or_saveexec_b32 s30, s30
	v_mov_b32_e32 v38, s17
	s_xor_b32 exec_lo, exec_lo, s30
	s_cbranch_execnz .LBB6_16968
.LBB6_16350:                            ;   in Loop: Header=BB6_15906 Depth=3
	s_or_b32 exec_lo, exec_lo, s30
	s_and_saveexec_b32 s17, s13
	s_cbranch_execz .LBB6_16352
.LBB6_16351:                            ;   in Loop: Header=BB6_15906 Depth=3
	v_and_b32_e32 v38, 3, v163
	v_lshrrev_b16 v49, 2, v163
	v_lshlrev_b32_e32 v50, 24, v163
	s_delay_alu instid0(VALU_DEP_3) | instskip(NEXT) | instid1(VALU_DEP_1)
	v_clz_i32_u32_e32 v39, v38
	v_min_u32_e32 v39, 32, v39
	s_delay_alu instid0(VALU_DEP_1) | instskip(SKIP_1) | instid1(VALU_DEP_2)
	v_subrev_nc_u32_e32 v48, 29, v39
	v_sub_nc_u32_e32 v39, 30, v39
	v_lshlrev_b32_e32 v48, v48, v163
	s_delay_alu instid0(VALU_DEP_1) | instskip(SKIP_1) | instid1(VALU_DEP_1)
	v_and_b32_e32 v48, 3, v48
	v_and_b32_e32 v49, 31, v49
	v_cmp_eq_u32_e32 vcc_lo, 0, v49
	s_delay_alu instid0(VALU_DEP_3) | instskip(SKIP_1) | instid1(VALU_DEP_2)
	v_dual_cndmask_b32 v38, v38, v48 :: v_dual_cndmask_b32 v39, v49, v39
	v_and_b32_e32 v48, 0x80000000, v50
	v_lshlrev_b32_e32 v38, 21, v38
	s_delay_alu instid0(VALU_DEP_3) | instskip(NEXT) | instid1(VALU_DEP_1)
	v_lshl_add_u32 v39, v39, 23, 0x37800000
	v_or3_b32 v38, v48, v39, v38
.LBB6_16352:                            ;   in Loop: Header=BB6_15906 Depth=3
	s_or_b32 exec_lo, exec_lo, s17
	s_waitcnt vmcnt(28) lgkmcnt(28)
	v_and_b32_e32 v48, 0xff, v37
	s_mov_b32 s13, 0
	s_mov_b32 s30, exec_lo
                                        ; implicit-def: $sgpr17
	s_delay_alu instid0(VALU_DEP_1)
	v_cmpx_lt_i16_e32 0x7f, v48
	s_xor_b32 s30, exec_lo, s30
	s_cbranch_execnz .LBB6_16969
; %bb.16353:                            ;   in Loop: Header=BB6_15906 Depth=3
	s_or_saveexec_b32 s30, s30
	v_mov_b32_e32 v39, s17
	s_xor_b32 exec_lo, exec_lo, s30
	s_cbranch_execnz .LBB6_16972
.LBB6_16354:                            ;   in Loop: Header=BB6_15906 Depth=3
	s_or_b32 exec_lo, exec_lo, s30
	s_and_saveexec_b32 s17, s13
	s_cbranch_execz .LBB6_16356
.LBB6_16355:                            ;   in Loop: Header=BB6_15906 Depth=3
	v_lshrrev_b16 v50, 2, v37
	s_delay_alu instid0(VALU_DEP_1) | instskip(NEXT) | instid1(VALU_DEP_1)
	v_and_b32_e32 v50, 31, v50
	v_cmp_eq_u32_e32 vcc_lo, 0, v50
	v_and_b32_e32 v39, 3, v37
	s_delay_alu instid0(VALU_DEP_1) | instskip(NEXT) | instid1(VALU_DEP_1)
	v_clz_i32_u32_e32 v48, v39
	v_min_u32_e32 v48, 32, v48
	s_delay_alu instid0(VALU_DEP_1) | instskip(SKIP_1) | instid1(VALU_DEP_1)
	v_subrev_nc_u32_e32 v49, 29, v48
	v_sub_nc_u32_e32 v48, 30, v48
	v_dual_cndmask_b32 v48, v50, v48 :: v_dual_lshlrev_b32 v49, v49, v37
	v_lshlrev_b32_e32 v37, 24, v37
	s_delay_alu instid0(VALU_DEP_2) | instskip(NEXT) | instid1(VALU_DEP_3)
	v_and_b32_e32 v49, 3, v49
	v_lshl_add_u32 v48, v48, 23, 0x37800000
	s_delay_alu instid0(VALU_DEP_3) | instskip(NEXT) | instid1(VALU_DEP_3)
	v_and_b32_e32 v37, 0x80000000, v37
	v_cndmask_b32_e32 v39, v39, v49, vcc_lo
	s_delay_alu instid0(VALU_DEP_1) | instskip(NEXT) | instid1(VALU_DEP_1)
	v_lshlrev_b32_e32 v39, 21, v39
	v_or3_b32 v39, v37, v48, v39
.LBB6_16356:                            ;   in Loop: Header=BB6_15906 Depth=3
	s_or_b32 exec_lo, exec_lo, s17
	s_delay_alu instid0(VALU_DEP_1) | instskip(SKIP_2) | instid1(VALU_DEP_2)
	v_add_f32_e32 v37, v38, v39
	v_mov_b32_e32 v163, 0x80
	s_mov_b32 s17, exec_lo
	v_and_b32_e32 v38, 0x7f800000, v37
	s_delay_alu instid0(VALU_DEP_1)
	v_cmpx_ne_u32_e32 0x7f800000, v38
	s_cbranch_execz .LBB6_16364
; %bb.16357:                            ;   in Loop: Header=BB6_15906 Depth=3
	v_mov_b32_e32 v163, 0
	s_mov_b32 s30, exec_lo
	v_cmpx_ne_u32_e32 0, v37
	s_cbranch_execz .LBB6_16363
; %bb.16358:                            ;   in Loop: Header=BB6_15906 Depth=3
	v_bfe_u32 v38, v37, 23, 8
	s_delay_alu instid0(VALU_DEP_1) | instskip(SKIP_1) | instid1(VALU_DEP_2)
	v_sub_nc_u32_e32 v48, 0x70, v38
	v_cmp_gt_u32_e32 vcc_lo, 0x71, v38
	v_dual_cndmask_b32 v48, 0, v48 :: v_dual_and_b32 v39, 0x7fffff, v37
	s_delay_alu instid0(VALU_DEP_1) | instskip(SKIP_2) | instid1(VALU_DEP_4)
	v_or_b32_e32 v49, 0x800000, v39
	v_cmp_eq_u32_e32 vcc_lo, 0, v38
	v_add_nc_u32_e32 v38, 0xffffff91, v38
	v_cndmask_b32_e64 v48, v48, 0x6f, vcc_lo
	s_delay_alu instid0(VALU_DEP_4) | instskip(NEXT) | instid1(VALU_DEP_3)
	v_cndmask_b32_e32 v39, v49, v39, vcc_lo
	v_cndmask_b32_e64 v38, v38, 0xffffff92, vcc_lo
	s_delay_alu instid0(VALU_DEP_3) | instskip(NEXT) | instid1(VALU_DEP_3)
	v_lshl_add_u32 v49, 0x200000, v48, -1
	v_lshrrev_b32_e32 v50, v48, v39
	v_lshlrev_b32_e64 v52, v48, 0x100000
	s_delay_alu instid0(VALU_DEP_4) | instskip(NEXT) | instid1(VALU_DEP_4)
	v_add_nc_u32_e32 v48, v48, v38
	v_and_b32_e32 v39, v49, v39
	s_delay_alu instid0(VALU_DEP_4) | instskip(NEXT) | instid1(VALU_DEP_2)
	v_bfe_u32 v51, v50, 21, 1
	v_cmp_eq_u32_e64 s13, v39, v52
	s_delay_alu instid0(VALU_DEP_2) | instskip(NEXT) | instid1(VALU_DEP_1)
	v_add_nc_u32_e32 v49, -1, v51
	v_cndmask_b32_e64 v39, 0, v49, s13
	v_lshrrev_b32_e32 v49, 23, v50
	s_mov_b32 s13, exec_lo
	s_delay_alu instid0(VALU_DEP_2) | instskip(NEXT) | instid1(VALU_DEP_2)
	v_add_nc_u32_e32 v39, v39, v50
	v_xor_b32_e32 v49, 1, v49
	s_delay_alu instid0(VALU_DEP_2) | instskip(NEXT) | instid1(VALU_DEP_1)
	v_and_b32_e32 v38, 0x1fffff, v39
	v_add_nc_u32_e32 v39, v38, v50
                                        ; implicit-def: $vgpr38
	s_delay_alu instid0(VALU_DEP_3)
	v_cmpx_ne_u32_e64 v48, v49
	s_xor_b32 s13, exec_lo, s13
; %bb.16359:                            ;   in Loop: Header=BB6_15906 Depth=3
	s_delay_alu instid0(VALU_DEP_2) | instskip(SKIP_2) | instid1(VALU_DEP_2)
	v_cmp_lt_u32_e32 vcc_lo, 0xffffff, v39
	v_sub_nc_u32_e32 v38, v48, v49
	v_cndmask_b32_e64 v48, 0, 1, vcc_lo
	v_add_co_ci_u32_e32 v38, vcc_lo, 0, v38, vcc_lo
	s_delay_alu instid0(VALU_DEP_2)
	v_lshrrev_b32_e32 v39, v48, v39
; %bb.16360:                            ;   in Loop: Header=BB6_15906 Depth=3
	s_and_not1_saveexec_b32 s13, s13
; %bb.16361:                            ;   in Loop: Header=BB6_15906 Depth=3
	s_delay_alu instid0(VALU_DEP_1)
	v_bfe_u32 v38, v39, 23, 1
; %bb.16362:                            ;   in Loop: Header=BB6_15906 Depth=3
	s_or_b32 exec_lo, exec_lo, s13
	v_lshrrev_b32_e32 v39, 21, v39
	s_delay_alu instid0(VALU_DEP_2) | instskip(SKIP_2) | instid1(VALU_DEP_4)
	v_cmp_gt_i32_e32 vcc_lo, 32, v38
	v_lshrrev_b32_e32 v37, 24, v37
	v_min_i32_e32 v48, 31, v38
	v_cndmask_b32_e32 v39, 3, v39, vcc_lo
	s_delay_alu instid0(VALU_DEP_3) | instskip(NEXT) | instid1(VALU_DEP_3)
	v_and_b32_e32 v37, 0x80, v37
	v_lshlrev_b32_e32 v48, 2, v48
	s_delay_alu instid0(VALU_DEP_3) | instskip(SKIP_1) | instid1(VALU_DEP_2)
	v_and_b32_e32 v49, 3, v39
	v_or_b32_e32 v38, v38, v39
	v_or3_b32 v37, v48, v37, v49
	s_delay_alu instid0(VALU_DEP_2) | instskip(NEXT) | instid1(VALU_DEP_2)
	v_cmp_ne_u32_e32 vcc_lo, 0, v38
	v_cndmask_b32_e32 v163, 0, v37, vcc_lo
.LBB6_16363:                            ;   in Loop: Header=BB6_15906 Depth=3
	s_or_b32 exec_lo, exec_lo, s30
.LBB6_16364:                            ;   in Loop: Header=BB6_15906 Depth=3
	s_delay_alu instid0(SALU_CYCLE_1) | instskip(SKIP_3) | instid1(VALU_DEP_1)
	s_or_b32 exec_lo, exec_lo, s17
	v_and_b32_e32 v38, 0xff, v176
	s_mov_b32 s13, 0
	s_mov_b32 s30, exec_lo
                                        ; implicit-def: $sgpr17
	v_cmpx_lt_i16_e32 0x7f, v38
	s_xor_b32 s30, exec_lo, s30
	s_cbranch_execnz .LBB6_16973
; %bb.16365:                            ;   in Loop: Header=BB6_15906 Depth=3
	s_or_saveexec_b32 s30, s30
	v_mov_b32_e32 v37, s17
	s_xor_b32 exec_lo, exec_lo, s30
	s_cbranch_execnz .LBB6_16976
.LBB6_16366:                            ;   in Loop: Header=BB6_15906 Depth=3
	s_or_b32 exec_lo, exec_lo, s30
	s_and_saveexec_b32 s17, s13
	s_cbranch_execz .LBB6_16368
.LBB6_16367:                            ;   in Loop: Header=BB6_15906 Depth=3
	v_lshrrev_b16 v48, 2, v176
	v_lshlrev_b32_e32 v49, 24, v176
	s_delay_alu instid0(VALU_DEP_2) | instskip(NEXT) | instid1(VALU_DEP_1)
	v_and_b32_e32 v48, 31, v48
	v_cmp_eq_u32_e32 vcc_lo, 0, v48
	v_and_b32_e32 v37, 3, v176
	s_delay_alu instid0(VALU_DEP_1) | instskip(NEXT) | instid1(VALU_DEP_1)
	v_clz_i32_u32_e32 v38, v37
	v_min_u32_e32 v38, 32, v38
	s_delay_alu instid0(VALU_DEP_1) | instskip(SKIP_1) | instid1(VALU_DEP_1)
	v_subrev_nc_u32_e32 v39, 29, v38
	v_sub_nc_u32_e32 v38, 30, v38
	v_dual_cndmask_b32 v38, v48, v38 :: v_dual_lshlrev_b32 v39, v39, v176
	s_delay_alu instid0(VALU_DEP_1) | instskip(NEXT) | instid1(VALU_DEP_2)
	v_and_b32_e32 v39, 3, v39
	v_lshl_add_u32 v38, v38, 23, 0x37800000
	s_delay_alu instid0(VALU_DEP_2) | instskip(SKIP_1) | instid1(VALU_DEP_2)
	v_cndmask_b32_e32 v37, v37, v39, vcc_lo
	v_and_b32_e32 v39, 0x80000000, v49
	v_lshlrev_b32_e32 v37, 21, v37
	s_delay_alu instid0(VALU_DEP_1)
	v_or3_b32 v37, v39, v38, v37
.LBB6_16368:                            ;   in Loop: Header=BB6_15906 Depth=3
	s_or_b32 exec_lo, exec_lo, s17
	s_waitcnt vmcnt(27) lgkmcnt(27)
	v_and_b32_e32 v39, 0xff, v36
	s_mov_b32 s13, 0
	s_mov_b32 s30, exec_lo
                                        ; implicit-def: $sgpr17
	s_delay_alu instid0(VALU_DEP_1)
	v_cmpx_lt_i16_e32 0x7f, v39
	s_xor_b32 s30, exec_lo, s30
	s_cbranch_execnz .LBB6_16977
; %bb.16369:                            ;   in Loop: Header=BB6_15906 Depth=3
	s_or_saveexec_b32 s30, s30
	v_mov_b32_e32 v38, s17
	s_xor_b32 exec_lo, exec_lo, s30
	s_cbranch_execnz .LBB6_16980
.LBB6_16370:                            ;   in Loop: Header=BB6_15906 Depth=3
	s_or_b32 exec_lo, exec_lo, s30
	s_and_saveexec_b32 s17, s13
	s_cbranch_execz .LBB6_16372
.LBB6_16371:                            ;   in Loop: Header=BB6_15906 Depth=3
	v_lshrrev_b16 v49, 2, v36
	s_delay_alu instid0(VALU_DEP_1) | instskip(NEXT) | instid1(VALU_DEP_1)
	v_and_b32_e32 v49, 31, v49
	v_cmp_eq_u32_e32 vcc_lo, 0, v49
	v_and_b32_e32 v38, 3, v36
	s_delay_alu instid0(VALU_DEP_1) | instskip(NEXT) | instid1(VALU_DEP_1)
	v_clz_i32_u32_e32 v39, v38
	v_min_u32_e32 v39, 32, v39
	s_delay_alu instid0(VALU_DEP_1) | instskip(SKIP_1) | instid1(VALU_DEP_1)
	v_subrev_nc_u32_e32 v48, 29, v39
	v_sub_nc_u32_e32 v39, 30, v39
	v_dual_cndmask_b32 v39, v49, v39 :: v_dual_lshlrev_b32 v48, v48, v36
	v_lshlrev_b32_e32 v36, 24, v36
	s_delay_alu instid0(VALU_DEP_2) | instskip(NEXT) | instid1(VALU_DEP_3)
	v_and_b32_e32 v48, 3, v48
	v_lshl_add_u32 v39, v39, 23, 0x37800000
	s_delay_alu instid0(VALU_DEP_3) | instskip(NEXT) | instid1(VALU_DEP_3)
	v_and_b32_e32 v36, 0x80000000, v36
	v_cndmask_b32_e32 v38, v38, v48, vcc_lo
	s_delay_alu instid0(VALU_DEP_1) | instskip(NEXT) | instid1(VALU_DEP_1)
	v_lshlrev_b32_e32 v38, 21, v38
	v_or3_b32 v38, v36, v39, v38
.LBB6_16372:                            ;   in Loop: Header=BB6_15906 Depth=3
	s_or_b32 exec_lo, exec_lo, s17
	s_delay_alu instid0(VALU_DEP_1) | instskip(SKIP_2) | instid1(VALU_DEP_2)
	v_add_f32_e32 v36, v37, v38
	v_mov_b32_e32 v176, 0x80
	s_mov_b32 s17, exec_lo
	v_and_b32_e32 v37, 0x7f800000, v36
	s_delay_alu instid0(VALU_DEP_1)
	v_cmpx_ne_u32_e32 0x7f800000, v37
	s_cbranch_execz .LBB6_16380
; %bb.16373:                            ;   in Loop: Header=BB6_15906 Depth=3
	v_mov_b32_e32 v176, 0
	s_mov_b32 s30, exec_lo
	v_cmpx_ne_u32_e32 0, v36
	s_cbranch_execz .LBB6_16379
; %bb.16374:                            ;   in Loop: Header=BB6_15906 Depth=3
	v_bfe_u32 v37, v36, 23, 8
	s_delay_alu instid0(VALU_DEP_1) | instskip(SKIP_1) | instid1(VALU_DEP_2)
	v_sub_nc_u32_e32 v39, 0x70, v37
	v_cmp_gt_u32_e32 vcc_lo, 0x71, v37
	v_dual_cndmask_b32 v39, 0, v39 :: v_dual_and_b32 v38, 0x7fffff, v36
	s_delay_alu instid0(VALU_DEP_1) | instskip(SKIP_2) | instid1(VALU_DEP_4)
	v_or_b32_e32 v48, 0x800000, v38
	v_cmp_eq_u32_e32 vcc_lo, 0, v37
	v_add_nc_u32_e32 v37, 0xffffff91, v37
	v_cndmask_b32_e64 v39, v39, 0x6f, vcc_lo
	s_delay_alu instid0(VALU_DEP_4) | instskip(NEXT) | instid1(VALU_DEP_3)
	v_cndmask_b32_e32 v38, v48, v38, vcc_lo
	v_cndmask_b32_e64 v37, v37, 0xffffff92, vcc_lo
	s_delay_alu instid0(VALU_DEP_3) | instskip(NEXT) | instid1(VALU_DEP_3)
	v_lshl_add_u32 v48, 0x200000, v39, -1
	v_lshrrev_b32_e32 v49, v39, v38
	v_lshlrev_b32_e64 v51, v39, 0x100000
	s_delay_alu instid0(VALU_DEP_4) | instskip(NEXT) | instid1(VALU_DEP_4)
	v_add_nc_u32_e32 v39, v39, v37
	v_and_b32_e32 v38, v48, v38
	s_delay_alu instid0(VALU_DEP_4) | instskip(NEXT) | instid1(VALU_DEP_2)
	v_bfe_u32 v50, v49, 21, 1
	v_cmp_eq_u32_e64 s13, v38, v51
	s_delay_alu instid0(VALU_DEP_2) | instskip(NEXT) | instid1(VALU_DEP_1)
	v_add_nc_u32_e32 v48, -1, v50
	v_cndmask_b32_e64 v38, 0, v48, s13
	v_lshrrev_b32_e32 v48, 23, v49
	s_mov_b32 s13, exec_lo
	s_delay_alu instid0(VALU_DEP_2) | instskip(NEXT) | instid1(VALU_DEP_2)
	v_add_nc_u32_e32 v38, v38, v49
	v_xor_b32_e32 v48, 1, v48
	s_delay_alu instid0(VALU_DEP_2) | instskip(NEXT) | instid1(VALU_DEP_1)
	v_and_b32_e32 v37, 0x1fffff, v38
	v_add_nc_u32_e32 v38, v37, v49
                                        ; implicit-def: $vgpr37
	s_delay_alu instid0(VALU_DEP_3)
	v_cmpx_ne_u32_e64 v39, v48
	s_xor_b32 s13, exec_lo, s13
; %bb.16375:                            ;   in Loop: Header=BB6_15906 Depth=3
	s_delay_alu instid0(VALU_DEP_2) | instskip(SKIP_2) | instid1(VALU_DEP_2)
	v_cmp_lt_u32_e32 vcc_lo, 0xffffff, v38
	v_sub_nc_u32_e32 v37, v39, v48
	v_cndmask_b32_e64 v39, 0, 1, vcc_lo
	v_add_co_ci_u32_e32 v37, vcc_lo, 0, v37, vcc_lo
	s_delay_alu instid0(VALU_DEP_2)
	v_lshrrev_b32_e32 v38, v39, v38
; %bb.16376:                            ;   in Loop: Header=BB6_15906 Depth=3
	s_and_not1_saveexec_b32 s13, s13
; %bb.16377:                            ;   in Loop: Header=BB6_15906 Depth=3
	s_delay_alu instid0(VALU_DEP_1)
	v_bfe_u32 v37, v38, 23, 1
; %bb.16378:                            ;   in Loop: Header=BB6_15906 Depth=3
	s_or_b32 exec_lo, exec_lo, s13
	v_lshrrev_b32_e32 v38, 21, v38
	s_delay_alu instid0(VALU_DEP_2) | instskip(SKIP_2) | instid1(VALU_DEP_4)
	v_cmp_gt_i32_e32 vcc_lo, 32, v37
	v_lshrrev_b32_e32 v36, 24, v36
	v_min_i32_e32 v39, 31, v37
	v_cndmask_b32_e32 v38, 3, v38, vcc_lo
	s_delay_alu instid0(VALU_DEP_3) | instskip(NEXT) | instid1(VALU_DEP_3)
	v_and_b32_e32 v36, 0x80, v36
	v_lshlrev_b32_e32 v39, 2, v39
	s_delay_alu instid0(VALU_DEP_3) | instskip(SKIP_1) | instid1(VALU_DEP_2)
	v_and_b32_e32 v48, 3, v38
	v_or_b32_e32 v37, v37, v38
	v_or3_b32 v36, v39, v36, v48
	s_delay_alu instid0(VALU_DEP_2) | instskip(NEXT) | instid1(VALU_DEP_2)
	v_cmp_ne_u32_e32 vcc_lo, 0, v37
	v_cndmask_b32_e32 v176, 0, v36, vcc_lo
.LBB6_16379:                            ;   in Loop: Header=BB6_15906 Depth=3
	s_or_b32 exec_lo, exec_lo, s30
.LBB6_16380:                            ;   in Loop: Header=BB6_15906 Depth=3
	s_delay_alu instid0(SALU_CYCLE_1) | instskip(SKIP_3) | instid1(VALU_DEP_1)
	s_or_b32 exec_lo, exec_lo, s17
	v_and_b32_e32 v37, 0xff, v101
	s_mov_b32 s13, 0
	s_mov_b32 s30, exec_lo
                                        ; implicit-def: $sgpr17
	v_cmpx_lt_i16_e32 0x7f, v37
	s_xor_b32 s30, exec_lo, s30
	s_cbranch_execnz .LBB6_16981
; %bb.16381:                            ;   in Loop: Header=BB6_15906 Depth=3
	s_or_saveexec_b32 s30, s30
	v_mov_b32_e32 v36, s17
	s_xor_b32 exec_lo, exec_lo, s30
	s_cbranch_execnz .LBB6_16984
.LBB6_16382:                            ;   in Loop: Header=BB6_15906 Depth=3
	s_or_b32 exec_lo, exec_lo, s30
	s_and_saveexec_b32 s17, s13
	s_cbranch_execz .LBB6_16384
.LBB6_16383:                            ;   in Loop: Header=BB6_15906 Depth=3
	v_and_b32_e32 v36, 3, v101
	v_lshrrev_b16 v39, 2, v101
	v_lshlrev_b32_e32 v48, 24, v101
	s_delay_alu instid0(VALU_DEP_3) | instskip(NEXT) | instid1(VALU_DEP_1)
	v_clz_i32_u32_e32 v37, v36
	v_min_u32_e32 v37, 32, v37
	s_delay_alu instid0(VALU_DEP_1) | instskip(SKIP_1) | instid1(VALU_DEP_2)
	v_subrev_nc_u32_e32 v38, 29, v37
	v_sub_nc_u32_e32 v37, 30, v37
	v_lshlrev_b32_e32 v38, v38, v101
	s_delay_alu instid0(VALU_DEP_1) | instskip(SKIP_1) | instid1(VALU_DEP_1)
	v_and_b32_e32 v38, 3, v38
	v_and_b32_e32 v39, 31, v39
	v_cmp_eq_u32_e32 vcc_lo, 0, v39
	s_delay_alu instid0(VALU_DEP_3) | instskip(SKIP_1) | instid1(VALU_DEP_2)
	v_dual_cndmask_b32 v36, v36, v38 :: v_dual_cndmask_b32 v37, v39, v37
	v_and_b32_e32 v38, 0x80000000, v48
	v_lshlrev_b32_e32 v36, 21, v36
	s_delay_alu instid0(VALU_DEP_3) | instskip(NEXT) | instid1(VALU_DEP_1)
	v_lshl_add_u32 v37, v37, 23, 0x37800000
	v_or3_b32 v36, v38, v37, v36
.LBB6_16384:                            ;   in Loop: Header=BB6_15906 Depth=3
	s_or_b32 exec_lo, exec_lo, s17
	s_waitcnt vmcnt(26) lgkmcnt(26)
	v_and_b32_e32 v38, 0xff, v27
	s_mov_b32 s13, 0
	s_mov_b32 s30, exec_lo
                                        ; implicit-def: $sgpr17
	s_delay_alu instid0(VALU_DEP_1)
	v_cmpx_lt_i16_e32 0x7f, v38
	s_xor_b32 s30, exec_lo, s30
	s_cbranch_execnz .LBB6_16985
; %bb.16385:                            ;   in Loop: Header=BB6_15906 Depth=3
	s_or_saveexec_b32 s30, s30
	v_mov_b32_e32 v37, s17
	s_xor_b32 exec_lo, exec_lo, s30
	s_cbranch_execnz .LBB6_16988
.LBB6_16386:                            ;   in Loop: Header=BB6_15906 Depth=3
	s_or_b32 exec_lo, exec_lo, s30
	s_and_saveexec_b32 s17, s13
	s_cbranch_execz .LBB6_16388
.LBB6_16387:                            ;   in Loop: Header=BB6_15906 Depth=3
	v_lshrrev_b16 v48, 2, v27
	s_delay_alu instid0(VALU_DEP_1) | instskip(NEXT) | instid1(VALU_DEP_1)
	v_and_b32_e32 v48, 31, v48
	v_cmp_eq_u32_e32 vcc_lo, 0, v48
	v_and_b32_e32 v37, 3, v27
	s_delay_alu instid0(VALU_DEP_1) | instskip(NEXT) | instid1(VALU_DEP_1)
	v_clz_i32_u32_e32 v38, v37
	v_min_u32_e32 v38, 32, v38
	s_delay_alu instid0(VALU_DEP_1) | instskip(SKIP_1) | instid1(VALU_DEP_1)
	v_subrev_nc_u32_e32 v39, 29, v38
	v_sub_nc_u32_e32 v38, 30, v38
	v_dual_cndmask_b32 v38, v48, v38 :: v_dual_lshlrev_b32 v39, v39, v27
	v_lshlrev_b32_e32 v27, 24, v27
	s_delay_alu instid0(VALU_DEP_2) | instskip(NEXT) | instid1(VALU_DEP_3)
	v_and_b32_e32 v39, 3, v39
	v_lshl_add_u32 v38, v38, 23, 0x37800000
	s_delay_alu instid0(VALU_DEP_3) | instskip(NEXT) | instid1(VALU_DEP_3)
	v_and_b32_e32 v27, 0x80000000, v27
	v_cndmask_b32_e32 v37, v37, v39, vcc_lo
	s_delay_alu instid0(VALU_DEP_1) | instskip(NEXT) | instid1(VALU_DEP_1)
	v_lshlrev_b32_e32 v37, 21, v37
	v_or3_b32 v37, v27, v38, v37
.LBB6_16388:                            ;   in Loop: Header=BB6_15906 Depth=3
	s_or_b32 exec_lo, exec_lo, s17
	s_delay_alu instid0(VALU_DEP_1) | instskip(SKIP_2) | instid1(VALU_DEP_2)
	v_add_f32_e32 v27, v36, v37
	v_mov_b32_e32 v101, 0x80
	s_mov_b32 s17, exec_lo
	v_and_b32_e32 v36, 0x7f800000, v27
	s_delay_alu instid0(VALU_DEP_1)
	v_cmpx_ne_u32_e32 0x7f800000, v36
	s_cbranch_execz .LBB6_16396
; %bb.16389:                            ;   in Loop: Header=BB6_15906 Depth=3
	v_mov_b32_e32 v101, 0
	s_mov_b32 s30, exec_lo
	v_cmpx_ne_u32_e32 0, v27
	s_cbranch_execz .LBB6_16395
; %bb.16390:                            ;   in Loop: Header=BB6_15906 Depth=3
	v_bfe_u32 v36, v27, 23, 8
	s_delay_alu instid0(VALU_DEP_1) | instskip(SKIP_1) | instid1(VALU_DEP_2)
	v_sub_nc_u32_e32 v38, 0x70, v36
	v_cmp_gt_u32_e32 vcc_lo, 0x71, v36
	v_dual_cndmask_b32 v38, 0, v38 :: v_dual_and_b32 v37, 0x7fffff, v27
	s_delay_alu instid0(VALU_DEP_1) | instskip(SKIP_2) | instid1(VALU_DEP_4)
	v_or_b32_e32 v39, 0x800000, v37
	v_cmp_eq_u32_e32 vcc_lo, 0, v36
	v_add_nc_u32_e32 v36, 0xffffff91, v36
	v_cndmask_b32_e64 v38, v38, 0x6f, vcc_lo
	s_delay_alu instid0(VALU_DEP_4) | instskip(NEXT) | instid1(VALU_DEP_3)
	v_cndmask_b32_e32 v37, v39, v37, vcc_lo
	v_cndmask_b32_e64 v36, v36, 0xffffff92, vcc_lo
	s_delay_alu instid0(VALU_DEP_3) | instskip(NEXT) | instid1(VALU_DEP_3)
	v_lshl_add_u32 v39, 0x200000, v38, -1
	v_lshrrev_b32_e32 v48, v38, v37
	v_lshlrev_b32_e64 v50, v38, 0x100000
	s_delay_alu instid0(VALU_DEP_4) | instskip(NEXT) | instid1(VALU_DEP_4)
	v_add_nc_u32_e32 v38, v38, v36
	v_and_b32_e32 v37, v39, v37
	s_delay_alu instid0(VALU_DEP_4) | instskip(NEXT) | instid1(VALU_DEP_2)
	v_bfe_u32 v49, v48, 21, 1
	v_cmp_eq_u32_e64 s13, v37, v50
	s_delay_alu instid0(VALU_DEP_2) | instskip(NEXT) | instid1(VALU_DEP_1)
	v_add_nc_u32_e32 v39, -1, v49
	v_cndmask_b32_e64 v37, 0, v39, s13
	v_lshrrev_b32_e32 v39, 23, v48
	s_mov_b32 s13, exec_lo
	s_delay_alu instid0(VALU_DEP_2) | instskip(NEXT) | instid1(VALU_DEP_2)
	v_add_nc_u32_e32 v37, v37, v48
	v_xor_b32_e32 v39, 1, v39
	s_delay_alu instid0(VALU_DEP_2) | instskip(NEXT) | instid1(VALU_DEP_1)
	v_and_b32_e32 v36, 0x1fffff, v37
	v_add_nc_u32_e32 v37, v36, v48
                                        ; implicit-def: $vgpr36
	s_delay_alu instid0(VALU_DEP_3)
	v_cmpx_ne_u32_e64 v38, v39
	s_xor_b32 s13, exec_lo, s13
; %bb.16391:                            ;   in Loop: Header=BB6_15906 Depth=3
	s_delay_alu instid0(VALU_DEP_2) | instskip(SKIP_2) | instid1(VALU_DEP_2)
	v_cmp_lt_u32_e32 vcc_lo, 0xffffff, v37
	v_sub_nc_u32_e32 v36, v38, v39
	v_cndmask_b32_e64 v38, 0, 1, vcc_lo
	v_add_co_ci_u32_e32 v36, vcc_lo, 0, v36, vcc_lo
	s_delay_alu instid0(VALU_DEP_2)
	v_lshrrev_b32_e32 v37, v38, v37
; %bb.16392:                            ;   in Loop: Header=BB6_15906 Depth=3
	s_and_not1_saveexec_b32 s13, s13
; %bb.16393:                            ;   in Loop: Header=BB6_15906 Depth=3
	s_delay_alu instid0(VALU_DEP_1)
	v_bfe_u32 v36, v37, 23, 1
; %bb.16394:                            ;   in Loop: Header=BB6_15906 Depth=3
	s_or_b32 exec_lo, exec_lo, s13
	v_lshrrev_b32_e32 v37, 21, v37
	s_delay_alu instid0(VALU_DEP_2) | instskip(SKIP_2) | instid1(VALU_DEP_4)
	v_cmp_gt_i32_e32 vcc_lo, 32, v36
	v_lshrrev_b32_e32 v27, 24, v27
	v_min_i32_e32 v38, 31, v36
	v_cndmask_b32_e32 v37, 3, v37, vcc_lo
	s_delay_alu instid0(VALU_DEP_3) | instskip(NEXT) | instid1(VALU_DEP_3)
	v_and_b32_e32 v27, 0x80, v27
	v_lshlrev_b32_e32 v38, 2, v38
	s_delay_alu instid0(VALU_DEP_3) | instskip(SKIP_1) | instid1(VALU_DEP_2)
	v_and_b32_e32 v39, 3, v37
	v_or_b32_e32 v36, v36, v37
	v_or3_b32 v27, v38, v27, v39
	s_delay_alu instid0(VALU_DEP_2) | instskip(NEXT) | instid1(VALU_DEP_2)
	v_cmp_ne_u32_e32 vcc_lo, 0, v36
	v_cndmask_b32_e32 v101, 0, v27, vcc_lo
.LBB6_16395:                            ;   in Loop: Header=BB6_15906 Depth=3
	s_or_b32 exec_lo, exec_lo, s30
.LBB6_16396:                            ;   in Loop: Header=BB6_15906 Depth=3
	s_delay_alu instid0(SALU_CYCLE_1) | instskip(SKIP_3) | instid1(VALU_DEP_1)
	s_or_b32 exec_lo, exec_lo, s17
	v_and_b32_e32 v36, 0xff, v42
	s_mov_b32 s13, 0
	s_mov_b32 s30, exec_lo
                                        ; implicit-def: $sgpr17
	v_cmpx_lt_i16_e32 0x7f, v36
	s_xor_b32 s30, exec_lo, s30
	s_cbranch_execnz .LBB6_16989
; %bb.16397:                            ;   in Loop: Header=BB6_15906 Depth=3
	s_or_saveexec_b32 s30, s30
	v_mov_b32_e32 v27, s17
	s_xor_b32 exec_lo, exec_lo, s30
	s_cbranch_execnz .LBB6_16992
.LBB6_16398:                            ;   in Loop: Header=BB6_15906 Depth=3
	s_or_b32 exec_lo, exec_lo, s30
	s_and_saveexec_b32 s17, s13
	s_cbranch_execz .LBB6_16400
.LBB6_16399:                            ;   in Loop: Header=BB6_15906 Depth=3
	v_lshrrev_b16 v38, 2, v42
	v_lshlrev_b32_e32 v39, 24, v42
	s_delay_alu instid0(VALU_DEP_2) | instskip(NEXT) | instid1(VALU_DEP_1)
	v_and_b32_e32 v38, 31, v38
	v_cmp_eq_u32_e32 vcc_lo, 0, v38
	v_and_b32_e32 v27, 3, v42
	s_delay_alu instid0(VALU_DEP_1) | instskip(NEXT) | instid1(VALU_DEP_1)
	v_clz_i32_u32_e32 v36, v27
	v_min_u32_e32 v36, 32, v36
	s_delay_alu instid0(VALU_DEP_1) | instskip(SKIP_1) | instid1(VALU_DEP_1)
	v_subrev_nc_u32_e32 v37, 29, v36
	v_sub_nc_u32_e32 v36, 30, v36
	v_dual_cndmask_b32 v36, v38, v36 :: v_dual_lshlrev_b32 v37, v37, v42
	s_delay_alu instid0(VALU_DEP_1) | instskip(NEXT) | instid1(VALU_DEP_2)
	v_and_b32_e32 v37, 3, v37
	v_lshl_add_u32 v36, v36, 23, 0x37800000
	s_delay_alu instid0(VALU_DEP_2) | instskip(SKIP_1) | instid1(VALU_DEP_2)
	v_cndmask_b32_e32 v27, v27, v37, vcc_lo
	v_and_b32_e32 v37, 0x80000000, v39
	v_lshlrev_b32_e32 v27, 21, v27
	s_delay_alu instid0(VALU_DEP_1)
	v_or3_b32 v27, v37, v36, v27
.LBB6_16400:                            ;   in Loop: Header=BB6_15906 Depth=3
	s_or_b32 exec_lo, exec_lo, s17
	s_waitcnt vmcnt(25) lgkmcnt(25)
	v_and_b32_e32 v37, 0xff, v26
	s_mov_b32 s13, 0
	s_mov_b32 s30, exec_lo
                                        ; implicit-def: $sgpr17
	s_delay_alu instid0(VALU_DEP_1)
	v_cmpx_lt_i16_e32 0x7f, v37
	s_xor_b32 s30, exec_lo, s30
	s_cbranch_execnz .LBB6_16993
; %bb.16401:                            ;   in Loop: Header=BB6_15906 Depth=3
	s_or_saveexec_b32 s30, s30
	v_mov_b32_e32 v36, s17
	s_xor_b32 exec_lo, exec_lo, s30
	s_cbranch_execnz .LBB6_16996
.LBB6_16402:                            ;   in Loop: Header=BB6_15906 Depth=3
	s_or_b32 exec_lo, exec_lo, s30
	s_and_saveexec_b32 s17, s13
	s_cbranch_execz .LBB6_16404
.LBB6_16403:                            ;   in Loop: Header=BB6_15906 Depth=3
	v_lshrrev_b16 v39, 2, v26
	s_delay_alu instid0(VALU_DEP_1) | instskip(NEXT) | instid1(VALU_DEP_1)
	v_and_b32_e32 v39, 31, v39
	v_cmp_eq_u32_e32 vcc_lo, 0, v39
	v_and_b32_e32 v36, 3, v26
	s_delay_alu instid0(VALU_DEP_1) | instskip(NEXT) | instid1(VALU_DEP_1)
	v_clz_i32_u32_e32 v37, v36
	v_min_u32_e32 v37, 32, v37
	s_delay_alu instid0(VALU_DEP_1) | instskip(SKIP_1) | instid1(VALU_DEP_1)
	v_subrev_nc_u32_e32 v38, 29, v37
	v_sub_nc_u32_e32 v37, 30, v37
	v_dual_cndmask_b32 v37, v39, v37 :: v_dual_lshlrev_b32 v38, v38, v26
	v_lshlrev_b32_e32 v26, 24, v26
	s_delay_alu instid0(VALU_DEP_2) | instskip(NEXT) | instid1(VALU_DEP_3)
	v_and_b32_e32 v38, 3, v38
	v_lshl_add_u32 v37, v37, 23, 0x37800000
	s_delay_alu instid0(VALU_DEP_3) | instskip(NEXT) | instid1(VALU_DEP_3)
	v_and_b32_e32 v26, 0x80000000, v26
	v_cndmask_b32_e32 v36, v36, v38, vcc_lo
	s_delay_alu instid0(VALU_DEP_1) | instskip(NEXT) | instid1(VALU_DEP_1)
	v_lshlrev_b32_e32 v36, 21, v36
	v_or3_b32 v36, v26, v37, v36
.LBB6_16404:                            ;   in Loop: Header=BB6_15906 Depth=3
	s_or_b32 exec_lo, exec_lo, s17
	s_delay_alu instid0(VALU_DEP_1) | instskip(SKIP_2) | instid1(VALU_DEP_2)
	v_add_f32_e32 v26, v27, v36
	v_mov_b32_e32 v42, 0x80
	s_mov_b32 s17, exec_lo
	v_and_b32_e32 v27, 0x7f800000, v26
	s_delay_alu instid0(VALU_DEP_1)
	v_cmpx_ne_u32_e32 0x7f800000, v27
	s_cbranch_execz .LBB6_16412
; %bb.16405:                            ;   in Loop: Header=BB6_15906 Depth=3
	v_mov_b32_e32 v42, 0
	s_mov_b32 s30, exec_lo
	v_cmpx_ne_u32_e32 0, v26
	s_cbranch_execz .LBB6_16411
; %bb.16406:                            ;   in Loop: Header=BB6_15906 Depth=3
	v_bfe_u32 v27, v26, 23, 8
	s_delay_alu instid0(VALU_DEP_1) | instskip(SKIP_1) | instid1(VALU_DEP_2)
	v_sub_nc_u32_e32 v37, 0x70, v27
	v_cmp_gt_u32_e32 vcc_lo, 0x71, v27
	v_dual_cndmask_b32 v37, 0, v37 :: v_dual_and_b32 v36, 0x7fffff, v26
	s_delay_alu instid0(VALU_DEP_1) | instskip(SKIP_2) | instid1(VALU_DEP_4)
	v_or_b32_e32 v38, 0x800000, v36
	v_cmp_eq_u32_e32 vcc_lo, 0, v27
	v_add_nc_u32_e32 v27, 0xffffff91, v27
	v_cndmask_b32_e64 v37, v37, 0x6f, vcc_lo
	s_delay_alu instid0(VALU_DEP_4) | instskip(NEXT) | instid1(VALU_DEP_3)
	v_cndmask_b32_e32 v36, v38, v36, vcc_lo
	v_cndmask_b32_e64 v27, v27, 0xffffff92, vcc_lo
	s_delay_alu instid0(VALU_DEP_3) | instskip(NEXT) | instid1(VALU_DEP_3)
	v_lshl_add_u32 v38, 0x200000, v37, -1
	v_lshrrev_b32_e32 v39, v37, v36
	v_lshlrev_b32_e64 v49, v37, 0x100000
	s_delay_alu instid0(VALU_DEP_4) | instskip(NEXT) | instid1(VALU_DEP_4)
	v_add_nc_u32_e32 v37, v37, v27
	v_and_b32_e32 v36, v38, v36
	s_delay_alu instid0(VALU_DEP_4) | instskip(NEXT) | instid1(VALU_DEP_2)
	v_bfe_u32 v48, v39, 21, 1
	v_cmp_eq_u32_e64 s13, v36, v49
	s_delay_alu instid0(VALU_DEP_2) | instskip(NEXT) | instid1(VALU_DEP_1)
	v_add_nc_u32_e32 v38, -1, v48
	v_cndmask_b32_e64 v36, 0, v38, s13
	v_lshrrev_b32_e32 v38, 23, v39
	s_mov_b32 s13, exec_lo
	s_delay_alu instid0(VALU_DEP_2) | instskip(NEXT) | instid1(VALU_DEP_2)
	v_add_nc_u32_e32 v36, v36, v39
	v_xor_b32_e32 v38, 1, v38
	s_delay_alu instid0(VALU_DEP_2) | instskip(NEXT) | instid1(VALU_DEP_1)
	v_and_b32_e32 v27, 0x1fffff, v36
	v_add_nc_u32_e32 v36, v27, v39
                                        ; implicit-def: $vgpr27
	s_delay_alu instid0(VALU_DEP_3)
	v_cmpx_ne_u32_e64 v37, v38
	s_xor_b32 s13, exec_lo, s13
; %bb.16407:                            ;   in Loop: Header=BB6_15906 Depth=3
	s_delay_alu instid0(VALU_DEP_2) | instskip(SKIP_2) | instid1(VALU_DEP_2)
	v_cmp_lt_u32_e32 vcc_lo, 0xffffff, v36
	v_sub_nc_u32_e32 v27, v37, v38
	v_cndmask_b32_e64 v37, 0, 1, vcc_lo
	v_add_co_ci_u32_e32 v27, vcc_lo, 0, v27, vcc_lo
	s_delay_alu instid0(VALU_DEP_2)
	v_lshrrev_b32_e32 v36, v37, v36
; %bb.16408:                            ;   in Loop: Header=BB6_15906 Depth=3
	s_and_not1_saveexec_b32 s13, s13
; %bb.16409:                            ;   in Loop: Header=BB6_15906 Depth=3
	s_delay_alu instid0(VALU_DEP_1)
	v_bfe_u32 v27, v36, 23, 1
; %bb.16410:                            ;   in Loop: Header=BB6_15906 Depth=3
	s_or_b32 exec_lo, exec_lo, s13
	v_lshrrev_b32_e32 v36, 21, v36
	s_delay_alu instid0(VALU_DEP_2) | instskip(SKIP_2) | instid1(VALU_DEP_4)
	v_cmp_gt_i32_e32 vcc_lo, 32, v27
	v_lshrrev_b32_e32 v26, 24, v26
	v_min_i32_e32 v37, 31, v27
	v_cndmask_b32_e32 v36, 3, v36, vcc_lo
	s_delay_alu instid0(VALU_DEP_3) | instskip(NEXT) | instid1(VALU_DEP_3)
	v_and_b32_e32 v26, 0x80, v26
	v_lshlrev_b32_e32 v37, 2, v37
	s_delay_alu instid0(VALU_DEP_3) | instskip(SKIP_1) | instid1(VALU_DEP_2)
	v_and_b32_e32 v38, 3, v36
	v_or_b32_e32 v27, v27, v36
	v_or3_b32 v26, v37, v26, v38
	s_delay_alu instid0(VALU_DEP_2) | instskip(NEXT) | instid1(VALU_DEP_2)
	v_cmp_ne_u32_e32 vcc_lo, 0, v27
	v_cndmask_b32_e32 v42, 0, v26, vcc_lo
.LBB6_16411:                            ;   in Loop: Header=BB6_15906 Depth=3
	s_or_b32 exec_lo, exec_lo, s30
.LBB6_16412:                            ;   in Loop: Header=BB6_15906 Depth=3
	s_delay_alu instid0(SALU_CYCLE_1) | instskip(SKIP_3) | instid1(VALU_DEP_1)
	s_or_b32 exec_lo, exec_lo, s17
	v_and_b32_e32 v27, 0xff, v47
	s_mov_b32 s13, 0
	s_mov_b32 s30, exec_lo
                                        ; implicit-def: $sgpr17
	v_cmpx_lt_i16_e32 0x7f, v27
	s_xor_b32 s30, exec_lo, s30
	s_cbranch_execnz .LBB6_16997
; %bb.16413:                            ;   in Loop: Header=BB6_15906 Depth=3
	s_or_saveexec_b32 s30, s30
	v_mov_b32_e32 v26, s17
	s_xor_b32 exec_lo, exec_lo, s30
	s_cbranch_execnz .LBB6_17000
.LBB6_16414:                            ;   in Loop: Header=BB6_15906 Depth=3
	s_or_b32 exec_lo, exec_lo, s30
	s_and_saveexec_b32 s17, s13
	s_cbranch_execz .LBB6_16416
.LBB6_16415:                            ;   in Loop: Header=BB6_15906 Depth=3
	v_and_b32_e32 v26, 3, v47
	v_lshrrev_b16 v37, 2, v47
	v_lshlrev_b32_e32 v38, 24, v47
	s_delay_alu instid0(VALU_DEP_3) | instskip(NEXT) | instid1(VALU_DEP_1)
	v_clz_i32_u32_e32 v27, v26
	v_min_u32_e32 v27, 32, v27
	s_delay_alu instid0(VALU_DEP_1) | instskip(SKIP_1) | instid1(VALU_DEP_2)
	v_subrev_nc_u32_e32 v36, 29, v27
	v_sub_nc_u32_e32 v27, 30, v27
	v_lshlrev_b32_e32 v36, v36, v47
	s_delay_alu instid0(VALU_DEP_1) | instskip(SKIP_1) | instid1(VALU_DEP_1)
	v_and_b32_e32 v36, 3, v36
	v_and_b32_e32 v37, 31, v37
	v_cmp_eq_u32_e32 vcc_lo, 0, v37
	s_delay_alu instid0(VALU_DEP_3) | instskip(SKIP_1) | instid1(VALU_DEP_2)
	v_dual_cndmask_b32 v26, v26, v36 :: v_dual_cndmask_b32 v27, v37, v27
	v_and_b32_e32 v36, 0x80000000, v38
	v_lshlrev_b32_e32 v26, 21, v26
	s_delay_alu instid0(VALU_DEP_3) | instskip(NEXT) | instid1(VALU_DEP_1)
	v_lshl_add_u32 v27, v27, 23, 0x37800000
	v_or3_b32 v26, v36, v27, v26
.LBB6_16416:                            ;   in Loop: Header=BB6_15906 Depth=3
	s_or_b32 exec_lo, exec_lo, s17
	s_waitcnt vmcnt(24) lgkmcnt(24)
	v_and_b32_e32 v36, 0xff, v98
	s_mov_b32 s13, 0
	s_mov_b32 s30, exec_lo
                                        ; implicit-def: $sgpr17
	s_delay_alu instid0(VALU_DEP_1)
	v_cmpx_lt_i16_e32 0x7f, v36
	s_xor_b32 s30, exec_lo, s30
	s_cbranch_execnz .LBB6_17001
; %bb.16417:                            ;   in Loop: Header=BB6_15906 Depth=3
	s_or_saveexec_b32 s30, s30
	v_mov_b32_e32 v27, s17
	s_xor_b32 exec_lo, exec_lo, s30
	s_cbranch_execnz .LBB6_17004
.LBB6_16418:                            ;   in Loop: Header=BB6_15906 Depth=3
	s_or_b32 exec_lo, exec_lo, s30
	s_and_saveexec_b32 s17, s13
	s_cbranch_execz .LBB6_16420
.LBB6_16419:                            ;   in Loop: Header=BB6_15906 Depth=3
	v_lshrrev_b16 v38, 2, v98
	v_lshlrev_b32_e32 v39, 24, v98
	s_delay_alu instid0(VALU_DEP_2) | instskip(NEXT) | instid1(VALU_DEP_1)
	v_and_b32_e32 v38, 31, v38
	v_cmp_eq_u32_e32 vcc_lo, 0, v38
	v_and_b32_e32 v27, 3, v98
	s_delay_alu instid0(VALU_DEP_1) | instskip(NEXT) | instid1(VALU_DEP_1)
	v_clz_i32_u32_e32 v36, v27
	v_min_u32_e32 v36, 32, v36
	s_delay_alu instid0(VALU_DEP_1) | instskip(SKIP_1) | instid1(VALU_DEP_1)
	v_subrev_nc_u32_e32 v37, 29, v36
	v_sub_nc_u32_e32 v36, 30, v36
	v_dual_cndmask_b32 v36, v38, v36 :: v_dual_lshlrev_b32 v37, v37, v98
	s_delay_alu instid0(VALU_DEP_1) | instskip(NEXT) | instid1(VALU_DEP_2)
	v_and_b32_e32 v37, 3, v37
	v_lshl_add_u32 v36, v36, 23, 0x37800000
	s_delay_alu instid0(VALU_DEP_2) | instskip(SKIP_1) | instid1(VALU_DEP_2)
	v_cndmask_b32_e32 v27, v27, v37, vcc_lo
	v_and_b32_e32 v37, 0x80000000, v39
	v_lshlrev_b32_e32 v27, 21, v27
	s_delay_alu instid0(VALU_DEP_1)
	v_or3_b32 v27, v37, v36, v27
.LBB6_16420:                            ;   in Loop: Header=BB6_15906 Depth=3
	s_or_b32 exec_lo, exec_lo, s17
	s_delay_alu instid0(VALU_DEP_1) | instskip(SKIP_1) | instid1(VALU_DEP_1)
	v_dual_add_f32 v26, v26, v27 :: v_dual_mov_b32 v47, 0x80
	s_mov_b32 s17, exec_lo
	v_and_b32_e32 v27, 0x7f800000, v26
	s_delay_alu instid0(VALU_DEP_1)
	v_cmpx_ne_u32_e32 0x7f800000, v27
	s_cbranch_execz .LBB6_16428
; %bb.16421:                            ;   in Loop: Header=BB6_15906 Depth=3
	v_mov_b32_e32 v47, 0
	s_mov_b32 s30, exec_lo
	v_cmpx_ne_u32_e32 0, v26
	s_cbranch_execz .LBB6_16427
; %bb.16422:                            ;   in Loop: Header=BB6_15906 Depth=3
	v_bfe_u32 v27, v26, 23, 8
	s_delay_alu instid0(VALU_DEP_1) | instskip(SKIP_1) | instid1(VALU_DEP_2)
	v_sub_nc_u32_e32 v37, 0x70, v27
	v_cmp_gt_u32_e32 vcc_lo, 0x71, v27
	v_dual_cndmask_b32 v37, 0, v37 :: v_dual_and_b32 v36, 0x7fffff, v26
	s_delay_alu instid0(VALU_DEP_1) | instskip(SKIP_2) | instid1(VALU_DEP_4)
	v_or_b32_e32 v38, 0x800000, v36
	v_cmp_eq_u32_e32 vcc_lo, 0, v27
	v_add_nc_u32_e32 v27, 0xffffff91, v27
	v_cndmask_b32_e64 v37, v37, 0x6f, vcc_lo
	s_delay_alu instid0(VALU_DEP_4) | instskip(NEXT) | instid1(VALU_DEP_3)
	v_cndmask_b32_e32 v36, v38, v36, vcc_lo
	v_cndmask_b32_e64 v27, v27, 0xffffff92, vcc_lo
	s_delay_alu instid0(VALU_DEP_3) | instskip(NEXT) | instid1(VALU_DEP_3)
	v_lshl_add_u32 v38, 0x200000, v37, -1
	v_lshrrev_b32_e32 v39, v37, v36
	v_lshlrev_b32_e64 v49, v37, 0x100000
	s_delay_alu instid0(VALU_DEP_4) | instskip(NEXT) | instid1(VALU_DEP_4)
	v_add_nc_u32_e32 v37, v37, v27
	v_and_b32_e32 v36, v38, v36
	s_delay_alu instid0(VALU_DEP_4) | instskip(NEXT) | instid1(VALU_DEP_2)
	v_bfe_u32 v48, v39, 21, 1
	v_cmp_eq_u32_e64 s13, v36, v49
	s_delay_alu instid0(VALU_DEP_2) | instskip(NEXT) | instid1(VALU_DEP_1)
	v_add_nc_u32_e32 v38, -1, v48
	v_cndmask_b32_e64 v36, 0, v38, s13
	v_lshrrev_b32_e32 v38, 23, v39
	s_mov_b32 s13, exec_lo
	s_delay_alu instid0(VALU_DEP_2) | instskip(NEXT) | instid1(VALU_DEP_2)
	v_add_nc_u32_e32 v36, v36, v39
	v_xor_b32_e32 v38, 1, v38
	s_delay_alu instid0(VALU_DEP_2) | instskip(NEXT) | instid1(VALU_DEP_1)
	v_and_b32_e32 v27, 0x1fffff, v36
	v_add_nc_u32_e32 v36, v27, v39
                                        ; implicit-def: $vgpr27
	s_delay_alu instid0(VALU_DEP_3)
	v_cmpx_ne_u32_e64 v37, v38
	s_xor_b32 s13, exec_lo, s13
; %bb.16423:                            ;   in Loop: Header=BB6_15906 Depth=3
	s_delay_alu instid0(VALU_DEP_2) | instskip(SKIP_2) | instid1(VALU_DEP_2)
	v_cmp_lt_u32_e32 vcc_lo, 0xffffff, v36
	v_sub_nc_u32_e32 v27, v37, v38
	v_cndmask_b32_e64 v37, 0, 1, vcc_lo
	v_add_co_ci_u32_e32 v27, vcc_lo, 0, v27, vcc_lo
	s_delay_alu instid0(VALU_DEP_2)
	v_lshrrev_b32_e32 v36, v37, v36
; %bb.16424:                            ;   in Loop: Header=BB6_15906 Depth=3
	s_and_not1_saveexec_b32 s13, s13
; %bb.16425:                            ;   in Loop: Header=BB6_15906 Depth=3
	s_delay_alu instid0(VALU_DEP_1)
	v_bfe_u32 v27, v36, 23, 1
; %bb.16426:                            ;   in Loop: Header=BB6_15906 Depth=3
	s_or_b32 exec_lo, exec_lo, s13
	v_lshrrev_b32_e32 v36, 21, v36
	s_delay_alu instid0(VALU_DEP_2) | instskip(SKIP_2) | instid1(VALU_DEP_2)
	v_cmp_gt_i32_e32 vcc_lo, 32, v27
	v_min_i32_e32 v37, 31, v27
	v_lshrrev_b32_e32 v26, 24, v26
	v_dual_cndmask_b32 v36, 3, v36 :: v_dual_lshlrev_b32 v37, 2, v37
	s_delay_alu instid0(VALU_DEP_2) | instskip(NEXT) | instid1(VALU_DEP_2)
	v_and_b32_e32 v26, 0x80, v26
	v_or_b32_e32 v27, v27, v36
	s_delay_alu instid0(VALU_DEP_1) | instskip(SKIP_1) | instid1(VALU_DEP_1)
	v_cmp_ne_u32_e32 vcc_lo, 0, v27
	v_and_b32_e32 v38, 3, v36
	v_or3_b32 v26, v37, v26, v38
	s_delay_alu instid0(VALU_DEP_1)
	v_cndmask_b32_e32 v47, 0, v26, vcc_lo
.LBB6_16427:                            ;   in Loop: Header=BB6_15906 Depth=3
	s_or_b32 exec_lo, exec_lo, s30
.LBB6_16428:                            ;   in Loop: Header=BB6_15906 Depth=3
	s_delay_alu instid0(SALU_CYCLE_1) | instskip(SKIP_3) | instid1(VALU_DEP_1)
	s_or_b32 exec_lo, exec_lo, s17
	v_and_b32_e32 v27, 0xff, v56
	s_mov_b32 s13, 0
	s_mov_b32 s30, exec_lo
                                        ; implicit-def: $sgpr17
	v_cmpx_lt_i16_e32 0x7f, v27
	s_xor_b32 s30, exec_lo, s30
	s_cbranch_execnz .LBB6_17005
; %bb.16429:                            ;   in Loop: Header=BB6_15906 Depth=3
	s_or_saveexec_b32 s30, s30
	v_mov_b32_e32 v26, s17
	s_xor_b32 exec_lo, exec_lo, s30
	s_cbranch_execnz .LBB6_17008
.LBB6_16430:                            ;   in Loop: Header=BB6_15906 Depth=3
	s_or_b32 exec_lo, exec_lo, s30
	s_and_saveexec_b32 s17, s13
	s_cbranch_execz .LBB6_16432
.LBB6_16431:                            ;   in Loop: Header=BB6_15906 Depth=3
	v_lshrrev_b16 v37, 2, v56
	v_lshlrev_b32_e32 v38, 24, v56
	s_delay_alu instid0(VALU_DEP_2) | instskip(NEXT) | instid1(VALU_DEP_1)
	v_and_b32_e32 v37, 31, v37
	v_cmp_eq_u32_e32 vcc_lo, 0, v37
	v_and_b32_e32 v26, 3, v56
	s_delay_alu instid0(VALU_DEP_1) | instskip(NEXT) | instid1(VALU_DEP_1)
	v_clz_i32_u32_e32 v27, v26
	v_min_u32_e32 v27, 32, v27
	s_delay_alu instid0(VALU_DEP_1) | instskip(SKIP_1) | instid1(VALU_DEP_1)
	v_subrev_nc_u32_e32 v36, 29, v27
	v_sub_nc_u32_e32 v27, 30, v27
	v_dual_cndmask_b32 v27, v37, v27 :: v_dual_lshlrev_b32 v36, v36, v56
	s_delay_alu instid0(VALU_DEP_1) | instskip(NEXT) | instid1(VALU_DEP_2)
	v_and_b32_e32 v36, 3, v36
	v_lshl_add_u32 v27, v27, 23, 0x37800000
	s_delay_alu instid0(VALU_DEP_2) | instskip(SKIP_1) | instid1(VALU_DEP_2)
	v_cndmask_b32_e32 v26, v26, v36, vcc_lo
	v_and_b32_e32 v36, 0x80000000, v38
	v_lshlrev_b32_e32 v26, 21, v26
	s_delay_alu instid0(VALU_DEP_1)
	v_or3_b32 v26, v36, v27, v26
.LBB6_16432:                            ;   in Loop: Header=BB6_15906 Depth=3
	s_or_b32 exec_lo, exec_lo, s17
	s_waitcnt vmcnt(23) lgkmcnt(23)
	v_and_b32_e32 v36, 0xff, v73
	s_mov_b32 s13, 0
	s_mov_b32 s30, exec_lo
                                        ; implicit-def: $sgpr17
	s_delay_alu instid0(VALU_DEP_1)
	v_cmpx_lt_i16_e32 0x7f, v36
	s_xor_b32 s30, exec_lo, s30
	s_cbranch_execnz .LBB6_17009
; %bb.16433:                            ;   in Loop: Header=BB6_15906 Depth=3
	s_or_saveexec_b32 s30, s30
	v_mov_b32_e32 v27, s17
	s_xor_b32 exec_lo, exec_lo, s30
	s_cbranch_execnz .LBB6_17012
.LBB6_16434:                            ;   in Loop: Header=BB6_15906 Depth=3
	s_or_b32 exec_lo, exec_lo, s30
	s_and_saveexec_b32 s17, s13
	s_cbranch_execz .LBB6_16436
.LBB6_16435:                            ;   in Loop: Header=BB6_15906 Depth=3
	v_lshrrev_b16 v38, 2, v73
	v_lshlrev_b32_e32 v39, 24, v73
	s_delay_alu instid0(VALU_DEP_2) | instskip(NEXT) | instid1(VALU_DEP_1)
	v_and_b32_e32 v38, 31, v38
	v_cmp_eq_u32_e32 vcc_lo, 0, v38
	v_and_b32_e32 v27, 3, v73
	s_delay_alu instid0(VALU_DEP_1) | instskip(NEXT) | instid1(VALU_DEP_1)
	v_clz_i32_u32_e32 v36, v27
	v_min_u32_e32 v36, 32, v36
	s_delay_alu instid0(VALU_DEP_1) | instskip(SKIP_1) | instid1(VALU_DEP_1)
	v_subrev_nc_u32_e32 v37, 29, v36
	v_sub_nc_u32_e32 v36, 30, v36
	v_dual_cndmask_b32 v36, v38, v36 :: v_dual_lshlrev_b32 v37, v37, v73
	s_delay_alu instid0(VALU_DEP_1) | instskip(NEXT) | instid1(VALU_DEP_2)
	v_and_b32_e32 v37, 3, v37
	v_lshl_add_u32 v36, v36, 23, 0x37800000
	s_delay_alu instid0(VALU_DEP_2) | instskip(SKIP_1) | instid1(VALU_DEP_2)
	v_cndmask_b32_e32 v27, v27, v37, vcc_lo
	v_and_b32_e32 v37, 0x80000000, v39
	v_lshlrev_b32_e32 v27, 21, v27
	s_delay_alu instid0(VALU_DEP_1)
	v_or3_b32 v27, v37, v36, v27
.LBB6_16436:                            ;   in Loop: Header=BB6_15906 Depth=3
	s_or_b32 exec_lo, exec_lo, s17
	s_delay_alu instid0(VALU_DEP_1) | instskip(SKIP_2) | instid1(VALU_DEP_2)
	v_add_f32_e32 v26, v26, v27
	v_mov_b32_e32 v56, 0x80
	s_mov_b32 s17, exec_lo
	v_and_b32_e32 v27, 0x7f800000, v26
	s_delay_alu instid0(VALU_DEP_1)
	v_cmpx_ne_u32_e32 0x7f800000, v27
	s_cbranch_execz .LBB6_16444
; %bb.16437:                            ;   in Loop: Header=BB6_15906 Depth=3
	v_mov_b32_e32 v56, 0
	s_mov_b32 s30, exec_lo
	v_cmpx_ne_u32_e32 0, v26
	s_cbranch_execz .LBB6_16443
; %bb.16438:                            ;   in Loop: Header=BB6_15906 Depth=3
	v_bfe_u32 v27, v26, 23, 8
	s_delay_alu instid0(VALU_DEP_1) | instskip(SKIP_1) | instid1(VALU_DEP_2)
	v_sub_nc_u32_e32 v37, 0x70, v27
	v_cmp_gt_u32_e32 vcc_lo, 0x71, v27
	v_dual_cndmask_b32 v37, 0, v37 :: v_dual_and_b32 v36, 0x7fffff, v26
	s_delay_alu instid0(VALU_DEP_1) | instskip(SKIP_2) | instid1(VALU_DEP_4)
	v_or_b32_e32 v38, 0x800000, v36
	v_cmp_eq_u32_e32 vcc_lo, 0, v27
	v_add_nc_u32_e32 v27, 0xffffff91, v27
	v_cndmask_b32_e64 v37, v37, 0x6f, vcc_lo
	s_delay_alu instid0(VALU_DEP_4) | instskip(NEXT) | instid1(VALU_DEP_3)
	v_cndmask_b32_e32 v36, v38, v36, vcc_lo
	v_cndmask_b32_e64 v27, v27, 0xffffff92, vcc_lo
	s_delay_alu instid0(VALU_DEP_3) | instskip(NEXT) | instid1(VALU_DEP_3)
	v_lshl_add_u32 v38, 0x200000, v37, -1
	v_lshrrev_b32_e32 v39, v37, v36
	v_lshlrev_b32_e64 v49, v37, 0x100000
	s_delay_alu instid0(VALU_DEP_4) | instskip(NEXT) | instid1(VALU_DEP_4)
	v_add_nc_u32_e32 v37, v37, v27
	v_and_b32_e32 v36, v38, v36
	s_delay_alu instid0(VALU_DEP_4) | instskip(NEXT) | instid1(VALU_DEP_2)
	v_bfe_u32 v48, v39, 21, 1
	v_cmp_eq_u32_e64 s13, v36, v49
	s_delay_alu instid0(VALU_DEP_2) | instskip(NEXT) | instid1(VALU_DEP_1)
	v_add_nc_u32_e32 v38, -1, v48
	v_cndmask_b32_e64 v36, 0, v38, s13
	v_lshrrev_b32_e32 v38, 23, v39
	s_mov_b32 s13, exec_lo
	s_delay_alu instid0(VALU_DEP_2) | instskip(NEXT) | instid1(VALU_DEP_2)
	v_add_nc_u32_e32 v36, v36, v39
	v_xor_b32_e32 v38, 1, v38
	s_delay_alu instid0(VALU_DEP_2) | instskip(NEXT) | instid1(VALU_DEP_1)
	v_and_b32_e32 v27, 0x1fffff, v36
	v_add_nc_u32_e32 v36, v27, v39
                                        ; implicit-def: $vgpr27
	s_delay_alu instid0(VALU_DEP_3)
	v_cmpx_ne_u32_e64 v37, v38
	s_xor_b32 s13, exec_lo, s13
; %bb.16439:                            ;   in Loop: Header=BB6_15906 Depth=3
	s_delay_alu instid0(VALU_DEP_2) | instskip(SKIP_2) | instid1(VALU_DEP_2)
	v_cmp_lt_u32_e32 vcc_lo, 0xffffff, v36
	v_sub_nc_u32_e32 v27, v37, v38
	v_cndmask_b32_e64 v37, 0, 1, vcc_lo
	v_add_co_ci_u32_e32 v27, vcc_lo, 0, v27, vcc_lo
	s_delay_alu instid0(VALU_DEP_2)
	v_lshrrev_b32_e32 v36, v37, v36
; %bb.16440:                            ;   in Loop: Header=BB6_15906 Depth=3
	s_and_not1_saveexec_b32 s13, s13
; %bb.16441:                            ;   in Loop: Header=BB6_15906 Depth=3
	s_delay_alu instid0(VALU_DEP_1)
	v_bfe_u32 v27, v36, 23, 1
; %bb.16442:                            ;   in Loop: Header=BB6_15906 Depth=3
	s_or_b32 exec_lo, exec_lo, s13
	v_lshrrev_b32_e32 v36, 21, v36
	s_delay_alu instid0(VALU_DEP_2) | instskip(SKIP_2) | instid1(VALU_DEP_4)
	v_cmp_gt_i32_e32 vcc_lo, 32, v27
	v_lshrrev_b32_e32 v26, 24, v26
	v_min_i32_e32 v37, 31, v27
	v_cndmask_b32_e32 v36, 3, v36, vcc_lo
	s_delay_alu instid0(VALU_DEP_3) | instskip(NEXT) | instid1(VALU_DEP_3)
	v_and_b32_e32 v26, 0x80, v26
	v_lshlrev_b32_e32 v37, 2, v37
	s_delay_alu instid0(VALU_DEP_3) | instskip(SKIP_1) | instid1(VALU_DEP_2)
	v_and_b32_e32 v38, 3, v36
	v_or_b32_e32 v27, v27, v36
	v_or3_b32 v26, v37, v26, v38
	s_delay_alu instid0(VALU_DEP_2) | instskip(NEXT) | instid1(VALU_DEP_2)
	v_cmp_ne_u32_e32 vcc_lo, 0, v27
	v_cndmask_b32_e32 v56, 0, v26, vcc_lo
.LBB6_16443:                            ;   in Loop: Header=BB6_15906 Depth=3
	s_or_b32 exec_lo, exec_lo, s30
.LBB6_16444:                            ;   in Loop: Header=BB6_15906 Depth=3
	s_delay_alu instid0(SALU_CYCLE_1) | instskip(SKIP_3) | instid1(VALU_DEP_1)
	s_or_b32 exec_lo, exec_lo, s17
	v_and_b32_e32 v27, 0xff, v113
	s_mov_b32 s13, 0
	s_mov_b32 s30, exec_lo
                                        ; implicit-def: $sgpr17
	v_cmpx_lt_i16_e32 0x7f, v27
	s_xor_b32 s30, exec_lo, s30
	s_cbranch_execnz .LBB6_17013
; %bb.16445:                            ;   in Loop: Header=BB6_15906 Depth=3
	s_or_saveexec_b32 s30, s30
	v_mov_b32_e32 v26, s17
	s_xor_b32 exec_lo, exec_lo, s30
	s_cbranch_execnz .LBB6_17016
.LBB6_16446:                            ;   in Loop: Header=BB6_15906 Depth=3
	s_or_b32 exec_lo, exec_lo, s30
	s_and_saveexec_b32 s17, s13
	s_cbranch_execz .LBB6_16448
.LBB6_16447:                            ;   in Loop: Header=BB6_15906 Depth=3
	v_lshrrev_b16 v37, 2, v113
	v_lshlrev_b32_e32 v38, 24, v113
	s_delay_alu instid0(VALU_DEP_2) | instskip(NEXT) | instid1(VALU_DEP_1)
	v_and_b32_e32 v37, 31, v37
	v_cmp_eq_u32_e32 vcc_lo, 0, v37
	v_and_b32_e32 v26, 3, v113
	s_delay_alu instid0(VALU_DEP_1) | instskip(NEXT) | instid1(VALU_DEP_1)
	v_clz_i32_u32_e32 v27, v26
	v_min_u32_e32 v27, 32, v27
	s_delay_alu instid0(VALU_DEP_1) | instskip(SKIP_1) | instid1(VALU_DEP_1)
	v_subrev_nc_u32_e32 v36, 29, v27
	v_sub_nc_u32_e32 v27, 30, v27
	v_dual_cndmask_b32 v27, v37, v27 :: v_dual_lshlrev_b32 v36, v36, v113
	s_delay_alu instid0(VALU_DEP_1) | instskip(NEXT) | instid1(VALU_DEP_2)
	v_and_b32_e32 v36, 3, v36
	v_lshl_add_u32 v27, v27, 23, 0x37800000
	s_delay_alu instid0(VALU_DEP_2) | instskip(SKIP_1) | instid1(VALU_DEP_2)
	v_cndmask_b32_e32 v26, v26, v36, vcc_lo
	v_and_b32_e32 v36, 0x80000000, v38
	v_lshlrev_b32_e32 v26, 21, v26
	s_delay_alu instid0(VALU_DEP_1)
	v_or3_b32 v26, v36, v27, v26
.LBB6_16448:                            ;   in Loop: Header=BB6_15906 Depth=3
	s_or_b32 exec_lo, exec_lo, s17
	s_waitcnt vmcnt(22) lgkmcnt(22)
	v_and_b32_e32 v36, 0xff, v115
	s_mov_b32 s13, 0
	s_mov_b32 s30, exec_lo
                                        ; implicit-def: $sgpr17
	s_delay_alu instid0(VALU_DEP_1)
	v_cmpx_lt_i16_e32 0x7f, v36
	s_xor_b32 s30, exec_lo, s30
	s_cbranch_execnz .LBB6_17017
; %bb.16449:                            ;   in Loop: Header=BB6_15906 Depth=3
	s_or_saveexec_b32 s30, s30
	v_mov_b32_e32 v27, s17
	s_xor_b32 exec_lo, exec_lo, s30
	s_cbranch_execnz .LBB6_17020
.LBB6_16450:                            ;   in Loop: Header=BB6_15906 Depth=3
	s_or_b32 exec_lo, exec_lo, s30
	s_and_saveexec_b32 s17, s13
	s_cbranch_execz .LBB6_16452
.LBB6_16451:                            ;   in Loop: Header=BB6_15906 Depth=3
	v_lshrrev_b16 v38, 2, v115
	v_lshlrev_b32_e32 v39, 24, v115
	s_delay_alu instid0(VALU_DEP_2) | instskip(NEXT) | instid1(VALU_DEP_1)
	v_and_b32_e32 v38, 31, v38
	v_cmp_eq_u32_e32 vcc_lo, 0, v38
	v_and_b32_e32 v27, 3, v115
	s_delay_alu instid0(VALU_DEP_1) | instskip(NEXT) | instid1(VALU_DEP_1)
	v_clz_i32_u32_e32 v36, v27
	v_min_u32_e32 v36, 32, v36
	s_delay_alu instid0(VALU_DEP_1) | instskip(SKIP_1) | instid1(VALU_DEP_1)
	v_subrev_nc_u32_e32 v37, 29, v36
	v_sub_nc_u32_e32 v36, 30, v36
	v_dual_cndmask_b32 v36, v38, v36 :: v_dual_lshlrev_b32 v37, v37, v115
	s_delay_alu instid0(VALU_DEP_1) | instskip(NEXT) | instid1(VALU_DEP_2)
	v_and_b32_e32 v37, 3, v37
	v_lshl_add_u32 v36, v36, 23, 0x37800000
	s_delay_alu instid0(VALU_DEP_2) | instskip(SKIP_1) | instid1(VALU_DEP_2)
	v_cndmask_b32_e32 v27, v27, v37, vcc_lo
	v_and_b32_e32 v37, 0x80000000, v39
	v_lshlrev_b32_e32 v27, 21, v27
	s_delay_alu instid0(VALU_DEP_1)
	v_or3_b32 v27, v37, v36, v27
.LBB6_16452:                            ;   in Loop: Header=BB6_15906 Depth=3
	s_or_b32 exec_lo, exec_lo, s17
	s_delay_alu instid0(VALU_DEP_1) | instskip(SKIP_1) | instid1(VALU_DEP_1)
	v_dual_add_f32 v26, v26, v27 :: v_dual_mov_b32 v113, 0x80
	s_mov_b32 s17, exec_lo
	v_and_b32_e32 v27, 0x7f800000, v26
	s_delay_alu instid0(VALU_DEP_1)
	v_cmpx_ne_u32_e32 0x7f800000, v27
	s_cbranch_execz .LBB6_16460
; %bb.16453:                            ;   in Loop: Header=BB6_15906 Depth=3
	v_mov_b32_e32 v113, 0
	s_mov_b32 s30, exec_lo
	v_cmpx_ne_u32_e32 0, v26
	s_cbranch_execz .LBB6_16459
; %bb.16454:                            ;   in Loop: Header=BB6_15906 Depth=3
	v_bfe_u32 v27, v26, 23, 8
	s_delay_alu instid0(VALU_DEP_1) | instskip(SKIP_1) | instid1(VALU_DEP_2)
	v_sub_nc_u32_e32 v37, 0x70, v27
	v_cmp_gt_u32_e32 vcc_lo, 0x71, v27
	v_dual_cndmask_b32 v37, 0, v37 :: v_dual_and_b32 v36, 0x7fffff, v26
	s_delay_alu instid0(VALU_DEP_1) | instskip(SKIP_2) | instid1(VALU_DEP_4)
	v_or_b32_e32 v38, 0x800000, v36
	v_cmp_eq_u32_e32 vcc_lo, 0, v27
	v_add_nc_u32_e32 v27, 0xffffff91, v27
	v_cndmask_b32_e64 v37, v37, 0x6f, vcc_lo
	s_delay_alu instid0(VALU_DEP_4) | instskip(NEXT) | instid1(VALU_DEP_3)
	v_cndmask_b32_e32 v36, v38, v36, vcc_lo
	v_cndmask_b32_e64 v27, v27, 0xffffff92, vcc_lo
	s_delay_alu instid0(VALU_DEP_3) | instskip(NEXT) | instid1(VALU_DEP_3)
	v_lshl_add_u32 v38, 0x200000, v37, -1
	v_lshrrev_b32_e32 v39, v37, v36
	v_lshlrev_b32_e64 v49, v37, 0x100000
	s_delay_alu instid0(VALU_DEP_4) | instskip(NEXT) | instid1(VALU_DEP_4)
	v_add_nc_u32_e32 v37, v37, v27
	v_and_b32_e32 v36, v38, v36
	s_delay_alu instid0(VALU_DEP_4) | instskip(NEXT) | instid1(VALU_DEP_2)
	v_bfe_u32 v48, v39, 21, 1
	v_cmp_eq_u32_e64 s13, v36, v49
	s_delay_alu instid0(VALU_DEP_2) | instskip(NEXT) | instid1(VALU_DEP_1)
	v_add_nc_u32_e32 v38, -1, v48
	v_cndmask_b32_e64 v36, 0, v38, s13
	v_lshrrev_b32_e32 v38, 23, v39
	s_mov_b32 s13, exec_lo
	s_delay_alu instid0(VALU_DEP_2) | instskip(NEXT) | instid1(VALU_DEP_2)
	v_add_nc_u32_e32 v36, v36, v39
	v_xor_b32_e32 v38, 1, v38
	s_delay_alu instid0(VALU_DEP_2) | instskip(NEXT) | instid1(VALU_DEP_1)
	v_and_b32_e32 v27, 0x1fffff, v36
	v_add_nc_u32_e32 v36, v27, v39
                                        ; implicit-def: $vgpr27
	s_delay_alu instid0(VALU_DEP_3)
	v_cmpx_ne_u32_e64 v37, v38
	s_xor_b32 s13, exec_lo, s13
; %bb.16455:                            ;   in Loop: Header=BB6_15906 Depth=3
	s_delay_alu instid0(VALU_DEP_2) | instskip(SKIP_2) | instid1(VALU_DEP_2)
	v_cmp_lt_u32_e32 vcc_lo, 0xffffff, v36
	v_sub_nc_u32_e32 v27, v37, v38
	v_cndmask_b32_e64 v37, 0, 1, vcc_lo
	v_add_co_ci_u32_e32 v27, vcc_lo, 0, v27, vcc_lo
	s_delay_alu instid0(VALU_DEP_2)
	v_lshrrev_b32_e32 v36, v37, v36
; %bb.16456:                            ;   in Loop: Header=BB6_15906 Depth=3
	s_and_not1_saveexec_b32 s13, s13
; %bb.16457:                            ;   in Loop: Header=BB6_15906 Depth=3
	s_delay_alu instid0(VALU_DEP_1)
	v_bfe_u32 v27, v36, 23, 1
; %bb.16458:                            ;   in Loop: Header=BB6_15906 Depth=3
	s_or_b32 exec_lo, exec_lo, s13
	v_lshrrev_b32_e32 v36, 21, v36
	s_delay_alu instid0(VALU_DEP_2) | instskip(SKIP_2) | instid1(VALU_DEP_2)
	v_cmp_gt_i32_e32 vcc_lo, 32, v27
	v_min_i32_e32 v37, 31, v27
	v_lshrrev_b32_e32 v26, 24, v26
	v_dual_cndmask_b32 v36, 3, v36 :: v_dual_lshlrev_b32 v37, 2, v37
	s_delay_alu instid0(VALU_DEP_2) | instskip(NEXT) | instid1(VALU_DEP_2)
	v_and_b32_e32 v26, 0x80, v26
	v_or_b32_e32 v27, v27, v36
	s_delay_alu instid0(VALU_DEP_1) | instskip(SKIP_1) | instid1(VALU_DEP_1)
	v_cmp_ne_u32_e32 vcc_lo, 0, v27
	v_and_b32_e32 v38, 3, v36
	v_or3_b32 v26, v37, v26, v38
	s_delay_alu instid0(VALU_DEP_1)
	v_cndmask_b32_e32 v113, 0, v26, vcc_lo
.LBB6_16459:                            ;   in Loop: Header=BB6_15906 Depth=3
	s_or_b32 exec_lo, exec_lo, s30
.LBB6_16460:                            ;   in Loop: Header=BB6_15906 Depth=3
	s_delay_alu instid0(SALU_CYCLE_1) | instskip(SKIP_3) | instid1(VALU_DEP_1)
	s_or_b32 exec_lo, exec_lo, s17
	v_and_b32_e32 v27, 0xff, v44
	s_mov_b32 s13, 0
	s_mov_b32 s30, exec_lo
                                        ; implicit-def: $sgpr17
	v_cmpx_lt_i16_e32 0x7f, v27
	s_xor_b32 s30, exec_lo, s30
	s_cbranch_execnz .LBB6_17021
; %bb.16461:                            ;   in Loop: Header=BB6_15906 Depth=3
	s_or_saveexec_b32 s30, s30
	v_mov_b32_e32 v26, s17
	s_xor_b32 exec_lo, exec_lo, s30
	s_cbranch_execnz .LBB6_17024
.LBB6_16462:                            ;   in Loop: Header=BB6_15906 Depth=3
	s_or_b32 exec_lo, exec_lo, s30
	s_and_saveexec_b32 s17, s13
	s_cbranch_execz .LBB6_16464
.LBB6_16463:                            ;   in Loop: Header=BB6_15906 Depth=3
	v_lshrrev_b16 v37, 2, v44
	v_lshlrev_b32_e32 v38, 24, v44
	s_delay_alu instid0(VALU_DEP_2) | instskip(NEXT) | instid1(VALU_DEP_1)
	v_and_b32_e32 v37, 31, v37
	v_cmp_eq_u32_e32 vcc_lo, 0, v37
	v_and_b32_e32 v26, 3, v44
	s_delay_alu instid0(VALU_DEP_1) | instskip(NEXT) | instid1(VALU_DEP_1)
	v_clz_i32_u32_e32 v27, v26
	v_min_u32_e32 v27, 32, v27
	s_delay_alu instid0(VALU_DEP_1) | instskip(SKIP_1) | instid1(VALU_DEP_1)
	v_subrev_nc_u32_e32 v36, 29, v27
	v_sub_nc_u32_e32 v27, 30, v27
	v_dual_cndmask_b32 v27, v37, v27 :: v_dual_lshlrev_b32 v36, v36, v44
	s_delay_alu instid0(VALU_DEP_1) | instskip(NEXT) | instid1(VALU_DEP_2)
	v_and_b32_e32 v36, 3, v36
	v_lshl_add_u32 v27, v27, 23, 0x37800000
	s_delay_alu instid0(VALU_DEP_2) | instskip(SKIP_1) | instid1(VALU_DEP_2)
	v_cndmask_b32_e32 v26, v26, v36, vcc_lo
	v_and_b32_e32 v36, 0x80000000, v38
	v_lshlrev_b32_e32 v26, 21, v26
	s_delay_alu instid0(VALU_DEP_1)
	v_or3_b32 v26, v36, v27, v26
.LBB6_16464:                            ;   in Loop: Header=BB6_15906 Depth=3
	s_or_b32 exec_lo, exec_lo, s17
	s_waitcnt vmcnt(21) lgkmcnt(21)
	v_and_b32_e32 v36, 0xff, v132
	s_mov_b32 s13, 0
	s_mov_b32 s30, exec_lo
                                        ; implicit-def: $sgpr17
	s_delay_alu instid0(VALU_DEP_1)
	v_cmpx_lt_i16_e32 0x7f, v36
	s_xor_b32 s30, exec_lo, s30
	s_cbranch_execnz .LBB6_17025
; %bb.16465:                            ;   in Loop: Header=BB6_15906 Depth=3
	s_or_saveexec_b32 s30, s30
	v_mov_b32_e32 v27, s17
	s_xor_b32 exec_lo, exec_lo, s30
	s_cbranch_execnz .LBB6_17028
.LBB6_16466:                            ;   in Loop: Header=BB6_15906 Depth=3
	s_or_b32 exec_lo, exec_lo, s30
	s_and_saveexec_b32 s17, s13
	s_cbranch_execz .LBB6_16468
.LBB6_16467:                            ;   in Loop: Header=BB6_15906 Depth=3
	v_and_b32_e32 v27, 3, v132
	v_lshrrev_b16 v38, 2, v132
	v_lshlrev_b32_e32 v39, 24, v132
	s_delay_alu instid0(VALU_DEP_3) | instskip(NEXT) | instid1(VALU_DEP_1)
	v_clz_i32_u32_e32 v36, v27
	v_min_u32_e32 v36, 32, v36
	s_delay_alu instid0(VALU_DEP_1) | instskip(SKIP_1) | instid1(VALU_DEP_2)
	v_subrev_nc_u32_e32 v37, 29, v36
	v_sub_nc_u32_e32 v36, 30, v36
	v_lshlrev_b32_e32 v37, v37, v132
	s_delay_alu instid0(VALU_DEP_1) | instskip(SKIP_1) | instid1(VALU_DEP_1)
	v_and_b32_e32 v37, 3, v37
	v_and_b32_e32 v38, 31, v38
	v_cmp_eq_u32_e32 vcc_lo, 0, v38
	s_delay_alu instid0(VALU_DEP_3) | instskip(SKIP_1) | instid1(VALU_DEP_2)
	v_dual_cndmask_b32 v27, v27, v37 :: v_dual_cndmask_b32 v36, v38, v36
	v_and_b32_e32 v37, 0x80000000, v39
	v_lshlrev_b32_e32 v27, 21, v27
	s_delay_alu instid0(VALU_DEP_3) | instskip(NEXT) | instid1(VALU_DEP_1)
	v_lshl_add_u32 v36, v36, 23, 0x37800000
	v_or3_b32 v27, v37, v36, v27
.LBB6_16468:                            ;   in Loop: Header=BB6_15906 Depth=3
	s_or_b32 exec_lo, exec_lo, s17
	s_delay_alu instid0(VALU_DEP_1) | instskip(SKIP_2) | instid1(VALU_DEP_2)
	v_add_f32_e32 v26, v26, v27
	v_mov_b32_e32 v44, 0x80
	s_mov_b32 s17, exec_lo
	v_and_b32_e32 v27, 0x7f800000, v26
	s_delay_alu instid0(VALU_DEP_1)
	v_cmpx_ne_u32_e32 0x7f800000, v27
	s_cbranch_execz .LBB6_16476
; %bb.16469:                            ;   in Loop: Header=BB6_15906 Depth=3
	v_mov_b32_e32 v44, 0
	s_mov_b32 s30, exec_lo
	v_cmpx_ne_u32_e32 0, v26
	s_cbranch_execz .LBB6_16475
; %bb.16470:                            ;   in Loop: Header=BB6_15906 Depth=3
	v_bfe_u32 v27, v26, 23, 8
	s_delay_alu instid0(VALU_DEP_1) | instskip(SKIP_1) | instid1(VALU_DEP_2)
	v_sub_nc_u32_e32 v37, 0x70, v27
	v_cmp_gt_u32_e32 vcc_lo, 0x71, v27
	v_dual_cndmask_b32 v37, 0, v37 :: v_dual_and_b32 v36, 0x7fffff, v26
	s_delay_alu instid0(VALU_DEP_1) | instskip(SKIP_2) | instid1(VALU_DEP_4)
	v_or_b32_e32 v38, 0x800000, v36
	v_cmp_eq_u32_e32 vcc_lo, 0, v27
	v_add_nc_u32_e32 v27, 0xffffff91, v27
	v_cndmask_b32_e64 v37, v37, 0x6f, vcc_lo
	s_delay_alu instid0(VALU_DEP_4) | instskip(NEXT) | instid1(VALU_DEP_3)
	v_cndmask_b32_e32 v36, v38, v36, vcc_lo
	v_cndmask_b32_e64 v27, v27, 0xffffff92, vcc_lo
	s_delay_alu instid0(VALU_DEP_3) | instskip(NEXT) | instid1(VALU_DEP_3)
	v_lshl_add_u32 v38, 0x200000, v37, -1
	v_lshrrev_b32_e32 v39, v37, v36
	v_lshlrev_b32_e64 v49, v37, 0x100000
	s_delay_alu instid0(VALU_DEP_4) | instskip(NEXT) | instid1(VALU_DEP_4)
	v_add_nc_u32_e32 v37, v37, v27
	v_and_b32_e32 v36, v38, v36
	s_delay_alu instid0(VALU_DEP_4) | instskip(NEXT) | instid1(VALU_DEP_2)
	v_bfe_u32 v48, v39, 21, 1
	v_cmp_eq_u32_e64 s13, v36, v49
	s_delay_alu instid0(VALU_DEP_2) | instskip(NEXT) | instid1(VALU_DEP_1)
	v_add_nc_u32_e32 v38, -1, v48
	v_cndmask_b32_e64 v36, 0, v38, s13
	v_lshrrev_b32_e32 v38, 23, v39
	s_mov_b32 s13, exec_lo
	s_delay_alu instid0(VALU_DEP_2) | instskip(NEXT) | instid1(VALU_DEP_2)
	v_add_nc_u32_e32 v36, v36, v39
	v_xor_b32_e32 v38, 1, v38
	s_delay_alu instid0(VALU_DEP_2) | instskip(NEXT) | instid1(VALU_DEP_1)
	v_and_b32_e32 v27, 0x1fffff, v36
	v_add_nc_u32_e32 v36, v27, v39
                                        ; implicit-def: $vgpr27
	s_delay_alu instid0(VALU_DEP_3)
	v_cmpx_ne_u32_e64 v37, v38
	s_xor_b32 s13, exec_lo, s13
; %bb.16471:                            ;   in Loop: Header=BB6_15906 Depth=3
	s_delay_alu instid0(VALU_DEP_2) | instskip(SKIP_2) | instid1(VALU_DEP_2)
	v_cmp_lt_u32_e32 vcc_lo, 0xffffff, v36
	v_sub_nc_u32_e32 v27, v37, v38
	v_cndmask_b32_e64 v37, 0, 1, vcc_lo
	v_add_co_ci_u32_e32 v27, vcc_lo, 0, v27, vcc_lo
	s_delay_alu instid0(VALU_DEP_2)
	v_lshrrev_b32_e32 v36, v37, v36
; %bb.16472:                            ;   in Loop: Header=BB6_15906 Depth=3
	s_and_not1_saveexec_b32 s13, s13
; %bb.16473:                            ;   in Loop: Header=BB6_15906 Depth=3
	s_delay_alu instid0(VALU_DEP_1)
	v_bfe_u32 v27, v36, 23, 1
; %bb.16474:                            ;   in Loop: Header=BB6_15906 Depth=3
	s_or_b32 exec_lo, exec_lo, s13
	v_lshrrev_b32_e32 v36, 21, v36
	s_delay_alu instid0(VALU_DEP_2) | instskip(SKIP_2) | instid1(VALU_DEP_4)
	v_cmp_gt_i32_e32 vcc_lo, 32, v27
	v_lshrrev_b32_e32 v26, 24, v26
	v_min_i32_e32 v37, 31, v27
	v_cndmask_b32_e32 v36, 3, v36, vcc_lo
	s_delay_alu instid0(VALU_DEP_3) | instskip(NEXT) | instid1(VALU_DEP_3)
	v_and_b32_e32 v26, 0x80, v26
	v_lshlrev_b32_e32 v37, 2, v37
	s_delay_alu instid0(VALU_DEP_3) | instskip(SKIP_1) | instid1(VALU_DEP_2)
	v_and_b32_e32 v38, 3, v36
	v_or_b32_e32 v27, v27, v36
	v_or3_b32 v26, v37, v26, v38
	s_delay_alu instid0(VALU_DEP_2) | instskip(NEXT) | instid1(VALU_DEP_2)
	v_cmp_ne_u32_e32 vcc_lo, 0, v27
	v_cndmask_b32_e32 v44, 0, v26, vcc_lo
.LBB6_16475:                            ;   in Loop: Header=BB6_15906 Depth=3
	s_or_b32 exec_lo, exec_lo, s30
.LBB6_16476:                            ;   in Loop: Header=BB6_15906 Depth=3
	s_delay_alu instid0(SALU_CYCLE_1) | instskip(SKIP_3) | instid1(VALU_DEP_1)
	s_or_b32 exec_lo, exec_lo, s17
	v_and_b32_e32 v27, 0xff, v112
	s_mov_b32 s13, 0
	s_mov_b32 s30, exec_lo
                                        ; implicit-def: $sgpr17
	v_cmpx_lt_i16_e32 0x7f, v27
	s_xor_b32 s30, exec_lo, s30
	s_cbranch_execnz .LBB6_17029
; %bb.16477:                            ;   in Loop: Header=BB6_15906 Depth=3
	s_or_saveexec_b32 s30, s30
	v_mov_b32_e32 v26, s17
	s_xor_b32 exec_lo, exec_lo, s30
	s_cbranch_execnz .LBB6_17032
.LBB6_16478:                            ;   in Loop: Header=BB6_15906 Depth=3
	s_or_b32 exec_lo, exec_lo, s30
	s_and_saveexec_b32 s17, s13
	s_cbranch_execz .LBB6_16480
.LBB6_16479:                            ;   in Loop: Header=BB6_15906 Depth=3
	v_lshrrev_b16 v37, 2, v112
	v_lshlrev_b32_e32 v38, 24, v112
	s_delay_alu instid0(VALU_DEP_2) | instskip(NEXT) | instid1(VALU_DEP_1)
	v_and_b32_e32 v37, 31, v37
	v_cmp_eq_u32_e32 vcc_lo, 0, v37
	v_and_b32_e32 v26, 3, v112
	s_delay_alu instid0(VALU_DEP_1) | instskip(NEXT) | instid1(VALU_DEP_1)
	v_clz_i32_u32_e32 v27, v26
	v_min_u32_e32 v27, 32, v27
	s_delay_alu instid0(VALU_DEP_1) | instskip(SKIP_1) | instid1(VALU_DEP_1)
	v_subrev_nc_u32_e32 v36, 29, v27
	v_sub_nc_u32_e32 v27, 30, v27
	v_dual_cndmask_b32 v27, v37, v27 :: v_dual_lshlrev_b32 v36, v36, v112
	s_delay_alu instid0(VALU_DEP_1) | instskip(NEXT) | instid1(VALU_DEP_2)
	v_and_b32_e32 v36, 3, v36
	v_lshl_add_u32 v27, v27, 23, 0x37800000
	s_delay_alu instid0(VALU_DEP_2) | instskip(SKIP_1) | instid1(VALU_DEP_2)
	v_cndmask_b32_e32 v26, v26, v36, vcc_lo
	v_and_b32_e32 v36, 0x80000000, v38
	v_lshlrev_b32_e32 v26, 21, v26
	s_delay_alu instid0(VALU_DEP_1)
	v_or3_b32 v26, v36, v27, v26
.LBB6_16480:                            ;   in Loop: Header=BB6_15906 Depth=3
	s_or_b32 exec_lo, exec_lo, s17
	s_waitcnt vmcnt(20) lgkmcnt(20)
	v_and_b32_e32 v36, 0xff, v129
	s_mov_b32 s13, 0
	s_mov_b32 s30, exec_lo
                                        ; implicit-def: $sgpr17
	s_delay_alu instid0(VALU_DEP_1)
	v_cmpx_lt_i16_e32 0x7f, v36
	s_xor_b32 s30, exec_lo, s30
	s_cbranch_execnz .LBB6_17033
; %bb.16481:                            ;   in Loop: Header=BB6_15906 Depth=3
	s_or_saveexec_b32 s30, s30
	v_mov_b32_e32 v27, s17
	s_xor_b32 exec_lo, exec_lo, s30
	s_cbranch_execnz .LBB6_17036
.LBB6_16482:                            ;   in Loop: Header=BB6_15906 Depth=3
	s_or_b32 exec_lo, exec_lo, s30
	s_and_saveexec_b32 s17, s13
	s_cbranch_execz .LBB6_16484
.LBB6_16483:                            ;   in Loop: Header=BB6_15906 Depth=3
	v_lshrrev_b16 v38, 2, v129
	v_lshlrev_b32_e32 v39, 24, v129
	s_delay_alu instid0(VALU_DEP_2) | instskip(NEXT) | instid1(VALU_DEP_1)
	v_and_b32_e32 v38, 31, v38
	v_cmp_eq_u32_e32 vcc_lo, 0, v38
	v_and_b32_e32 v27, 3, v129
	s_delay_alu instid0(VALU_DEP_1) | instskip(NEXT) | instid1(VALU_DEP_1)
	v_clz_i32_u32_e32 v36, v27
	v_min_u32_e32 v36, 32, v36
	s_delay_alu instid0(VALU_DEP_1) | instskip(SKIP_1) | instid1(VALU_DEP_1)
	v_subrev_nc_u32_e32 v37, 29, v36
	v_sub_nc_u32_e32 v36, 30, v36
	v_dual_cndmask_b32 v36, v38, v36 :: v_dual_lshlrev_b32 v37, v37, v129
	s_delay_alu instid0(VALU_DEP_1) | instskip(NEXT) | instid1(VALU_DEP_2)
	v_and_b32_e32 v37, 3, v37
	v_lshl_add_u32 v36, v36, 23, 0x37800000
	s_delay_alu instid0(VALU_DEP_2) | instskip(SKIP_1) | instid1(VALU_DEP_2)
	v_cndmask_b32_e32 v27, v27, v37, vcc_lo
	v_and_b32_e32 v37, 0x80000000, v39
	v_lshlrev_b32_e32 v27, 21, v27
	s_delay_alu instid0(VALU_DEP_1)
	v_or3_b32 v27, v37, v36, v27
.LBB6_16484:                            ;   in Loop: Header=BB6_15906 Depth=3
	s_or_b32 exec_lo, exec_lo, s17
	s_delay_alu instid0(VALU_DEP_1) | instskip(SKIP_2) | instid1(VALU_DEP_2)
	v_add_f32_e32 v26, v26, v27
	v_mov_b32_e32 v112, 0x80
	s_mov_b32 s17, exec_lo
	v_and_b32_e32 v27, 0x7f800000, v26
	s_delay_alu instid0(VALU_DEP_1)
	v_cmpx_ne_u32_e32 0x7f800000, v27
	s_cbranch_execz .LBB6_16492
; %bb.16485:                            ;   in Loop: Header=BB6_15906 Depth=3
	v_mov_b32_e32 v112, 0
	s_mov_b32 s30, exec_lo
	v_cmpx_ne_u32_e32 0, v26
	s_cbranch_execz .LBB6_16491
; %bb.16486:                            ;   in Loop: Header=BB6_15906 Depth=3
	v_bfe_u32 v27, v26, 23, 8
	s_delay_alu instid0(VALU_DEP_1) | instskip(SKIP_1) | instid1(VALU_DEP_2)
	v_sub_nc_u32_e32 v37, 0x70, v27
	v_cmp_gt_u32_e32 vcc_lo, 0x71, v27
	v_dual_cndmask_b32 v37, 0, v37 :: v_dual_and_b32 v36, 0x7fffff, v26
	s_delay_alu instid0(VALU_DEP_1) | instskip(SKIP_2) | instid1(VALU_DEP_4)
	v_or_b32_e32 v38, 0x800000, v36
	v_cmp_eq_u32_e32 vcc_lo, 0, v27
	v_add_nc_u32_e32 v27, 0xffffff91, v27
	v_cndmask_b32_e64 v37, v37, 0x6f, vcc_lo
	s_delay_alu instid0(VALU_DEP_4) | instskip(NEXT) | instid1(VALU_DEP_3)
	v_cndmask_b32_e32 v36, v38, v36, vcc_lo
	v_cndmask_b32_e64 v27, v27, 0xffffff92, vcc_lo
	s_delay_alu instid0(VALU_DEP_3) | instskip(NEXT) | instid1(VALU_DEP_3)
	v_lshl_add_u32 v38, 0x200000, v37, -1
	v_lshrrev_b32_e32 v39, v37, v36
	v_lshlrev_b32_e64 v49, v37, 0x100000
	s_delay_alu instid0(VALU_DEP_4) | instskip(NEXT) | instid1(VALU_DEP_4)
	v_add_nc_u32_e32 v37, v37, v27
	v_and_b32_e32 v36, v38, v36
	s_delay_alu instid0(VALU_DEP_4) | instskip(NEXT) | instid1(VALU_DEP_2)
	v_bfe_u32 v48, v39, 21, 1
	v_cmp_eq_u32_e64 s13, v36, v49
	s_delay_alu instid0(VALU_DEP_2) | instskip(NEXT) | instid1(VALU_DEP_1)
	v_add_nc_u32_e32 v38, -1, v48
	v_cndmask_b32_e64 v36, 0, v38, s13
	v_lshrrev_b32_e32 v38, 23, v39
	s_mov_b32 s13, exec_lo
	s_delay_alu instid0(VALU_DEP_2) | instskip(NEXT) | instid1(VALU_DEP_2)
	v_add_nc_u32_e32 v36, v36, v39
	v_xor_b32_e32 v38, 1, v38
	s_delay_alu instid0(VALU_DEP_2) | instskip(NEXT) | instid1(VALU_DEP_1)
	v_and_b32_e32 v27, 0x1fffff, v36
	v_add_nc_u32_e32 v36, v27, v39
                                        ; implicit-def: $vgpr27
	s_delay_alu instid0(VALU_DEP_3)
	v_cmpx_ne_u32_e64 v37, v38
	s_xor_b32 s13, exec_lo, s13
; %bb.16487:                            ;   in Loop: Header=BB6_15906 Depth=3
	s_delay_alu instid0(VALU_DEP_2) | instskip(SKIP_2) | instid1(VALU_DEP_2)
	v_cmp_lt_u32_e32 vcc_lo, 0xffffff, v36
	v_sub_nc_u32_e32 v27, v37, v38
	v_cndmask_b32_e64 v37, 0, 1, vcc_lo
	v_add_co_ci_u32_e32 v27, vcc_lo, 0, v27, vcc_lo
	s_delay_alu instid0(VALU_DEP_2)
	v_lshrrev_b32_e32 v36, v37, v36
; %bb.16488:                            ;   in Loop: Header=BB6_15906 Depth=3
	s_and_not1_saveexec_b32 s13, s13
; %bb.16489:                            ;   in Loop: Header=BB6_15906 Depth=3
	s_delay_alu instid0(VALU_DEP_1)
	v_bfe_u32 v27, v36, 23, 1
; %bb.16490:                            ;   in Loop: Header=BB6_15906 Depth=3
	s_or_b32 exec_lo, exec_lo, s13
	v_lshrrev_b32_e32 v36, 21, v36
	s_delay_alu instid0(VALU_DEP_2) | instskip(SKIP_2) | instid1(VALU_DEP_4)
	v_cmp_gt_i32_e32 vcc_lo, 32, v27
	v_lshrrev_b32_e32 v26, 24, v26
	v_min_i32_e32 v37, 31, v27
	v_cndmask_b32_e32 v36, 3, v36, vcc_lo
	s_delay_alu instid0(VALU_DEP_3) | instskip(NEXT) | instid1(VALU_DEP_3)
	v_and_b32_e32 v26, 0x80, v26
	v_lshlrev_b32_e32 v37, 2, v37
	s_delay_alu instid0(VALU_DEP_3) | instskip(SKIP_1) | instid1(VALU_DEP_2)
	v_and_b32_e32 v38, 3, v36
	v_or_b32_e32 v27, v27, v36
	v_or3_b32 v26, v37, v26, v38
	s_delay_alu instid0(VALU_DEP_2) | instskip(NEXT) | instid1(VALU_DEP_2)
	v_cmp_ne_u32_e32 vcc_lo, 0, v27
	v_cndmask_b32_e32 v112, 0, v26, vcc_lo
.LBB6_16491:                            ;   in Loop: Header=BB6_15906 Depth=3
	s_or_b32 exec_lo, exec_lo, s30
.LBB6_16492:                            ;   in Loop: Header=BB6_15906 Depth=3
	s_delay_alu instid0(SALU_CYCLE_1) | instskip(SKIP_3) | instid1(VALU_DEP_1)
	s_or_b32 exec_lo, exec_lo, s17
	v_and_b32_e32 v27, 0xff, v41
	s_mov_b32 s13, 0
	s_mov_b32 s30, exec_lo
                                        ; implicit-def: $sgpr17
	v_cmpx_lt_i16_e32 0x7f, v27
	s_xor_b32 s30, exec_lo, s30
	s_cbranch_execnz .LBB6_17037
; %bb.16493:                            ;   in Loop: Header=BB6_15906 Depth=3
	s_or_saveexec_b32 s30, s30
	v_mov_b32_e32 v26, s17
	s_xor_b32 exec_lo, exec_lo, s30
	s_cbranch_execnz .LBB6_17040
.LBB6_16494:                            ;   in Loop: Header=BB6_15906 Depth=3
	s_or_b32 exec_lo, exec_lo, s30
	s_and_saveexec_b32 s17, s13
	s_cbranch_execz .LBB6_16496
.LBB6_16495:                            ;   in Loop: Header=BB6_15906 Depth=3
	v_lshrrev_b16 v37, 2, v41
	v_lshlrev_b32_e32 v38, 24, v41
	s_delay_alu instid0(VALU_DEP_2) | instskip(NEXT) | instid1(VALU_DEP_1)
	v_and_b32_e32 v37, 31, v37
	v_cmp_eq_u32_e32 vcc_lo, 0, v37
	v_and_b32_e32 v26, 3, v41
	s_delay_alu instid0(VALU_DEP_1) | instskip(NEXT) | instid1(VALU_DEP_1)
	v_clz_i32_u32_e32 v27, v26
	v_min_u32_e32 v27, 32, v27
	s_delay_alu instid0(VALU_DEP_1) | instskip(SKIP_1) | instid1(VALU_DEP_1)
	v_subrev_nc_u32_e32 v36, 29, v27
	v_sub_nc_u32_e32 v27, 30, v27
	v_dual_cndmask_b32 v27, v37, v27 :: v_dual_lshlrev_b32 v36, v36, v41
	s_delay_alu instid0(VALU_DEP_1) | instskip(NEXT) | instid1(VALU_DEP_2)
	v_and_b32_e32 v36, 3, v36
	v_lshl_add_u32 v27, v27, 23, 0x37800000
	s_delay_alu instid0(VALU_DEP_2) | instskip(SKIP_1) | instid1(VALU_DEP_2)
	v_cndmask_b32_e32 v26, v26, v36, vcc_lo
	v_and_b32_e32 v36, 0x80000000, v38
	v_lshlrev_b32_e32 v26, 21, v26
	s_delay_alu instid0(VALU_DEP_1)
	v_or3_b32 v26, v36, v27, v26
.LBB6_16496:                            ;   in Loop: Header=BB6_15906 Depth=3
	s_or_b32 exec_lo, exec_lo, s17
	s_waitcnt vmcnt(19) lgkmcnt(19)
	v_and_b32_e32 v36, 0xff, v72
	s_mov_b32 s13, 0
	s_mov_b32 s30, exec_lo
                                        ; implicit-def: $sgpr17
	s_delay_alu instid0(VALU_DEP_1)
	v_cmpx_lt_i16_e32 0x7f, v36
	s_xor_b32 s30, exec_lo, s30
	s_cbranch_execnz .LBB6_17041
; %bb.16497:                            ;   in Loop: Header=BB6_15906 Depth=3
	s_or_saveexec_b32 s30, s30
	v_mov_b32_e32 v27, s17
	s_xor_b32 exec_lo, exec_lo, s30
	s_cbranch_execnz .LBB6_17044
.LBB6_16498:                            ;   in Loop: Header=BB6_15906 Depth=3
	s_or_b32 exec_lo, exec_lo, s30
	s_and_saveexec_b32 s17, s13
	s_cbranch_execz .LBB6_16500
.LBB6_16499:                            ;   in Loop: Header=BB6_15906 Depth=3
	v_and_b32_e32 v27, 3, v72
	v_lshrrev_b16 v38, 2, v72
	v_lshlrev_b32_e32 v39, 24, v72
	s_delay_alu instid0(VALU_DEP_3) | instskip(NEXT) | instid1(VALU_DEP_1)
	v_clz_i32_u32_e32 v36, v27
	v_min_u32_e32 v36, 32, v36
	s_delay_alu instid0(VALU_DEP_1) | instskip(SKIP_1) | instid1(VALU_DEP_2)
	v_subrev_nc_u32_e32 v37, 29, v36
	v_sub_nc_u32_e32 v36, 30, v36
	v_lshlrev_b32_e32 v37, v37, v72
	s_delay_alu instid0(VALU_DEP_1) | instskip(SKIP_1) | instid1(VALU_DEP_1)
	v_and_b32_e32 v37, 3, v37
	v_and_b32_e32 v38, 31, v38
	v_cmp_eq_u32_e32 vcc_lo, 0, v38
	s_delay_alu instid0(VALU_DEP_3) | instskip(SKIP_1) | instid1(VALU_DEP_2)
	v_dual_cndmask_b32 v27, v27, v37 :: v_dual_cndmask_b32 v36, v38, v36
	v_and_b32_e32 v37, 0x80000000, v39
	v_lshlrev_b32_e32 v27, 21, v27
	s_delay_alu instid0(VALU_DEP_3) | instskip(NEXT) | instid1(VALU_DEP_1)
	v_lshl_add_u32 v36, v36, 23, 0x37800000
	v_or3_b32 v27, v37, v36, v27
.LBB6_16500:                            ;   in Loop: Header=BB6_15906 Depth=3
	s_or_b32 exec_lo, exec_lo, s17
	s_delay_alu instid0(VALU_DEP_1) | instskip(SKIP_1) | instid1(VALU_DEP_1)
	v_dual_add_f32 v26, v26, v27 :: v_dual_mov_b32 v41, 0x80
	s_mov_b32 s17, exec_lo
	v_and_b32_e32 v27, 0x7f800000, v26
	s_delay_alu instid0(VALU_DEP_1)
	v_cmpx_ne_u32_e32 0x7f800000, v27
	s_cbranch_execz .LBB6_16508
; %bb.16501:                            ;   in Loop: Header=BB6_15906 Depth=3
	v_mov_b32_e32 v41, 0
	s_mov_b32 s30, exec_lo
	v_cmpx_ne_u32_e32 0, v26
	s_cbranch_execz .LBB6_16507
; %bb.16502:                            ;   in Loop: Header=BB6_15906 Depth=3
	v_bfe_u32 v27, v26, 23, 8
	s_delay_alu instid0(VALU_DEP_1) | instskip(SKIP_1) | instid1(VALU_DEP_2)
	v_sub_nc_u32_e32 v37, 0x70, v27
	v_cmp_gt_u32_e32 vcc_lo, 0x71, v27
	v_dual_cndmask_b32 v37, 0, v37 :: v_dual_and_b32 v36, 0x7fffff, v26
	s_delay_alu instid0(VALU_DEP_1) | instskip(SKIP_2) | instid1(VALU_DEP_4)
	v_or_b32_e32 v38, 0x800000, v36
	v_cmp_eq_u32_e32 vcc_lo, 0, v27
	v_add_nc_u32_e32 v27, 0xffffff91, v27
	v_cndmask_b32_e64 v37, v37, 0x6f, vcc_lo
	s_delay_alu instid0(VALU_DEP_4) | instskip(NEXT) | instid1(VALU_DEP_3)
	v_cndmask_b32_e32 v36, v38, v36, vcc_lo
	v_cndmask_b32_e64 v27, v27, 0xffffff92, vcc_lo
	s_delay_alu instid0(VALU_DEP_3) | instskip(NEXT) | instid1(VALU_DEP_3)
	v_lshl_add_u32 v38, 0x200000, v37, -1
	v_lshrrev_b32_e32 v39, v37, v36
	v_lshlrev_b32_e64 v49, v37, 0x100000
	s_delay_alu instid0(VALU_DEP_4) | instskip(NEXT) | instid1(VALU_DEP_4)
	v_add_nc_u32_e32 v37, v37, v27
	v_and_b32_e32 v36, v38, v36
	s_delay_alu instid0(VALU_DEP_4) | instskip(NEXT) | instid1(VALU_DEP_2)
	v_bfe_u32 v48, v39, 21, 1
	v_cmp_eq_u32_e64 s13, v36, v49
	s_delay_alu instid0(VALU_DEP_2) | instskip(NEXT) | instid1(VALU_DEP_1)
	v_add_nc_u32_e32 v38, -1, v48
	v_cndmask_b32_e64 v36, 0, v38, s13
	v_lshrrev_b32_e32 v38, 23, v39
	s_mov_b32 s13, exec_lo
	s_delay_alu instid0(VALU_DEP_2) | instskip(NEXT) | instid1(VALU_DEP_2)
	v_add_nc_u32_e32 v36, v36, v39
	v_xor_b32_e32 v38, 1, v38
	s_delay_alu instid0(VALU_DEP_2) | instskip(NEXT) | instid1(VALU_DEP_1)
	v_and_b32_e32 v27, 0x1fffff, v36
	v_add_nc_u32_e32 v36, v27, v39
                                        ; implicit-def: $vgpr27
	s_delay_alu instid0(VALU_DEP_3)
	v_cmpx_ne_u32_e64 v37, v38
	s_xor_b32 s13, exec_lo, s13
; %bb.16503:                            ;   in Loop: Header=BB6_15906 Depth=3
	s_delay_alu instid0(VALU_DEP_2) | instskip(SKIP_2) | instid1(VALU_DEP_2)
	v_cmp_lt_u32_e32 vcc_lo, 0xffffff, v36
	v_sub_nc_u32_e32 v27, v37, v38
	v_cndmask_b32_e64 v37, 0, 1, vcc_lo
	v_add_co_ci_u32_e32 v27, vcc_lo, 0, v27, vcc_lo
	s_delay_alu instid0(VALU_DEP_2)
	v_lshrrev_b32_e32 v36, v37, v36
; %bb.16504:                            ;   in Loop: Header=BB6_15906 Depth=3
	s_and_not1_saveexec_b32 s13, s13
; %bb.16505:                            ;   in Loop: Header=BB6_15906 Depth=3
	s_delay_alu instid0(VALU_DEP_1)
	v_bfe_u32 v27, v36, 23, 1
; %bb.16506:                            ;   in Loop: Header=BB6_15906 Depth=3
	s_or_b32 exec_lo, exec_lo, s13
	v_lshrrev_b32_e32 v36, 21, v36
	s_delay_alu instid0(VALU_DEP_2) | instskip(SKIP_2) | instid1(VALU_DEP_2)
	v_cmp_gt_i32_e32 vcc_lo, 32, v27
	v_min_i32_e32 v37, 31, v27
	v_lshrrev_b32_e32 v26, 24, v26
	v_dual_cndmask_b32 v36, 3, v36 :: v_dual_lshlrev_b32 v37, 2, v37
	s_delay_alu instid0(VALU_DEP_2) | instskip(NEXT) | instid1(VALU_DEP_2)
	v_and_b32_e32 v26, 0x80, v26
	v_or_b32_e32 v27, v27, v36
	s_delay_alu instid0(VALU_DEP_1) | instskip(SKIP_1) | instid1(VALU_DEP_1)
	v_cmp_ne_u32_e32 vcc_lo, 0, v27
	v_and_b32_e32 v38, 3, v36
	v_or3_b32 v26, v37, v26, v38
	s_delay_alu instid0(VALU_DEP_1)
	v_cndmask_b32_e32 v41, 0, v26, vcc_lo
.LBB6_16507:                            ;   in Loop: Header=BB6_15906 Depth=3
	s_or_b32 exec_lo, exec_lo, s30
.LBB6_16508:                            ;   in Loop: Header=BB6_15906 Depth=3
	s_delay_alu instid0(SALU_CYCLE_1) | instskip(SKIP_3) | instid1(VALU_DEP_1)
	s_or_b32 exec_lo, exec_lo, s17
	v_and_b32_e32 v27, 0xff, v102
	s_mov_b32 s13, 0
	s_mov_b32 s30, exec_lo
                                        ; implicit-def: $sgpr17
	v_cmpx_lt_i16_e32 0x7f, v27
	s_xor_b32 s30, exec_lo, s30
	s_cbranch_execnz .LBB6_17045
; %bb.16509:                            ;   in Loop: Header=BB6_15906 Depth=3
	s_or_saveexec_b32 s30, s30
	v_mov_b32_e32 v26, s17
	s_xor_b32 exec_lo, exec_lo, s30
	s_cbranch_execnz .LBB6_17048
.LBB6_16510:                            ;   in Loop: Header=BB6_15906 Depth=3
	s_or_b32 exec_lo, exec_lo, s30
	s_and_saveexec_b32 s17, s13
	s_cbranch_execz .LBB6_16512
.LBB6_16511:                            ;   in Loop: Header=BB6_15906 Depth=3
	v_lshrrev_b16 v37, 2, v102
	v_lshlrev_b32_e32 v38, 24, v102
	s_delay_alu instid0(VALU_DEP_2) | instskip(NEXT) | instid1(VALU_DEP_1)
	v_and_b32_e32 v37, 31, v37
	v_cmp_eq_u32_e32 vcc_lo, 0, v37
	v_and_b32_e32 v26, 3, v102
	s_delay_alu instid0(VALU_DEP_1) | instskip(NEXT) | instid1(VALU_DEP_1)
	v_clz_i32_u32_e32 v27, v26
	v_min_u32_e32 v27, 32, v27
	s_delay_alu instid0(VALU_DEP_1) | instskip(SKIP_1) | instid1(VALU_DEP_1)
	v_subrev_nc_u32_e32 v36, 29, v27
	v_sub_nc_u32_e32 v27, 30, v27
	v_dual_cndmask_b32 v27, v37, v27 :: v_dual_lshlrev_b32 v36, v36, v102
	s_delay_alu instid0(VALU_DEP_1) | instskip(NEXT) | instid1(VALU_DEP_2)
	v_and_b32_e32 v36, 3, v36
	v_lshl_add_u32 v27, v27, 23, 0x37800000
	s_delay_alu instid0(VALU_DEP_2) | instskip(SKIP_1) | instid1(VALU_DEP_2)
	v_cndmask_b32_e32 v26, v26, v36, vcc_lo
	v_and_b32_e32 v36, 0x80000000, v38
	v_lshlrev_b32_e32 v26, 21, v26
	s_delay_alu instid0(VALU_DEP_1)
	v_or3_b32 v26, v36, v27, v26
.LBB6_16512:                            ;   in Loop: Header=BB6_15906 Depth=3
	s_or_b32 exec_lo, exec_lo, s17
	s_waitcnt vmcnt(18) lgkmcnt(18)
	v_and_b32_e32 v36, 0xff, v63
	s_mov_b32 s13, 0
	s_mov_b32 s30, exec_lo
                                        ; implicit-def: $sgpr17
	s_delay_alu instid0(VALU_DEP_1)
	v_cmpx_lt_i16_e32 0x7f, v36
	s_xor_b32 s30, exec_lo, s30
	s_cbranch_execnz .LBB6_17049
; %bb.16513:                            ;   in Loop: Header=BB6_15906 Depth=3
	s_or_saveexec_b32 s30, s30
	v_mov_b32_e32 v27, s17
	s_xor_b32 exec_lo, exec_lo, s30
	s_cbranch_execnz .LBB6_17052
.LBB6_16514:                            ;   in Loop: Header=BB6_15906 Depth=3
	s_or_b32 exec_lo, exec_lo, s30
	s_and_saveexec_b32 s17, s13
	s_cbranch_execz .LBB6_16516
.LBB6_16515:                            ;   in Loop: Header=BB6_15906 Depth=3
	v_lshrrev_b16 v38, 2, v63
	v_lshlrev_b32_e32 v39, 24, v63
	s_delay_alu instid0(VALU_DEP_2) | instskip(NEXT) | instid1(VALU_DEP_1)
	v_and_b32_e32 v38, 31, v38
	v_cmp_eq_u32_e32 vcc_lo, 0, v38
	v_and_b32_e32 v27, 3, v63
	s_delay_alu instid0(VALU_DEP_1) | instskip(NEXT) | instid1(VALU_DEP_1)
	v_clz_i32_u32_e32 v36, v27
	v_min_u32_e32 v36, 32, v36
	s_delay_alu instid0(VALU_DEP_1) | instskip(SKIP_1) | instid1(VALU_DEP_1)
	v_subrev_nc_u32_e32 v37, 29, v36
	v_sub_nc_u32_e32 v36, 30, v36
	v_dual_cndmask_b32 v36, v38, v36 :: v_dual_lshlrev_b32 v37, v37, v63
	s_delay_alu instid0(VALU_DEP_1) | instskip(NEXT) | instid1(VALU_DEP_2)
	v_and_b32_e32 v37, 3, v37
	v_lshl_add_u32 v36, v36, 23, 0x37800000
	s_delay_alu instid0(VALU_DEP_2) | instskip(SKIP_1) | instid1(VALU_DEP_2)
	v_cndmask_b32_e32 v27, v27, v37, vcc_lo
	v_and_b32_e32 v37, 0x80000000, v39
	v_lshlrev_b32_e32 v27, 21, v27
	s_delay_alu instid0(VALU_DEP_1)
	v_or3_b32 v27, v37, v36, v27
.LBB6_16516:                            ;   in Loop: Header=BB6_15906 Depth=3
	s_or_b32 exec_lo, exec_lo, s17
	s_delay_alu instid0(VALU_DEP_1) | instskip(SKIP_2) | instid1(VALU_DEP_2)
	v_add_f32_e32 v26, v26, v27
	v_mov_b32_e32 v98, 0x80
	s_mov_b32 s17, exec_lo
	v_and_b32_e32 v27, 0x7f800000, v26
	s_delay_alu instid0(VALU_DEP_1)
	v_cmpx_ne_u32_e32 0x7f800000, v27
	s_cbranch_execz .LBB6_16524
; %bb.16517:                            ;   in Loop: Header=BB6_15906 Depth=3
	v_mov_b32_e32 v98, 0
	s_mov_b32 s30, exec_lo
	v_cmpx_ne_u32_e32 0, v26
	s_cbranch_execz .LBB6_16523
; %bb.16518:                            ;   in Loop: Header=BB6_15906 Depth=3
	v_bfe_u32 v27, v26, 23, 8
	s_delay_alu instid0(VALU_DEP_1) | instskip(SKIP_1) | instid1(VALU_DEP_2)
	v_sub_nc_u32_e32 v37, 0x70, v27
	v_cmp_gt_u32_e32 vcc_lo, 0x71, v27
	v_dual_cndmask_b32 v37, 0, v37 :: v_dual_and_b32 v36, 0x7fffff, v26
	s_delay_alu instid0(VALU_DEP_1) | instskip(SKIP_2) | instid1(VALU_DEP_4)
	v_or_b32_e32 v38, 0x800000, v36
	v_cmp_eq_u32_e32 vcc_lo, 0, v27
	v_add_nc_u32_e32 v27, 0xffffff91, v27
	v_cndmask_b32_e64 v37, v37, 0x6f, vcc_lo
	s_delay_alu instid0(VALU_DEP_4) | instskip(NEXT) | instid1(VALU_DEP_3)
	v_cndmask_b32_e32 v36, v38, v36, vcc_lo
	v_cndmask_b32_e64 v27, v27, 0xffffff92, vcc_lo
	s_delay_alu instid0(VALU_DEP_3) | instskip(NEXT) | instid1(VALU_DEP_3)
	v_lshl_add_u32 v38, 0x200000, v37, -1
	v_lshrrev_b32_e32 v39, v37, v36
	v_lshlrev_b32_e64 v49, v37, 0x100000
	s_delay_alu instid0(VALU_DEP_4) | instskip(NEXT) | instid1(VALU_DEP_4)
	v_add_nc_u32_e32 v37, v37, v27
	v_and_b32_e32 v36, v38, v36
	s_delay_alu instid0(VALU_DEP_4) | instskip(NEXT) | instid1(VALU_DEP_2)
	v_bfe_u32 v48, v39, 21, 1
	v_cmp_eq_u32_e64 s13, v36, v49
	s_delay_alu instid0(VALU_DEP_2) | instskip(NEXT) | instid1(VALU_DEP_1)
	v_add_nc_u32_e32 v38, -1, v48
	v_cndmask_b32_e64 v36, 0, v38, s13
	v_lshrrev_b32_e32 v38, 23, v39
	s_mov_b32 s13, exec_lo
	s_delay_alu instid0(VALU_DEP_2) | instskip(NEXT) | instid1(VALU_DEP_2)
	v_add_nc_u32_e32 v36, v36, v39
	v_xor_b32_e32 v38, 1, v38
	s_delay_alu instid0(VALU_DEP_2) | instskip(NEXT) | instid1(VALU_DEP_1)
	v_and_b32_e32 v27, 0x1fffff, v36
	v_add_nc_u32_e32 v36, v27, v39
                                        ; implicit-def: $vgpr27
	s_delay_alu instid0(VALU_DEP_3)
	v_cmpx_ne_u32_e64 v37, v38
	s_xor_b32 s13, exec_lo, s13
; %bb.16519:                            ;   in Loop: Header=BB6_15906 Depth=3
	s_delay_alu instid0(VALU_DEP_2) | instskip(SKIP_2) | instid1(VALU_DEP_2)
	v_cmp_lt_u32_e32 vcc_lo, 0xffffff, v36
	v_sub_nc_u32_e32 v27, v37, v38
	v_cndmask_b32_e64 v37, 0, 1, vcc_lo
	v_add_co_ci_u32_e32 v27, vcc_lo, 0, v27, vcc_lo
	s_delay_alu instid0(VALU_DEP_2)
	v_lshrrev_b32_e32 v36, v37, v36
; %bb.16520:                            ;   in Loop: Header=BB6_15906 Depth=3
	s_and_not1_saveexec_b32 s13, s13
; %bb.16521:                            ;   in Loop: Header=BB6_15906 Depth=3
	s_delay_alu instid0(VALU_DEP_1)
	v_bfe_u32 v27, v36, 23, 1
; %bb.16522:                            ;   in Loop: Header=BB6_15906 Depth=3
	s_or_b32 exec_lo, exec_lo, s13
	v_lshrrev_b32_e32 v36, 21, v36
	s_delay_alu instid0(VALU_DEP_2) | instskip(SKIP_2) | instid1(VALU_DEP_4)
	v_cmp_gt_i32_e32 vcc_lo, 32, v27
	v_lshrrev_b32_e32 v26, 24, v26
	v_min_i32_e32 v37, 31, v27
	v_cndmask_b32_e32 v36, 3, v36, vcc_lo
	s_delay_alu instid0(VALU_DEP_3) | instskip(NEXT) | instid1(VALU_DEP_3)
	v_and_b32_e32 v26, 0x80, v26
	v_lshlrev_b32_e32 v37, 2, v37
	s_delay_alu instid0(VALU_DEP_3) | instskip(SKIP_1) | instid1(VALU_DEP_2)
	v_and_b32_e32 v38, 3, v36
	v_or_b32_e32 v27, v27, v36
	v_or3_b32 v26, v37, v26, v38
	s_delay_alu instid0(VALU_DEP_2) | instskip(NEXT) | instid1(VALU_DEP_2)
	v_cmp_ne_u32_e32 vcc_lo, 0, v27
	v_cndmask_b32_e32 v98, 0, v26, vcc_lo
.LBB6_16523:                            ;   in Loop: Header=BB6_15906 Depth=3
	s_or_b32 exec_lo, exec_lo, s30
.LBB6_16524:                            ;   in Loop: Header=BB6_15906 Depth=3
	s_delay_alu instid0(SALU_CYCLE_1) | instskip(SKIP_3) | instid1(VALU_DEP_1)
	s_or_b32 exec_lo, exec_lo, s17
	v_and_b32_e32 v27, 0xff, v182
	s_mov_b32 s13, 0
	s_mov_b32 s30, exec_lo
                                        ; implicit-def: $sgpr17
	v_cmpx_lt_i16_e32 0x7f, v27
	s_xor_b32 s30, exec_lo, s30
	s_cbranch_execnz .LBB6_17053
; %bb.16525:                            ;   in Loop: Header=BB6_15906 Depth=3
	s_or_saveexec_b32 s30, s30
	v_mov_b32_e32 v26, s17
	s_xor_b32 exec_lo, exec_lo, s30
	s_cbranch_execnz .LBB6_17056
.LBB6_16526:                            ;   in Loop: Header=BB6_15906 Depth=3
	s_or_b32 exec_lo, exec_lo, s30
	s_and_saveexec_b32 s17, s13
	s_cbranch_execz .LBB6_16528
.LBB6_16527:                            ;   in Loop: Header=BB6_15906 Depth=3
	v_lshrrev_b16 v37, 2, v182
	v_lshlrev_b32_e32 v38, 24, v182
	s_delay_alu instid0(VALU_DEP_2) | instskip(NEXT) | instid1(VALU_DEP_1)
	v_and_b32_e32 v37, 31, v37
	v_cmp_eq_u32_e32 vcc_lo, 0, v37
	v_and_b32_e32 v26, 3, v182
	s_delay_alu instid0(VALU_DEP_1) | instskip(NEXT) | instid1(VALU_DEP_1)
	v_clz_i32_u32_e32 v27, v26
	v_min_u32_e32 v27, 32, v27
	s_delay_alu instid0(VALU_DEP_1) | instskip(SKIP_1) | instid1(VALU_DEP_1)
	v_subrev_nc_u32_e32 v36, 29, v27
	v_sub_nc_u32_e32 v27, 30, v27
	v_dual_cndmask_b32 v27, v37, v27 :: v_dual_lshlrev_b32 v36, v36, v182
	s_delay_alu instid0(VALU_DEP_1) | instskip(NEXT) | instid1(VALU_DEP_2)
	v_and_b32_e32 v36, 3, v36
	v_lshl_add_u32 v27, v27, 23, 0x37800000
	s_delay_alu instid0(VALU_DEP_2) | instskip(SKIP_1) | instid1(VALU_DEP_2)
	v_cndmask_b32_e32 v26, v26, v36, vcc_lo
	v_and_b32_e32 v36, 0x80000000, v38
	v_lshlrev_b32_e32 v26, 21, v26
	s_delay_alu instid0(VALU_DEP_1)
	v_or3_b32 v26, v36, v27, v26
.LBB6_16528:                            ;   in Loop: Header=BB6_15906 Depth=3
	s_or_b32 exec_lo, exec_lo, s17
	s_waitcnt vmcnt(17) lgkmcnt(17)
	v_and_b32_e32 v36, 0xff, v62
	s_mov_b32 s13, 0
	s_mov_b32 s30, exec_lo
                                        ; implicit-def: $sgpr17
	s_delay_alu instid0(VALU_DEP_1)
	v_cmpx_lt_i16_e32 0x7f, v36
	s_xor_b32 s30, exec_lo, s30
	s_cbranch_execnz .LBB6_17057
; %bb.16529:                            ;   in Loop: Header=BB6_15906 Depth=3
	s_or_saveexec_b32 s30, s30
	v_mov_b32_e32 v27, s17
	s_xor_b32 exec_lo, exec_lo, s30
	s_cbranch_execnz .LBB6_17060
.LBB6_16530:                            ;   in Loop: Header=BB6_15906 Depth=3
	s_or_b32 exec_lo, exec_lo, s30
	s_and_saveexec_b32 s17, s13
	s_cbranch_execz .LBB6_16532
.LBB6_16531:                            ;   in Loop: Header=BB6_15906 Depth=3
	v_lshrrev_b16 v38, 2, v62
	v_lshlrev_b32_e32 v39, 24, v62
	s_delay_alu instid0(VALU_DEP_2) | instskip(NEXT) | instid1(VALU_DEP_1)
	v_and_b32_e32 v38, 31, v38
	v_cmp_eq_u32_e32 vcc_lo, 0, v38
	v_and_b32_e32 v27, 3, v62
	s_delay_alu instid0(VALU_DEP_1) | instskip(NEXT) | instid1(VALU_DEP_1)
	v_clz_i32_u32_e32 v36, v27
	v_min_u32_e32 v36, 32, v36
	s_delay_alu instid0(VALU_DEP_1) | instskip(SKIP_1) | instid1(VALU_DEP_1)
	v_subrev_nc_u32_e32 v37, 29, v36
	v_sub_nc_u32_e32 v36, 30, v36
	v_dual_cndmask_b32 v36, v38, v36 :: v_dual_lshlrev_b32 v37, v37, v62
	s_delay_alu instid0(VALU_DEP_1) | instskip(NEXT) | instid1(VALU_DEP_2)
	v_and_b32_e32 v37, 3, v37
	v_lshl_add_u32 v36, v36, 23, 0x37800000
	s_delay_alu instid0(VALU_DEP_2) | instskip(SKIP_1) | instid1(VALU_DEP_2)
	v_cndmask_b32_e32 v27, v27, v37, vcc_lo
	v_and_b32_e32 v37, 0x80000000, v39
	v_lshlrev_b32_e32 v27, 21, v27
	s_delay_alu instid0(VALU_DEP_1)
	v_or3_b32 v27, v37, v36, v27
.LBB6_16532:                            ;   in Loop: Header=BB6_15906 Depth=3
	s_or_b32 exec_lo, exec_lo, s17
	s_delay_alu instid0(VALU_DEP_1) | instskip(SKIP_2) | instid1(VALU_DEP_2)
	v_add_f32_e32 v26, v26, v27
	v_mov_b32_e32 v182, 0x80
	s_mov_b32 s17, exec_lo
	v_and_b32_e32 v27, 0x7f800000, v26
	s_delay_alu instid0(VALU_DEP_1)
	v_cmpx_ne_u32_e32 0x7f800000, v27
	s_cbranch_execz .LBB6_16540
; %bb.16533:                            ;   in Loop: Header=BB6_15906 Depth=3
	v_mov_b32_e32 v182, 0
	s_mov_b32 s30, exec_lo
	v_cmpx_ne_u32_e32 0, v26
	s_cbranch_execz .LBB6_16539
; %bb.16534:                            ;   in Loop: Header=BB6_15906 Depth=3
	v_bfe_u32 v27, v26, 23, 8
	s_delay_alu instid0(VALU_DEP_1) | instskip(SKIP_1) | instid1(VALU_DEP_2)
	v_sub_nc_u32_e32 v37, 0x70, v27
	v_cmp_gt_u32_e32 vcc_lo, 0x71, v27
	v_dual_cndmask_b32 v37, 0, v37 :: v_dual_and_b32 v36, 0x7fffff, v26
	s_delay_alu instid0(VALU_DEP_1) | instskip(SKIP_2) | instid1(VALU_DEP_4)
	v_or_b32_e32 v38, 0x800000, v36
	v_cmp_eq_u32_e32 vcc_lo, 0, v27
	v_add_nc_u32_e32 v27, 0xffffff91, v27
	v_cndmask_b32_e64 v37, v37, 0x6f, vcc_lo
	s_delay_alu instid0(VALU_DEP_4) | instskip(NEXT) | instid1(VALU_DEP_3)
	v_cndmask_b32_e32 v36, v38, v36, vcc_lo
	v_cndmask_b32_e64 v27, v27, 0xffffff92, vcc_lo
	s_delay_alu instid0(VALU_DEP_3) | instskip(NEXT) | instid1(VALU_DEP_3)
	v_lshl_add_u32 v38, 0x200000, v37, -1
	v_lshrrev_b32_e32 v39, v37, v36
	v_lshlrev_b32_e64 v49, v37, 0x100000
	s_delay_alu instid0(VALU_DEP_4) | instskip(NEXT) | instid1(VALU_DEP_4)
	v_add_nc_u32_e32 v37, v37, v27
	v_and_b32_e32 v36, v38, v36
	s_delay_alu instid0(VALU_DEP_4) | instskip(NEXT) | instid1(VALU_DEP_2)
	v_bfe_u32 v48, v39, 21, 1
	v_cmp_eq_u32_e64 s13, v36, v49
	s_delay_alu instid0(VALU_DEP_2) | instskip(NEXT) | instid1(VALU_DEP_1)
	v_add_nc_u32_e32 v38, -1, v48
	v_cndmask_b32_e64 v36, 0, v38, s13
	v_lshrrev_b32_e32 v38, 23, v39
	s_mov_b32 s13, exec_lo
	s_delay_alu instid0(VALU_DEP_2) | instskip(NEXT) | instid1(VALU_DEP_2)
	v_add_nc_u32_e32 v36, v36, v39
	v_xor_b32_e32 v38, 1, v38
	s_delay_alu instid0(VALU_DEP_2) | instskip(NEXT) | instid1(VALU_DEP_1)
	v_and_b32_e32 v27, 0x1fffff, v36
	v_add_nc_u32_e32 v36, v27, v39
                                        ; implicit-def: $vgpr27
	s_delay_alu instid0(VALU_DEP_3)
	v_cmpx_ne_u32_e64 v37, v38
	s_xor_b32 s13, exec_lo, s13
; %bb.16535:                            ;   in Loop: Header=BB6_15906 Depth=3
	s_delay_alu instid0(VALU_DEP_2) | instskip(SKIP_2) | instid1(VALU_DEP_2)
	v_cmp_lt_u32_e32 vcc_lo, 0xffffff, v36
	v_sub_nc_u32_e32 v27, v37, v38
	v_cndmask_b32_e64 v37, 0, 1, vcc_lo
	v_add_co_ci_u32_e32 v27, vcc_lo, 0, v27, vcc_lo
	s_delay_alu instid0(VALU_DEP_2)
	v_lshrrev_b32_e32 v36, v37, v36
; %bb.16536:                            ;   in Loop: Header=BB6_15906 Depth=3
	s_and_not1_saveexec_b32 s13, s13
; %bb.16537:                            ;   in Loop: Header=BB6_15906 Depth=3
	s_delay_alu instid0(VALU_DEP_1)
	v_bfe_u32 v27, v36, 23, 1
; %bb.16538:                            ;   in Loop: Header=BB6_15906 Depth=3
	s_or_b32 exec_lo, exec_lo, s13
	v_lshrrev_b32_e32 v36, 21, v36
	s_delay_alu instid0(VALU_DEP_2) | instskip(SKIP_2) | instid1(VALU_DEP_4)
	v_cmp_gt_i32_e32 vcc_lo, 32, v27
	v_lshrrev_b32_e32 v26, 24, v26
	v_min_i32_e32 v37, 31, v27
	v_cndmask_b32_e32 v36, 3, v36, vcc_lo
	s_delay_alu instid0(VALU_DEP_3) | instskip(NEXT) | instid1(VALU_DEP_3)
	v_and_b32_e32 v26, 0x80, v26
	v_lshlrev_b32_e32 v37, 2, v37
	s_delay_alu instid0(VALU_DEP_3) | instskip(SKIP_1) | instid1(VALU_DEP_2)
	v_and_b32_e32 v38, 3, v36
	v_or_b32_e32 v27, v27, v36
	v_or3_b32 v26, v37, v26, v38
	s_delay_alu instid0(VALU_DEP_2) | instskip(NEXT) | instid1(VALU_DEP_2)
	v_cmp_ne_u32_e32 vcc_lo, 0, v27
	v_cndmask_b32_e32 v182, 0, v26, vcc_lo
.LBB6_16539:                            ;   in Loop: Header=BB6_15906 Depth=3
	s_or_b32 exec_lo, exec_lo, s30
.LBB6_16540:                            ;   in Loop: Header=BB6_15906 Depth=3
	s_delay_alu instid0(SALU_CYCLE_1) | instskip(SKIP_3) | instid1(VALU_DEP_1)
	s_or_b32 exec_lo, exec_lo, s17
	v_and_b32_e32 v27, 0xff, v55
	s_mov_b32 s13, 0
	s_mov_b32 s30, exec_lo
                                        ; implicit-def: $sgpr17
	v_cmpx_lt_i16_e32 0x7f, v27
	s_xor_b32 s30, exec_lo, s30
	s_cbranch_execnz .LBB6_17061
; %bb.16541:                            ;   in Loop: Header=BB6_15906 Depth=3
	s_or_saveexec_b32 s30, s30
	v_mov_b32_e32 v26, s17
	s_xor_b32 exec_lo, exec_lo, s30
	s_cbranch_execnz .LBB6_17064
.LBB6_16542:                            ;   in Loop: Header=BB6_15906 Depth=3
	s_or_b32 exec_lo, exec_lo, s30
	s_and_saveexec_b32 s17, s13
	s_cbranch_execz .LBB6_16544
.LBB6_16543:                            ;   in Loop: Header=BB6_15906 Depth=3
	v_and_b32_e32 v26, 3, v55
	v_lshrrev_b16 v37, 2, v55
	v_lshlrev_b32_e32 v38, 24, v55
	s_delay_alu instid0(VALU_DEP_3) | instskip(NEXT) | instid1(VALU_DEP_1)
	v_clz_i32_u32_e32 v27, v26
	v_min_u32_e32 v27, 32, v27
	s_delay_alu instid0(VALU_DEP_1) | instskip(SKIP_1) | instid1(VALU_DEP_2)
	v_subrev_nc_u32_e32 v36, 29, v27
	v_sub_nc_u32_e32 v27, 30, v27
	v_lshlrev_b32_e32 v36, v36, v55
	s_delay_alu instid0(VALU_DEP_1) | instskip(SKIP_1) | instid1(VALU_DEP_1)
	v_and_b32_e32 v36, 3, v36
	v_and_b32_e32 v37, 31, v37
	v_cmp_eq_u32_e32 vcc_lo, 0, v37
	s_delay_alu instid0(VALU_DEP_3) | instskip(SKIP_1) | instid1(VALU_DEP_2)
	v_dual_cndmask_b32 v26, v26, v36 :: v_dual_cndmask_b32 v27, v37, v27
	v_and_b32_e32 v36, 0x80000000, v38
	v_lshlrev_b32_e32 v26, 21, v26
	s_delay_alu instid0(VALU_DEP_3) | instskip(NEXT) | instid1(VALU_DEP_1)
	v_lshl_add_u32 v27, v27, 23, 0x37800000
	v_or3_b32 v26, v36, v27, v26
.LBB6_16544:                            ;   in Loop: Header=BB6_15906 Depth=3
	s_or_b32 exec_lo, exec_lo, s17
	s_waitcnt vmcnt(16) lgkmcnt(16)
	v_and_b32_e32 v36, 0xff, v61
	s_mov_b32 s13, 0
	s_mov_b32 s30, exec_lo
                                        ; implicit-def: $sgpr17
	s_delay_alu instid0(VALU_DEP_1)
	v_cmpx_lt_i16_e32 0x7f, v36
	s_xor_b32 s30, exec_lo, s30
	s_cbranch_execnz .LBB6_17065
; %bb.16545:                            ;   in Loop: Header=BB6_15906 Depth=3
	s_or_saveexec_b32 s30, s30
	v_mov_b32_e32 v27, s17
	s_xor_b32 exec_lo, exec_lo, s30
	s_cbranch_execnz .LBB6_17068
.LBB6_16546:                            ;   in Loop: Header=BB6_15906 Depth=3
	s_or_b32 exec_lo, exec_lo, s30
	s_and_saveexec_b32 s17, s13
	s_cbranch_execz .LBB6_16548
.LBB6_16547:                            ;   in Loop: Header=BB6_15906 Depth=3
	v_lshrrev_b16 v38, 2, v61
	v_lshlrev_b32_e32 v39, 24, v61
	s_delay_alu instid0(VALU_DEP_2) | instskip(NEXT) | instid1(VALU_DEP_1)
	v_and_b32_e32 v38, 31, v38
	v_cmp_eq_u32_e32 vcc_lo, 0, v38
	v_and_b32_e32 v27, 3, v61
	s_delay_alu instid0(VALU_DEP_1) | instskip(NEXT) | instid1(VALU_DEP_1)
	v_clz_i32_u32_e32 v36, v27
	v_min_u32_e32 v36, 32, v36
	s_delay_alu instid0(VALU_DEP_1) | instskip(SKIP_1) | instid1(VALU_DEP_1)
	v_subrev_nc_u32_e32 v37, 29, v36
	v_sub_nc_u32_e32 v36, 30, v36
	v_dual_cndmask_b32 v36, v38, v36 :: v_dual_lshlrev_b32 v37, v37, v61
	s_delay_alu instid0(VALU_DEP_1) | instskip(NEXT) | instid1(VALU_DEP_2)
	v_and_b32_e32 v37, 3, v37
	v_lshl_add_u32 v36, v36, 23, 0x37800000
	s_delay_alu instid0(VALU_DEP_2) | instskip(SKIP_1) | instid1(VALU_DEP_2)
	v_cndmask_b32_e32 v27, v27, v37, vcc_lo
	v_and_b32_e32 v37, 0x80000000, v39
	v_lshlrev_b32_e32 v27, 21, v27
	s_delay_alu instid0(VALU_DEP_1)
	v_or3_b32 v27, v37, v36, v27
.LBB6_16548:                            ;   in Loop: Header=BB6_15906 Depth=3
	s_or_b32 exec_lo, exec_lo, s17
	s_delay_alu instid0(VALU_DEP_1) | instskip(SKIP_1) | instid1(VALU_DEP_1)
	v_dual_add_f32 v26, v26, v27 :: v_dual_mov_b32 v55, 0x80
	s_mov_b32 s17, exec_lo
	v_and_b32_e32 v27, 0x7f800000, v26
	s_delay_alu instid0(VALU_DEP_1)
	v_cmpx_ne_u32_e32 0x7f800000, v27
	s_cbranch_execz .LBB6_16556
; %bb.16549:                            ;   in Loop: Header=BB6_15906 Depth=3
	v_mov_b32_e32 v55, 0
	s_mov_b32 s30, exec_lo
	v_cmpx_ne_u32_e32 0, v26
	s_cbranch_execz .LBB6_16555
; %bb.16550:                            ;   in Loop: Header=BB6_15906 Depth=3
	v_bfe_u32 v27, v26, 23, 8
	s_delay_alu instid0(VALU_DEP_1) | instskip(SKIP_1) | instid1(VALU_DEP_2)
	v_sub_nc_u32_e32 v37, 0x70, v27
	v_cmp_gt_u32_e32 vcc_lo, 0x71, v27
	v_dual_cndmask_b32 v37, 0, v37 :: v_dual_and_b32 v36, 0x7fffff, v26
	s_delay_alu instid0(VALU_DEP_1) | instskip(SKIP_2) | instid1(VALU_DEP_4)
	v_or_b32_e32 v38, 0x800000, v36
	v_cmp_eq_u32_e32 vcc_lo, 0, v27
	v_add_nc_u32_e32 v27, 0xffffff91, v27
	v_cndmask_b32_e64 v37, v37, 0x6f, vcc_lo
	s_delay_alu instid0(VALU_DEP_4) | instskip(NEXT) | instid1(VALU_DEP_3)
	v_cndmask_b32_e32 v36, v38, v36, vcc_lo
	v_cndmask_b32_e64 v27, v27, 0xffffff92, vcc_lo
	s_delay_alu instid0(VALU_DEP_3) | instskip(NEXT) | instid1(VALU_DEP_3)
	v_lshl_add_u32 v38, 0x200000, v37, -1
	v_lshrrev_b32_e32 v39, v37, v36
	v_lshlrev_b32_e64 v49, v37, 0x100000
	s_delay_alu instid0(VALU_DEP_4) | instskip(NEXT) | instid1(VALU_DEP_4)
	v_add_nc_u32_e32 v37, v37, v27
	v_and_b32_e32 v36, v38, v36
	s_delay_alu instid0(VALU_DEP_4) | instskip(NEXT) | instid1(VALU_DEP_2)
	v_bfe_u32 v48, v39, 21, 1
	v_cmp_eq_u32_e64 s13, v36, v49
	s_delay_alu instid0(VALU_DEP_2) | instskip(NEXT) | instid1(VALU_DEP_1)
	v_add_nc_u32_e32 v38, -1, v48
	v_cndmask_b32_e64 v36, 0, v38, s13
	v_lshrrev_b32_e32 v38, 23, v39
	s_mov_b32 s13, exec_lo
	s_delay_alu instid0(VALU_DEP_2) | instskip(NEXT) | instid1(VALU_DEP_2)
	v_add_nc_u32_e32 v36, v36, v39
	v_xor_b32_e32 v38, 1, v38
	s_delay_alu instid0(VALU_DEP_2) | instskip(NEXT) | instid1(VALU_DEP_1)
	v_and_b32_e32 v27, 0x1fffff, v36
	v_add_nc_u32_e32 v36, v27, v39
                                        ; implicit-def: $vgpr27
	s_delay_alu instid0(VALU_DEP_3)
	v_cmpx_ne_u32_e64 v37, v38
	s_xor_b32 s13, exec_lo, s13
; %bb.16551:                            ;   in Loop: Header=BB6_15906 Depth=3
	s_delay_alu instid0(VALU_DEP_2) | instskip(SKIP_2) | instid1(VALU_DEP_2)
	v_cmp_lt_u32_e32 vcc_lo, 0xffffff, v36
	v_sub_nc_u32_e32 v27, v37, v38
	v_cndmask_b32_e64 v37, 0, 1, vcc_lo
	v_add_co_ci_u32_e32 v27, vcc_lo, 0, v27, vcc_lo
	s_delay_alu instid0(VALU_DEP_2)
	v_lshrrev_b32_e32 v36, v37, v36
; %bb.16552:                            ;   in Loop: Header=BB6_15906 Depth=3
	s_and_not1_saveexec_b32 s13, s13
; %bb.16553:                            ;   in Loop: Header=BB6_15906 Depth=3
	s_delay_alu instid0(VALU_DEP_1)
	v_bfe_u32 v27, v36, 23, 1
; %bb.16554:                            ;   in Loop: Header=BB6_15906 Depth=3
	s_or_b32 exec_lo, exec_lo, s13
	v_lshrrev_b32_e32 v36, 21, v36
	s_delay_alu instid0(VALU_DEP_2) | instskip(SKIP_2) | instid1(VALU_DEP_2)
	v_cmp_gt_i32_e32 vcc_lo, 32, v27
	v_min_i32_e32 v37, 31, v27
	v_lshrrev_b32_e32 v26, 24, v26
	v_dual_cndmask_b32 v36, 3, v36 :: v_dual_lshlrev_b32 v37, 2, v37
	s_delay_alu instid0(VALU_DEP_2) | instskip(NEXT) | instid1(VALU_DEP_2)
	v_and_b32_e32 v26, 0x80, v26
	v_or_b32_e32 v27, v27, v36
	s_delay_alu instid0(VALU_DEP_1) | instskip(SKIP_1) | instid1(VALU_DEP_1)
	v_cmp_ne_u32_e32 vcc_lo, 0, v27
	v_and_b32_e32 v38, 3, v36
	v_or3_b32 v26, v37, v26, v38
	s_delay_alu instid0(VALU_DEP_1)
	v_cndmask_b32_e32 v55, 0, v26, vcc_lo
.LBB6_16555:                            ;   in Loop: Header=BB6_15906 Depth=3
	s_or_b32 exec_lo, exec_lo, s30
.LBB6_16556:                            ;   in Loop: Header=BB6_15906 Depth=3
	s_delay_alu instid0(SALU_CYCLE_1) | instskip(SKIP_3) | instid1(VALU_DEP_1)
	s_or_b32 exec_lo, exec_lo, s17
	v_and_b32_e32 v27, 0xff, v178
	s_mov_b32 s13, 0
	s_mov_b32 s30, exec_lo
                                        ; implicit-def: $sgpr17
	v_cmpx_lt_i16_e32 0x7f, v27
	s_xor_b32 s30, exec_lo, s30
	s_cbranch_execnz .LBB6_17069
; %bb.16557:                            ;   in Loop: Header=BB6_15906 Depth=3
	s_or_saveexec_b32 s30, s30
	v_mov_b32_e32 v26, s17
	s_xor_b32 exec_lo, exec_lo, s30
	s_cbranch_execnz .LBB6_17072
.LBB6_16558:                            ;   in Loop: Header=BB6_15906 Depth=3
	s_or_b32 exec_lo, exec_lo, s30
	s_and_saveexec_b32 s17, s13
	s_cbranch_execz .LBB6_16560
.LBB6_16559:                            ;   in Loop: Header=BB6_15906 Depth=3
	v_lshrrev_b16 v37, 2, v178
	v_lshlrev_b32_e32 v38, 24, v178
	s_delay_alu instid0(VALU_DEP_2) | instskip(NEXT) | instid1(VALU_DEP_1)
	v_and_b32_e32 v37, 31, v37
	v_cmp_eq_u32_e32 vcc_lo, 0, v37
	v_and_b32_e32 v26, 3, v178
	s_delay_alu instid0(VALU_DEP_1) | instskip(NEXT) | instid1(VALU_DEP_1)
	v_clz_i32_u32_e32 v27, v26
	v_min_u32_e32 v27, 32, v27
	s_delay_alu instid0(VALU_DEP_1) | instskip(SKIP_1) | instid1(VALU_DEP_1)
	v_subrev_nc_u32_e32 v36, 29, v27
	v_sub_nc_u32_e32 v27, 30, v27
	v_dual_cndmask_b32 v27, v37, v27 :: v_dual_lshlrev_b32 v36, v36, v178
	s_delay_alu instid0(VALU_DEP_1) | instskip(NEXT) | instid1(VALU_DEP_2)
	v_and_b32_e32 v36, 3, v36
	v_lshl_add_u32 v27, v27, 23, 0x37800000
	s_delay_alu instid0(VALU_DEP_2) | instskip(SKIP_1) | instid1(VALU_DEP_2)
	v_cndmask_b32_e32 v26, v26, v36, vcc_lo
	v_and_b32_e32 v36, 0x80000000, v38
	v_lshlrev_b32_e32 v26, 21, v26
	s_delay_alu instid0(VALU_DEP_1)
	v_or3_b32 v26, v36, v27, v26
.LBB6_16560:                            ;   in Loop: Header=BB6_15906 Depth=3
	s_or_b32 exec_lo, exec_lo, s17
	s_waitcnt vmcnt(15) lgkmcnt(15)
	v_and_b32_e32 v36, 0xff, v103
	s_mov_b32 s13, 0
	s_mov_b32 s30, exec_lo
                                        ; implicit-def: $sgpr17
	s_delay_alu instid0(VALU_DEP_1)
	v_cmpx_lt_i16_e32 0x7f, v36
	s_xor_b32 s30, exec_lo, s30
	s_cbranch_execnz .LBB6_17073
; %bb.16561:                            ;   in Loop: Header=BB6_15906 Depth=3
	s_or_saveexec_b32 s30, s30
	v_mov_b32_e32 v27, s17
	s_xor_b32 exec_lo, exec_lo, s30
	s_cbranch_execnz .LBB6_17076
.LBB6_16562:                            ;   in Loop: Header=BB6_15906 Depth=3
	s_or_b32 exec_lo, exec_lo, s30
	s_and_saveexec_b32 s17, s13
	s_cbranch_execz .LBB6_16564
.LBB6_16563:                            ;   in Loop: Header=BB6_15906 Depth=3
	v_lshrrev_b16 v38, 2, v103
	v_lshlrev_b32_e32 v39, 24, v103
	s_delay_alu instid0(VALU_DEP_2) | instskip(NEXT) | instid1(VALU_DEP_1)
	v_and_b32_e32 v38, 31, v38
	v_cmp_eq_u32_e32 vcc_lo, 0, v38
	v_and_b32_e32 v27, 3, v103
	s_delay_alu instid0(VALU_DEP_1) | instskip(NEXT) | instid1(VALU_DEP_1)
	v_clz_i32_u32_e32 v36, v27
	v_min_u32_e32 v36, 32, v36
	s_delay_alu instid0(VALU_DEP_1) | instskip(SKIP_1) | instid1(VALU_DEP_1)
	v_subrev_nc_u32_e32 v37, 29, v36
	v_sub_nc_u32_e32 v36, 30, v36
	v_dual_cndmask_b32 v36, v38, v36 :: v_dual_lshlrev_b32 v37, v37, v103
	s_delay_alu instid0(VALU_DEP_1) | instskip(NEXT) | instid1(VALU_DEP_2)
	v_and_b32_e32 v37, 3, v37
	v_lshl_add_u32 v36, v36, 23, 0x37800000
	s_delay_alu instid0(VALU_DEP_2) | instskip(SKIP_1) | instid1(VALU_DEP_2)
	v_cndmask_b32_e32 v27, v27, v37, vcc_lo
	v_and_b32_e32 v37, 0x80000000, v39
	v_lshlrev_b32_e32 v27, 21, v27
	s_delay_alu instid0(VALU_DEP_1)
	v_or3_b32 v27, v37, v36, v27
.LBB6_16564:                            ;   in Loop: Header=BB6_15906 Depth=3
	s_or_b32 exec_lo, exec_lo, s17
	s_delay_alu instid0(VALU_DEP_1) | instskip(SKIP_1) | instid1(VALU_DEP_1)
	v_dual_add_f32 v26, v26, v27 :: v_dual_mov_b32 v103, 0x80
	s_mov_b32 s17, exec_lo
	v_and_b32_e32 v27, 0x7f800000, v26
	s_delay_alu instid0(VALU_DEP_1)
	v_cmpx_ne_u32_e32 0x7f800000, v27
	s_cbranch_execz .LBB6_16572
; %bb.16565:                            ;   in Loop: Header=BB6_15906 Depth=3
	v_mov_b32_e32 v103, 0
	s_mov_b32 s30, exec_lo
	v_cmpx_ne_u32_e32 0, v26
	s_cbranch_execz .LBB6_16571
; %bb.16566:                            ;   in Loop: Header=BB6_15906 Depth=3
	v_bfe_u32 v27, v26, 23, 8
	s_delay_alu instid0(VALU_DEP_1) | instskip(SKIP_1) | instid1(VALU_DEP_2)
	v_sub_nc_u32_e32 v37, 0x70, v27
	v_cmp_gt_u32_e32 vcc_lo, 0x71, v27
	v_dual_cndmask_b32 v37, 0, v37 :: v_dual_and_b32 v36, 0x7fffff, v26
	s_delay_alu instid0(VALU_DEP_1) | instskip(SKIP_2) | instid1(VALU_DEP_4)
	v_or_b32_e32 v38, 0x800000, v36
	v_cmp_eq_u32_e32 vcc_lo, 0, v27
	v_add_nc_u32_e32 v27, 0xffffff91, v27
	v_cndmask_b32_e64 v37, v37, 0x6f, vcc_lo
	s_delay_alu instid0(VALU_DEP_4) | instskip(NEXT) | instid1(VALU_DEP_3)
	v_cndmask_b32_e32 v36, v38, v36, vcc_lo
	v_cndmask_b32_e64 v27, v27, 0xffffff92, vcc_lo
	s_delay_alu instid0(VALU_DEP_3) | instskip(NEXT) | instid1(VALU_DEP_3)
	v_lshl_add_u32 v38, 0x200000, v37, -1
	v_lshrrev_b32_e32 v39, v37, v36
	v_lshlrev_b32_e64 v49, v37, 0x100000
	s_delay_alu instid0(VALU_DEP_4) | instskip(NEXT) | instid1(VALU_DEP_4)
	v_add_nc_u32_e32 v37, v37, v27
	v_and_b32_e32 v36, v38, v36
	s_delay_alu instid0(VALU_DEP_4) | instskip(NEXT) | instid1(VALU_DEP_2)
	v_bfe_u32 v48, v39, 21, 1
	v_cmp_eq_u32_e64 s13, v36, v49
	s_delay_alu instid0(VALU_DEP_2) | instskip(NEXT) | instid1(VALU_DEP_1)
	v_add_nc_u32_e32 v38, -1, v48
	v_cndmask_b32_e64 v36, 0, v38, s13
	v_lshrrev_b32_e32 v38, 23, v39
	s_mov_b32 s13, exec_lo
	s_delay_alu instid0(VALU_DEP_2) | instskip(NEXT) | instid1(VALU_DEP_2)
	v_add_nc_u32_e32 v36, v36, v39
	v_xor_b32_e32 v38, 1, v38
	s_delay_alu instid0(VALU_DEP_2) | instskip(NEXT) | instid1(VALU_DEP_1)
	v_and_b32_e32 v27, 0x1fffff, v36
	v_add_nc_u32_e32 v36, v27, v39
                                        ; implicit-def: $vgpr27
	s_delay_alu instid0(VALU_DEP_3)
	v_cmpx_ne_u32_e64 v37, v38
	s_xor_b32 s13, exec_lo, s13
; %bb.16567:                            ;   in Loop: Header=BB6_15906 Depth=3
	s_delay_alu instid0(VALU_DEP_2) | instskip(SKIP_2) | instid1(VALU_DEP_2)
	v_cmp_lt_u32_e32 vcc_lo, 0xffffff, v36
	v_sub_nc_u32_e32 v27, v37, v38
	v_cndmask_b32_e64 v37, 0, 1, vcc_lo
	v_add_co_ci_u32_e32 v27, vcc_lo, 0, v27, vcc_lo
	s_delay_alu instid0(VALU_DEP_2)
	v_lshrrev_b32_e32 v36, v37, v36
; %bb.16568:                            ;   in Loop: Header=BB6_15906 Depth=3
	s_and_not1_saveexec_b32 s13, s13
; %bb.16569:                            ;   in Loop: Header=BB6_15906 Depth=3
	s_delay_alu instid0(VALU_DEP_1)
	v_bfe_u32 v27, v36, 23, 1
; %bb.16570:                            ;   in Loop: Header=BB6_15906 Depth=3
	s_or_b32 exec_lo, exec_lo, s13
	v_lshrrev_b32_e32 v36, 21, v36
	s_delay_alu instid0(VALU_DEP_2) | instskip(SKIP_2) | instid1(VALU_DEP_2)
	v_cmp_gt_i32_e32 vcc_lo, 32, v27
	v_min_i32_e32 v37, 31, v27
	v_lshrrev_b32_e32 v26, 24, v26
	v_dual_cndmask_b32 v36, 3, v36 :: v_dual_lshlrev_b32 v37, 2, v37
	s_delay_alu instid0(VALU_DEP_2) | instskip(NEXT) | instid1(VALU_DEP_2)
	v_and_b32_e32 v26, 0x80, v26
	v_or_b32_e32 v27, v27, v36
	s_delay_alu instid0(VALU_DEP_1) | instskip(SKIP_1) | instid1(VALU_DEP_1)
	v_cmp_ne_u32_e32 vcc_lo, 0, v27
	v_and_b32_e32 v38, 3, v36
	v_or3_b32 v26, v37, v26, v38
	s_delay_alu instid0(VALU_DEP_1)
	v_cndmask_b32_e32 v103, 0, v26, vcc_lo
.LBB6_16571:                            ;   in Loop: Header=BB6_15906 Depth=3
	s_or_b32 exec_lo, exec_lo, s30
.LBB6_16572:                            ;   in Loop: Header=BB6_15906 Depth=3
	s_delay_alu instid0(SALU_CYCLE_1) | instskip(SKIP_3) | instid1(VALU_DEP_1)
	s_or_b32 exec_lo, exec_lo, s17
	v_and_b32_e32 v27, 0xff, v177
	s_mov_b32 s13, 0
	s_mov_b32 s30, exec_lo
                                        ; implicit-def: $sgpr17
	v_cmpx_lt_i16_e32 0x7f, v27
	s_xor_b32 s30, exec_lo, s30
	s_cbranch_execnz .LBB6_17077
; %bb.16573:                            ;   in Loop: Header=BB6_15906 Depth=3
	s_or_saveexec_b32 s30, s30
	v_mov_b32_e32 v26, s17
	s_xor_b32 exec_lo, exec_lo, s30
	s_cbranch_execnz .LBB6_17080
.LBB6_16574:                            ;   in Loop: Header=BB6_15906 Depth=3
	s_or_b32 exec_lo, exec_lo, s30
	s_and_saveexec_b32 s17, s13
	s_cbranch_execz .LBB6_16576
.LBB6_16575:                            ;   in Loop: Header=BB6_15906 Depth=3
	v_lshrrev_b16 v37, 2, v177
	v_lshlrev_b32_e32 v38, 24, v177
	s_delay_alu instid0(VALU_DEP_2) | instskip(NEXT) | instid1(VALU_DEP_1)
	v_and_b32_e32 v37, 31, v37
	v_cmp_eq_u32_e32 vcc_lo, 0, v37
	v_and_b32_e32 v26, 3, v177
	s_delay_alu instid0(VALU_DEP_1) | instskip(NEXT) | instid1(VALU_DEP_1)
	v_clz_i32_u32_e32 v27, v26
	v_min_u32_e32 v27, 32, v27
	s_delay_alu instid0(VALU_DEP_1) | instskip(SKIP_1) | instid1(VALU_DEP_1)
	v_subrev_nc_u32_e32 v36, 29, v27
	v_sub_nc_u32_e32 v27, 30, v27
	v_dual_cndmask_b32 v27, v37, v27 :: v_dual_lshlrev_b32 v36, v36, v177
	s_delay_alu instid0(VALU_DEP_1) | instskip(NEXT) | instid1(VALU_DEP_2)
	v_and_b32_e32 v36, 3, v36
	v_lshl_add_u32 v27, v27, 23, 0x37800000
	s_delay_alu instid0(VALU_DEP_2) | instskip(SKIP_1) | instid1(VALU_DEP_2)
	v_cndmask_b32_e32 v26, v26, v36, vcc_lo
	v_and_b32_e32 v36, 0x80000000, v38
	v_lshlrev_b32_e32 v26, 21, v26
	s_delay_alu instid0(VALU_DEP_1)
	v_or3_b32 v26, v36, v27, v26
.LBB6_16576:                            ;   in Loop: Header=BB6_15906 Depth=3
	s_or_b32 exec_lo, exec_lo, s17
	s_waitcnt vmcnt(14) lgkmcnt(14)
	v_and_b32_e32 v36, 0xff, v144
	s_mov_b32 s13, 0
	s_mov_b32 s30, exec_lo
                                        ; implicit-def: $sgpr17
	s_delay_alu instid0(VALU_DEP_1)
	v_cmpx_lt_i16_e32 0x7f, v36
	s_xor_b32 s30, exec_lo, s30
	s_cbranch_execnz .LBB6_17081
; %bb.16577:                            ;   in Loop: Header=BB6_15906 Depth=3
	s_or_saveexec_b32 s30, s30
	v_mov_b32_e32 v27, s17
	s_xor_b32 exec_lo, exec_lo, s30
	s_cbranch_execnz .LBB6_17084
.LBB6_16578:                            ;   in Loop: Header=BB6_15906 Depth=3
	s_or_b32 exec_lo, exec_lo, s30
	s_and_saveexec_b32 s17, s13
	s_cbranch_execz .LBB6_16580
.LBB6_16579:                            ;   in Loop: Header=BB6_15906 Depth=3
	v_and_b32_e32 v27, 3, v144
	v_lshrrev_b16 v38, 2, v144
	v_lshlrev_b32_e32 v39, 24, v144
	s_delay_alu instid0(VALU_DEP_3) | instskip(NEXT) | instid1(VALU_DEP_1)
	v_clz_i32_u32_e32 v36, v27
	v_min_u32_e32 v36, 32, v36
	s_delay_alu instid0(VALU_DEP_1) | instskip(SKIP_1) | instid1(VALU_DEP_2)
	v_subrev_nc_u32_e32 v37, 29, v36
	v_sub_nc_u32_e32 v36, 30, v36
	v_lshlrev_b32_e32 v37, v37, v144
	s_delay_alu instid0(VALU_DEP_1) | instskip(SKIP_1) | instid1(VALU_DEP_1)
	v_and_b32_e32 v37, 3, v37
	v_and_b32_e32 v38, 31, v38
	v_cmp_eq_u32_e32 vcc_lo, 0, v38
	s_delay_alu instid0(VALU_DEP_3) | instskip(SKIP_1) | instid1(VALU_DEP_2)
	v_dual_cndmask_b32 v27, v27, v37 :: v_dual_cndmask_b32 v36, v38, v36
	v_and_b32_e32 v37, 0x80000000, v39
	v_lshlrev_b32_e32 v27, 21, v27
	s_delay_alu instid0(VALU_DEP_3) | instskip(NEXT) | instid1(VALU_DEP_1)
	v_lshl_add_u32 v36, v36, 23, 0x37800000
	v_or3_b32 v27, v37, v36, v27
.LBB6_16580:                            ;   in Loop: Header=BB6_15906 Depth=3
	s_or_b32 exec_lo, exec_lo, s17
	s_delay_alu instid0(VALU_DEP_1) | instskip(SKIP_2) | instid1(VALU_DEP_2)
	v_add_f32_e32 v26, v26, v27
	v_mov_b32_e32 v144, 0x80
	s_mov_b32 s17, exec_lo
	v_and_b32_e32 v27, 0x7f800000, v26
	s_delay_alu instid0(VALU_DEP_1)
	v_cmpx_ne_u32_e32 0x7f800000, v27
	s_cbranch_execz .LBB6_16588
; %bb.16581:                            ;   in Loop: Header=BB6_15906 Depth=3
	v_mov_b32_e32 v144, 0
	s_mov_b32 s30, exec_lo
	v_cmpx_ne_u32_e32 0, v26
	s_cbranch_execz .LBB6_16587
; %bb.16582:                            ;   in Loop: Header=BB6_15906 Depth=3
	v_bfe_u32 v27, v26, 23, 8
	s_delay_alu instid0(VALU_DEP_1) | instskip(SKIP_1) | instid1(VALU_DEP_2)
	v_sub_nc_u32_e32 v37, 0x70, v27
	v_cmp_gt_u32_e32 vcc_lo, 0x71, v27
	v_dual_cndmask_b32 v37, 0, v37 :: v_dual_and_b32 v36, 0x7fffff, v26
	s_delay_alu instid0(VALU_DEP_1) | instskip(SKIP_2) | instid1(VALU_DEP_4)
	v_or_b32_e32 v38, 0x800000, v36
	v_cmp_eq_u32_e32 vcc_lo, 0, v27
	v_add_nc_u32_e32 v27, 0xffffff91, v27
	v_cndmask_b32_e64 v37, v37, 0x6f, vcc_lo
	s_delay_alu instid0(VALU_DEP_4) | instskip(NEXT) | instid1(VALU_DEP_3)
	v_cndmask_b32_e32 v36, v38, v36, vcc_lo
	v_cndmask_b32_e64 v27, v27, 0xffffff92, vcc_lo
	s_delay_alu instid0(VALU_DEP_3) | instskip(NEXT) | instid1(VALU_DEP_3)
	v_lshl_add_u32 v38, 0x200000, v37, -1
	v_lshrrev_b32_e32 v39, v37, v36
	v_lshlrev_b32_e64 v49, v37, 0x100000
	s_delay_alu instid0(VALU_DEP_4) | instskip(NEXT) | instid1(VALU_DEP_4)
	v_add_nc_u32_e32 v37, v37, v27
	v_and_b32_e32 v36, v38, v36
	s_delay_alu instid0(VALU_DEP_4) | instskip(NEXT) | instid1(VALU_DEP_2)
	v_bfe_u32 v48, v39, 21, 1
	v_cmp_eq_u32_e64 s13, v36, v49
	s_delay_alu instid0(VALU_DEP_2) | instskip(NEXT) | instid1(VALU_DEP_1)
	v_add_nc_u32_e32 v38, -1, v48
	v_cndmask_b32_e64 v36, 0, v38, s13
	v_lshrrev_b32_e32 v38, 23, v39
	s_mov_b32 s13, exec_lo
	s_delay_alu instid0(VALU_DEP_2) | instskip(NEXT) | instid1(VALU_DEP_2)
	v_add_nc_u32_e32 v36, v36, v39
	v_xor_b32_e32 v38, 1, v38
	s_delay_alu instid0(VALU_DEP_2) | instskip(NEXT) | instid1(VALU_DEP_1)
	v_and_b32_e32 v27, 0x1fffff, v36
	v_add_nc_u32_e32 v36, v27, v39
                                        ; implicit-def: $vgpr27
	s_delay_alu instid0(VALU_DEP_3)
	v_cmpx_ne_u32_e64 v37, v38
	s_xor_b32 s13, exec_lo, s13
; %bb.16583:                            ;   in Loop: Header=BB6_15906 Depth=3
	s_delay_alu instid0(VALU_DEP_2) | instskip(SKIP_2) | instid1(VALU_DEP_2)
	v_cmp_lt_u32_e32 vcc_lo, 0xffffff, v36
	v_sub_nc_u32_e32 v27, v37, v38
	v_cndmask_b32_e64 v37, 0, 1, vcc_lo
	v_add_co_ci_u32_e32 v27, vcc_lo, 0, v27, vcc_lo
	s_delay_alu instid0(VALU_DEP_2)
	v_lshrrev_b32_e32 v36, v37, v36
; %bb.16584:                            ;   in Loop: Header=BB6_15906 Depth=3
	s_and_not1_saveexec_b32 s13, s13
; %bb.16585:                            ;   in Loop: Header=BB6_15906 Depth=3
	s_delay_alu instid0(VALU_DEP_1)
	v_bfe_u32 v27, v36, 23, 1
; %bb.16586:                            ;   in Loop: Header=BB6_15906 Depth=3
	s_or_b32 exec_lo, exec_lo, s13
	v_lshrrev_b32_e32 v36, 21, v36
	s_delay_alu instid0(VALU_DEP_2) | instskip(SKIP_2) | instid1(VALU_DEP_4)
	v_cmp_gt_i32_e32 vcc_lo, 32, v27
	v_lshrrev_b32_e32 v26, 24, v26
	v_min_i32_e32 v37, 31, v27
	v_cndmask_b32_e32 v36, 3, v36, vcc_lo
	s_delay_alu instid0(VALU_DEP_3) | instskip(NEXT) | instid1(VALU_DEP_3)
	v_and_b32_e32 v26, 0x80, v26
	v_lshlrev_b32_e32 v37, 2, v37
	s_delay_alu instid0(VALU_DEP_3) | instskip(SKIP_1) | instid1(VALU_DEP_2)
	v_and_b32_e32 v38, 3, v36
	v_or_b32_e32 v27, v27, v36
	v_or3_b32 v26, v37, v26, v38
	s_delay_alu instid0(VALU_DEP_2) | instskip(NEXT) | instid1(VALU_DEP_2)
	v_cmp_ne_u32_e32 vcc_lo, 0, v27
	v_cndmask_b32_e32 v144, 0, v26, vcc_lo
.LBB6_16587:                            ;   in Loop: Header=BB6_15906 Depth=3
	s_or_b32 exec_lo, exec_lo, s30
.LBB6_16588:                            ;   in Loop: Header=BB6_15906 Depth=3
	s_delay_alu instid0(SALU_CYCLE_1) | instskip(SKIP_3) | instid1(VALU_DEP_1)
	s_or_b32 exec_lo, exec_lo, s17
	v_and_b32_e32 v27, 0xff, v167
	s_mov_b32 s13, 0
	s_mov_b32 s30, exec_lo
                                        ; implicit-def: $sgpr17
	v_cmpx_lt_i16_e32 0x7f, v27
	s_xor_b32 s30, exec_lo, s30
	s_cbranch_execnz .LBB6_17085
; %bb.16589:                            ;   in Loop: Header=BB6_15906 Depth=3
	s_or_saveexec_b32 s30, s30
	v_mov_b32_e32 v26, s17
	s_xor_b32 exec_lo, exec_lo, s30
	s_cbranch_execnz .LBB6_17088
.LBB6_16590:                            ;   in Loop: Header=BB6_15906 Depth=3
	s_or_b32 exec_lo, exec_lo, s30
	s_and_saveexec_b32 s17, s13
	s_cbranch_execz .LBB6_16592
.LBB6_16591:                            ;   in Loop: Header=BB6_15906 Depth=3
	v_and_b32_e32 v26, 3, v167
	v_lshrrev_b16 v37, 2, v167
	v_lshlrev_b32_e32 v38, 24, v167
	s_delay_alu instid0(VALU_DEP_3) | instskip(NEXT) | instid1(VALU_DEP_1)
	v_clz_i32_u32_e32 v27, v26
	v_min_u32_e32 v27, 32, v27
	s_delay_alu instid0(VALU_DEP_1) | instskip(SKIP_1) | instid1(VALU_DEP_2)
	v_subrev_nc_u32_e32 v36, 29, v27
	v_sub_nc_u32_e32 v27, 30, v27
	v_lshlrev_b32_e32 v36, v36, v167
	s_delay_alu instid0(VALU_DEP_1) | instskip(SKIP_1) | instid1(VALU_DEP_1)
	v_and_b32_e32 v36, 3, v36
	v_and_b32_e32 v37, 31, v37
	v_cmp_eq_u32_e32 vcc_lo, 0, v37
	s_delay_alu instid0(VALU_DEP_3) | instskip(SKIP_1) | instid1(VALU_DEP_2)
	v_dual_cndmask_b32 v26, v26, v36 :: v_dual_cndmask_b32 v27, v37, v27
	v_and_b32_e32 v36, 0x80000000, v38
	v_lshlrev_b32_e32 v26, 21, v26
	s_delay_alu instid0(VALU_DEP_3) | instskip(NEXT) | instid1(VALU_DEP_1)
	v_lshl_add_u32 v27, v27, 23, 0x37800000
	v_or3_b32 v26, v36, v27, v26
.LBB6_16592:                            ;   in Loop: Header=BB6_15906 Depth=3
	s_or_b32 exec_lo, exec_lo, s17
	s_waitcnt vmcnt(13) lgkmcnt(13)
	v_and_b32_e32 v36, 0xff, v96
	s_mov_b32 s13, 0
	s_mov_b32 s30, exec_lo
                                        ; implicit-def: $sgpr17
	s_delay_alu instid0(VALU_DEP_1)
	v_cmpx_lt_i16_e32 0x7f, v36
	s_xor_b32 s30, exec_lo, s30
	s_cbranch_execnz .LBB6_17089
; %bb.16593:                            ;   in Loop: Header=BB6_15906 Depth=3
	s_or_saveexec_b32 s30, s30
	v_mov_b32_e32 v27, s17
	s_xor_b32 exec_lo, exec_lo, s30
	s_cbranch_execnz .LBB6_17092
.LBB6_16594:                            ;   in Loop: Header=BB6_15906 Depth=3
	s_or_b32 exec_lo, exec_lo, s30
	s_and_saveexec_b32 s17, s13
	s_cbranch_execz .LBB6_16596
.LBB6_16595:                            ;   in Loop: Header=BB6_15906 Depth=3
	v_and_b32_e32 v27, 3, v96
	v_lshrrev_b16 v38, 2, v96
	v_lshlrev_b32_e32 v39, 24, v96
	s_delay_alu instid0(VALU_DEP_3) | instskip(NEXT) | instid1(VALU_DEP_1)
	v_clz_i32_u32_e32 v36, v27
	v_min_u32_e32 v36, 32, v36
	s_delay_alu instid0(VALU_DEP_1) | instskip(SKIP_1) | instid1(VALU_DEP_2)
	v_subrev_nc_u32_e32 v37, 29, v36
	v_sub_nc_u32_e32 v36, 30, v36
	v_lshlrev_b32_e32 v37, v37, v96
	s_delay_alu instid0(VALU_DEP_1) | instskip(SKIP_1) | instid1(VALU_DEP_1)
	v_and_b32_e32 v37, 3, v37
	v_and_b32_e32 v38, 31, v38
	v_cmp_eq_u32_e32 vcc_lo, 0, v38
	s_delay_alu instid0(VALU_DEP_3) | instskip(SKIP_1) | instid1(VALU_DEP_2)
	v_dual_cndmask_b32 v27, v27, v37 :: v_dual_cndmask_b32 v36, v38, v36
	v_and_b32_e32 v37, 0x80000000, v39
	v_lshlrev_b32_e32 v27, 21, v27
	s_delay_alu instid0(VALU_DEP_3) | instskip(NEXT) | instid1(VALU_DEP_1)
	v_lshl_add_u32 v36, v36, 23, 0x37800000
	v_or3_b32 v27, v37, v36, v27
.LBB6_16596:                            ;   in Loop: Header=BB6_15906 Depth=3
	s_or_b32 exec_lo, exec_lo, s17
	s_delay_alu instid0(VALU_DEP_1) | instskip(SKIP_2) | instid1(VALU_DEP_2)
	v_add_f32_e32 v26, v26, v27
	v_mov_b32_e32 v96, 0x80
	s_mov_b32 s17, exec_lo
	v_and_b32_e32 v27, 0x7f800000, v26
	s_delay_alu instid0(VALU_DEP_1)
	v_cmpx_ne_u32_e32 0x7f800000, v27
	s_cbranch_execz .LBB6_16604
; %bb.16597:                            ;   in Loop: Header=BB6_15906 Depth=3
	v_mov_b32_e32 v96, 0
	s_mov_b32 s30, exec_lo
	v_cmpx_ne_u32_e32 0, v26
	s_cbranch_execz .LBB6_16603
; %bb.16598:                            ;   in Loop: Header=BB6_15906 Depth=3
	v_bfe_u32 v27, v26, 23, 8
	s_delay_alu instid0(VALU_DEP_1) | instskip(SKIP_1) | instid1(VALU_DEP_2)
	v_sub_nc_u32_e32 v37, 0x70, v27
	v_cmp_gt_u32_e32 vcc_lo, 0x71, v27
	v_dual_cndmask_b32 v37, 0, v37 :: v_dual_and_b32 v36, 0x7fffff, v26
	s_delay_alu instid0(VALU_DEP_1) | instskip(SKIP_2) | instid1(VALU_DEP_4)
	v_or_b32_e32 v38, 0x800000, v36
	v_cmp_eq_u32_e32 vcc_lo, 0, v27
	v_add_nc_u32_e32 v27, 0xffffff91, v27
	v_cndmask_b32_e64 v37, v37, 0x6f, vcc_lo
	s_delay_alu instid0(VALU_DEP_4) | instskip(NEXT) | instid1(VALU_DEP_3)
	v_cndmask_b32_e32 v36, v38, v36, vcc_lo
	v_cndmask_b32_e64 v27, v27, 0xffffff92, vcc_lo
	s_delay_alu instid0(VALU_DEP_3) | instskip(NEXT) | instid1(VALU_DEP_3)
	v_lshl_add_u32 v38, 0x200000, v37, -1
	v_lshrrev_b32_e32 v39, v37, v36
	v_lshlrev_b32_e64 v49, v37, 0x100000
	s_delay_alu instid0(VALU_DEP_4) | instskip(NEXT) | instid1(VALU_DEP_4)
	v_add_nc_u32_e32 v37, v37, v27
	v_and_b32_e32 v36, v38, v36
	s_delay_alu instid0(VALU_DEP_4) | instskip(NEXT) | instid1(VALU_DEP_2)
	v_bfe_u32 v48, v39, 21, 1
	v_cmp_eq_u32_e64 s13, v36, v49
	s_delay_alu instid0(VALU_DEP_2) | instskip(NEXT) | instid1(VALU_DEP_1)
	v_add_nc_u32_e32 v38, -1, v48
	v_cndmask_b32_e64 v36, 0, v38, s13
	v_lshrrev_b32_e32 v38, 23, v39
	s_mov_b32 s13, exec_lo
	s_delay_alu instid0(VALU_DEP_2) | instskip(NEXT) | instid1(VALU_DEP_2)
	v_add_nc_u32_e32 v36, v36, v39
	v_xor_b32_e32 v38, 1, v38
	s_delay_alu instid0(VALU_DEP_2) | instskip(NEXT) | instid1(VALU_DEP_1)
	v_and_b32_e32 v27, 0x1fffff, v36
	v_add_nc_u32_e32 v36, v27, v39
                                        ; implicit-def: $vgpr27
	s_delay_alu instid0(VALU_DEP_3)
	v_cmpx_ne_u32_e64 v37, v38
	s_xor_b32 s13, exec_lo, s13
; %bb.16599:                            ;   in Loop: Header=BB6_15906 Depth=3
	s_delay_alu instid0(VALU_DEP_2) | instskip(SKIP_2) | instid1(VALU_DEP_2)
	v_cmp_lt_u32_e32 vcc_lo, 0xffffff, v36
	v_sub_nc_u32_e32 v27, v37, v38
	v_cndmask_b32_e64 v37, 0, 1, vcc_lo
	v_add_co_ci_u32_e32 v27, vcc_lo, 0, v27, vcc_lo
	s_delay_alu instid0(VALU_DEP_2)
	v_lshrrev_b32_e32 v36, v37, v36
; %bb.16600:                            ;   in Loop: Header=BB6_15906 Depth=3
	s_and_not1_saveexec_b32 s13, s13
; %bb.16601:                            ;   in Loop: Header=BB6_15906 Depth=3
	s_delay_alu instid0(VALU_DEP_1)
	v_bfe_u32 v27, v36, 23, 1
; %bb.16602:                            ;   in Loop: Header=BB6_15906 Depth=3
	s_or_b32 exec_lo, exec_lo, s13
	v_lshrrev_b32_e32 v36, 21, v36
	s_delay_alu instid0(VALU_DEP_2) | instskip(SKIP_2) | instid1(VALU_DEP_4)
	v_cmp_gt_i32_e32 vcc_lo, 32, v27
	v_lshrrev_b32_e32 v26, 24, v26
	v_min_i32_e32 v37, 31, v27
	v_cndmask_b32_e32 v36, 3, v36, vcc_lo
	s_delay_alu instid0(VALU_DEP_3) | instskip(NEXT) | instid1(VALU_DEP_3)
	v_and_b32_e32 v26, 0x80, v26
	v_lshlrev_b32_e32 v37, 2, v37
	s_delay_alu instid0(VALU_DEP_3) | instskip(SKIP_1) | instid1(VALU_DEP_2)
	v_and_b32_e32 v38, 3, v36
	v_or_b32_e32 v27, v27, v36
	v_or3_b32 v26, v37, v26, v38
	s_delay_alu instid0(VALU_DEP_2) | instskip(NEXT) | instid1(VALU_DEP_2)
	v_cmp_ne_u32_e32 vcc_lo, 0, v27
	v_cndmask_b32_e32 v96, 0, v26, vcc_lo
.LBB6_16603:                            ;   in Loop: Header=BB6_15906 Depth=3
	s_or_b32 exec_lo, exec_lo, s30
.LBB6_16604:                            ;   in Loop: Header=BB6_15906 Depth=3
	s_delay_alu instid0(SALU_CYCLE_1) | instskip(SKIP_3) | instid1(VALU_DEP_1)
	s_or_b32 exec_lo, exec_lo, s17
	v_and_b32_e32 v27, 0xff, v165
	s_mov_b32 s13, 0
	s_mov_b32 s30, exec_lo
                                        ; implicit-def: $sgpr17
	v_cmpx_lt_i16_e32 0x7f, v27
	s_xor_b32 s30, exec_lo, s30
	s_cbranch_execnz .LBB6_17093
; %bb.16605:                            ;   in Loop: Header=BB6_15906 Depth=3
	s_or_saveexec_b32 s30, s30
	v_mov_b32_e32 v26, s17
	s_xor_b32 exec_lo, exec_lo, s30
	s_cbranch_execnz .LBB6_17096
.LBB6_16606:                            ;   in Loop: Header=BB6_15906 Depth=3
	s_or_b32 exec_lo, exec_lo, s30
	s_and_saveexec_b32 s17, s13
	s_cbranch_execz .LBB6_16608
.LBB6_16607:                            ;   in Loop: Header=BB6_15906 Depth=3
	v_lshrrev_b16 v37, 2, v165
	v_lshlrev_b32_e32 v38, 24, v165
	s_delay_alu instid0(VALU_DEP_2) | instskip(NEXT) | instid1(VALU_DEP_1)
	v_and_b32_e32 v37, 31, v37
	v_cmp_eq_u32_e32 vcc_lo, 0, v37
	v_and_b32_e32 v26, 3, v165
	s_delay_alu instid0(VALU_DEP_1) | instskip(NEXT) | instid1(VALU_DEP_1)
	v_clz_i32_u32_e32 v27, v26
	v_min_u32_e32 v27, 32, v27
	s_delay_alu instid0(VALU_DEP_1) | instskip(SKIP_1) | instid1(VALU_DEP_1)
	v_subrev_nc_u32_e32 v36, 29, v27
	v_sub_nc_u32_e32 v27, 30, v27
	v_dual_cndmask_b32 v27, v37, v27 :: v_dual_lshlrev_b32 v36, v36, v165
	s_delay_alu instid0(VALU_DEP_1) | instskip(NEXT) | instid1(VALU_DEP_2)
	v_and_b32_e32 v36, 3, v36
	v_lshl_add_u32 v27, v27, 23, 0x37800000
	s_delay_alu instid0(VALU_DEP_2) | instskip(SKIP_1) | instid1(VALU_DEP_2)
	v_cndmask_b32_e32 v26, v26, v36, vcc_lo
	v_and_b32_e32 v36, 0x80000000, v38
	v_lshlrev_b32_e32 v26, 21, v26
	s_delay_alu instid0(VALU_DEP_1)
	v_or3_b32 v26, v36, v27, v26
.LBB6_16608:                            ;   in Loop: Header=BB6_15906 Depth=3
	s_or_b32 exec_lo, exec_lo, s17
	s_waitcnt vmcnt(12) lgkmcnt(12)
	v_and_b32_e32 v36, 0xff, v133
	s_mov_b32 s13, 0
	s_mov_b32 s30, exec_lo
                                        ; implicit-def: $sgpr17
	s_delay_alu instid0(VALU_DEP_1)
	v_cmpx_lt_i16_e32 0x7f, v36
	s_xor_b32 s30, exec_lo, s30
	s_cbranch_execnz .LBB6_17097
; %bb.16609:                            ;   in Loop: Header=BB6_15906 Depth=3
	s_or_saveexec_b32 s30, s30
	v_mov_b32_e32 v27, s17
	s_xor_b32 exec_lo, exec_lo, s30
	s_cbranch_execnz .LBB6_17100
.LBB6_16610:                            ;   in Loop: Header=BB6_15906 Depth=3
	s_or_b32 exec_lo, exec_lo, s30
	s_and_saveexec_b32 s17, s13
	s_cbranch_execz .LBB6_16612
.LBB6_16611:                            ;   in Loop: Header=BB6_15906 Depth=3
	v_lshrrev_b16 v38, 2, v133
	v_lshlrev_b32_e32 v39, 24, v133
	s_delay_alu instid0(VALU_DEP_2) | instskip(NEXT) | instid1(VALU_DEP_1)
	v_and_b32_e32 v38, 31, v38
	v_cmp_eq_u32_e32 vcc_lo, 0, v38
	v_and_b32_e32 v27, 3, v133
	s_delay_alu instid0(VALU_DEP_1) | instskip(NEXT) | instid1(VALU_DEP_1)
	v_clz_i32_u32_e32 v36, v27
	v_min_u32_e32 v36, 32, v36
	s_delay_alu instid0(VALU_DEP_1) | instskip(SKIP_1) | instid1(VALU_DEP_1)
	v_subrev_nc_u32_e32 v37, 29, v36
	v_sub_nc_u32_e32 v36, 30, v36
	v_dual_cndmask_b32 v36, v38, v36 :: v_dual_lshlrev_b32 v37, v37, v133
	s_delay_alu instid0(VALU_DEP_1) | instskip(NEXT) | instid1(VALU_DEP_2)
	v_and_b32_e32 v37, 3, v37
	v_lshl_add_u32 v36, v36, 23, 0x37800000
	s_delay_alu instid0(VALU_DEP_2) | instskip(SKIP_1) | instid1(VALU_DEP_2)
	v_cndmask_b32_e32 v27, v27, v37, vcc_lo
	v_and_b32_e32 v37, 0x80000000, v39
	v_lshlrev_b32_e32 v27, 21, v27
	s_delay_alu instid0(VALU_DEP_1)
	v_or3_b32 v27, v37, v36, v27
.LBB6_16612:                            ;   in Loop: Header=BB6_15906 Depth=3
	s_or_b32 exec_lo, exec_lo, s17
	s_delay_alu instid0(VALU_DEP_1) | instskip(SKIP_1) | instid1(VALU_DEP_1)
	v_dual_add_f32 v26, v26, v27 :: v_dual_mov_b32 v133, 0x80
	s_mov_b32 s17, exec_lo
	v_and_b32_e32 v27, 0x7f800000, v26
	s_delay_alu instid0(VALU_DEP_1)
	v_cmpx_ne_u32_e32 0x7f800000, v27
	s_cbranch_execz .LBB6_16620
; %bb.16613:                            ;   in Loop: Header=BB6_15906 Depth=3
	v_mov_b32_e32 v133, 0
	s_mov_b32 s30, exec_lo
	v_cmpx_ne_u32_e32 0, v26
	s_cbranch_execz .LBB6_16619
; %bb.16614:                            ;   in Loop: Header=BB6_15906 Depth=3
	v_bfe_u32 v27, v26, 23, 8
	s_delay_alu instid0(VALU_DEP_1) | instskip(SKIP_1) | instid1(VALU_DEP_2)
	v_sub_nc_u32_e32 v37, 0x70, v27
	v_cmp_gt_u32_e32 vcc_lo, 0x71, v27
	v_dual_cndmask_b32 v37, 0, v37 :: v_dual_and_b32 v36, 0x7fffff, v26
	s_delay_alu instid0(VALU_DEP_1) | instskip(SKIP_2) | instid1(VALU_DEP_4)
	v_or_b32_e32 v38, 0x800000, v36
	v_cmp_eq_u32_e32 vcc_lo, 0, v27
	v_add_nc_u32_e32 v27, 0xffffff91, v27
	v_cndmask_b32_e64 v37, v37, 0x6f, vcc_lo
	s_delay_alu instid0(VALU_DEP_4) | instskip(NEXT) | instid1(VALU_DEP_3)
	v_cndmask_b32_e32 v36, v38, v36, vcc_lo
	v_cndmask_b32_e64 v27, v27, 0xffffff92, vcc_lo
	s_delay_alu instid0(VALU_DEP_3) | instskip(NEXT) | instid1(VALU_DEP_3)
	v_lshl_add_u32 v38, 0x200000, v37, -1
	v_lshrrev_b32_e32 v39, v37, v36
	v_lshlrev_b32_e64 v49, v37, 0x100000
	s_delay_alu instid0(VALU_DEP_4) | instskip(NEXT) | instid1(VALU_DEP_4)
	v_add_nc_u32_e32 v37, v37, v27
	v_and_b32_e32 v36, v38, v36
	s_delay_alu instid0(VALU_DEP_4) | instskip(NEXT) | instid1(VALU_DEP_2)
	v_bfe_u32 v48, v39, 21, 1
	v_cmp_eq_u32_e64 s13, v36, v49
	s_delay_alu instid0(VALU_DEP_2) | instskip(NEXT) | instid1(VALU_DEP_1)
	v_add_nc_u32_e32 v38, -1, v48
	v_cndmask_b32_e64 v36, 0, v38, s13
	v_lshrrev_b32_e32 v38, 23, v39
	s_mov_b32 s13, exec_lo
	s_delay_alu instid0(VALU_DEP_2) | instskip(NEXT) | instid1(VALU_DEP_2)
	v_add_nc_u32_e32 v36, v36, v39
	v_xor_b32_e32 v38, 1, v38
	s_delay_alu instid0(VALU_DEP_2) | instskip(NEXT) | instid1(VALU_DEP_1)
	v_and_b32_e32 v27, 0x1fffff, v36
	v_add_nc_u32_e32 v36, v27, v39
                                        ; implicit-def: $vgpr27
	s_delay_alu instid0(VALU_DEP_3)
	v_cmpx_ne_u32_e64 v37, v38
	s_xor_b32 s13, exec_lo, s13
; %bb.16615:                            ;   in Loop: Header=BB6_15906 Depth=3
	s_delay_alu instid0(VALU_DEP_2) | instskip(SKIP_2) | instid1(VALU_DEP_2)
	v_cmp_lt_u32_e32 vcc_lo, 0xffffff, v36
	v_sub_nc_u32_e32 v27, v37, v38
	v_cndmask_b32_e64 v37, 0, 1, vcc_lo
	v_add_co_ci_u32_e32 v27, vcc_lo, 0, v27, vcc_lo
	s_delay_alu instid0(VALU_DEP_2)
	v_lshrrev_b32_e32 v36, v37, v36
; %bb.16616:                            ;   in Loop: Header=BB6_15906 Depth=3
	s_and_not1_saveexec_b32 s13, s13
; %bb.16617:                            ;   in Loop: Header=BB6_15906 Depth=3
	s_delay_alu instid0(VALU_DEP_1)
	v_bfe_u32 v27, v36, 23, 1
; %bb.16618:                            ;   in Loop: Header=BB6_15906 Depth=3
	s_or_b32 exec_lo, exec_lo, s13
	v_lshrrev_b32_e32 v36, 21, v36
	s_delay_alu instid0(VALU_DEP_2) | instskip(SKIP_2) | instid1(VALU_DEP_2)
	v_cmp_gt_i32_e32 vcc_lo, 32, v27
	v_min_i32_e32 v37, 31, v27
	v_lshrrev_b32_e32 v26, 24, v26
	v_dual_cndmask_b32 v36, 3, v36 :: v_dual_lshlrev_b32 v37, 2, v37
	s_delay_alu instid0(VALU_DEP_2) | instskip(NEXT) | instid1(VALU_DEP_2)
	v_and_b32_e32 v26, 0x80, v26
	v_or_b32_e32 v27, v27, v36
	s_delay_alu instid0(VALU_DEP_1) | instskip(SKIP_1) | instid1(VALU_DEP_1)
	v_cmp_ne_u32_e32 vcc_lo, 0, v27
	v_and_b32_e32 v38, 3, v36
	v_or3_b32 v26, v37, v26, v38
	s_delay_alu instid0(VALU_DEP_1)
	v_cndmask_b32_e32 v133, 0, v26, vcc_lo
.LBB6_16619:                            ;   in Loop: Header=BB6_15906 Depth=3
	s_or_b32 exec_lo, exec_lo, s30
.LBB6_16620:                            ;   in Loop: Header=BB6_15906 Depth=3
	s_delay_alu instid0(SALU_CYCLE_1) | instskip(SKIP_3) | instid1(VALU_DEP_1)
	s_or_b32 exec_lo, exec_lo, s17
	v_and_b32_e32 v27, 0xff, v164
	s_mov_b32 s13, 0
	s_mov_b32 s30, exec_lo
                                        ; implicit-def: $sgpr17
	v_cmpx_lt_i16_e32 0x7f, v27
	s_xor_b32 s30, exec_lo, s30
	s_cbranch_execnz .LBB6_17101
; %bb.16621:                            ;   in Loop: Header=BB6_15906 Depth=3
	s_or_saveexec_b32 s30, s30
	v_mov_b32_e32 v26, s17
	s_xor_b32 exec_lo, exec_lo, s30
	s_cbranch_execnz .LBB6_17104
.LBB6_16622:                            ;   in Loop: Header=BB6_15906 Depth=3
	s_or_b32 exec_lo, exec_lo, s30
	s_and_saveexec_b32 s17, s13
	s_cbranch_execz .LBB6_16624
.LBB6_16623:                            ;   in Loop: Header=BB6_15906 Depth=3
	v_lshrrev_b16 v37, 2, v164
	v_lshlrev_b32_e32 v38, 24, v164
	s_delay_alu instid0(VALU_DEP_2) | instskip(NEXT) | instid1(VALU_DEP_1)
	v_and_b32_e32 v37, 31, v37
	v_cmp_eq_u32_e32 vcc_lo, 0, v37
	v_and_b32_e32 v26, 3, v164
	s_delay_alu instid0(VALU_DEP_1) | instskip(NEXT) | instid1(VALU_DEP_1)
	v_clz_i32_u32_e32 v27, v26
	v_min_u32_e32 v27, 32, v27
	s_delay_alu instid0(VALU_DEP_1) | instskip(SKIP_1) | instid1(VALU_DEP_1)
	v_subrev_nc_u32_e32 v36, 29, v27
	v_sub_nc_u32_e32 v27, 30, v27
	v_dual_cndmask_b32 v27, v37, v27 :: v_dual_lshlrev_b32 v36, v36, v164
	s_delay_alu instid0(VALU_DEP_1) | instskip(NEXT) | instid1(VALU_DEP_2)
	v_and_b32_e32 v36, 3, v36
	v_lshl_add_u32 v27, v27, 23, 0x37800000
	s_delay_alu instid0(VALU_DEP_2) | instskip(SKIP_1) | instid1(VALU_DEP_2)
	v_cndmask_b32_e32 v26, v26, v36, vcc_lo
	v_and_b32_e32 v36, 0x80000000, v38
	v_lshlrev_b32_e32 v26, 21, v26
	s_delay_alu instid0(VALU_DEP_1)
	v_or3_b32 v26, v36, v27, v26
.LBB6_16624:                            ;   in Loop: Header=BB6_15906 Depth=3
	s_or_b32 exec_lo, exec_lo, s17
	s_waitcnt vmcnt(11) lgkmcnt(11)
	v_and_b32_e32 v36, 0xff, v60
	s_mov_b32 s13, 0
	s_mov_b32 s30, exec_lo
                                        ; implicit-def: $sgpr17
	s_delay_alu instid0(VALU_DEP_1)
	v_cmpx_lt_i16_e32 0x7f, v36
	s_xor_b32 s30, exec_lo, s30
	s_cbranch_execnz .LBB6_17105
; %bb.16625:                            ;   in Loop: Header=BB6_15906 Depth=3
	s_or_saveexec_b32 s30, s30
	v_mov_b32_e32 v27, s17
	s_xor_b32 exec_lo, exec_lo, s30
	s_cbranch_execnz .LBB6_17108
.LBB6_16626:                            ;   in Loop: Header=BB6_15906 Depth=3
	s_or_b32 exec_lo, exec_lo, s30
	s_and_saveexec_b32 s17, s13
	s_cbranch_execz .LBB6_16628
.LBB6_16627:                            ;   in Loop: Header=BB6_15906 Depth=3
	v_and_b32_e32 v27, 3, v60
	v_lshrrev_b16 v38, 2, v60
	v_lshlrev_b32_e32 v39, 24, v60
	s_delay_alu instid0(VALU_DEP_3) | instskip(NEXT) | instid1(VALU_DEP_1)
	v_clz_i32_u32_e32 v36, v27
	v_min_u32_e32 v36, 32, v36
	s_delay_alu instid0(VALU_DEP_1) | instskip(SKIP_1) | instid1(VALU_DEP_2)
	v_subrev_nc_u32_e32 v37, 29, v36
	v_sub_nc_u32_e32 v36, 30, v36
	v_lshlrev_b32_e32 v37, v37, v60
	s_delay_alu instid0(VALU_DEP_1) | instskip(SKIP_1) | instid1(VALU_DEP_1)
	v_and_b32_e32 v37, 3, v37
	v_and_b32_e32 v38, 31, v38
	v_cmp_eq_u32_e32 vcc_lo, 0, v38
	s_delay_alu instid0(VALU_DEP_3) | instskip(SKIP_1) | instid1(VALU_DEP_2)
	v_dual_cndmask_b32 v27, v27, v37 :: v_dual_cndmask_b32 v36, v38, v36
	v_and_b32_e32 v37, 0x80000000, v39
	v_lshlrev_b32_e32 v27, 21, v27
	s_delay_alu instid0(VALU_DEP_3) | instskip(NEXT) | instid1(VALU_DEP_1)
	v_lshl_add_u32 v36, v36, 23, 0x37800000
	v_or3_b32 v27, v37, v36, v27
.LBB6_16628:                            ;   in Loop: Header=BB6_15906 Depth=3
	s_or_b32 exec_lo, exec_lo, s17
	s_delay_alu instid0(VALU_DEP_1) | instskip(SKIP_1) | instid1(VALU_DEP_1)
	v_dual_add_f32 v26, v26, v27 :: v_dual_mov_b32 v129, 0x80
	s_mov_b32 s17, exec_lo
	v_and_b32_e32 v27, 0x7f800000, v26
	s_delay_alu instid0(VALU_DEP_1)
	v_cmpx_ne_u32_e32 0x7f800000, v27
	s_cbranch_execz .LBB6_16636
; %bb.16629:                            ;   in Loop: Header=BB6_15906 Depth=3
	v_mov_b32_e32 v129, 0
	s_mov_b32 s30, exec_lo
	v_cmpx_ne_u32_e32 0, v26
	s_cbranch_execz .LBB6_16635
; %bb.16630:                            ;   in Loop: Header=BB6_15906 Depth=3
	v_bfe_u32 v27, v26, 23, 8
	s_delay_alu instid0(VALU_DEP_1) | instskip(SKIP_1) | instid1(VALU_DEP_2)
	v_sub_nc_u32_e32 v37, 0x70, v27
	v_cmp_gt_u32_e32 vcc_lo, 0x71, v27
	v_dual_cndmask_b32 v37, 0, v37 :: v_dual_and_b32 v36, 0x7fffff, v26
	s_delay_alu instid0(VALU_DEP_1) | instskip(SKIP_2) | instid1(VALU_DEP_4)
	v_or_b32_e32 v38, 0x800000, v36
	v_cmp_eq_u32_e32 vcc_lo, 0, v27
	v_add_nc_u32_e32 v27, 0xffffff91, v27
	v_cndmask_b32_e64 v37, v37, 0x6f, vcc_lo
	s_delay_alu instid0(VALU_DEP_4) | instskip(NEXT) | instid1(VALU_DEP_3)
	v_cndmask_b32_e32 v36, v38, v36, vcc_lo
	v_cndmask_b32_e64 v27, v27, 0xffffff92, vcc_lo
	s_delay_alu instid0(VALU_DEP_3) | instskip(NEXT) | instid1(VALU_DEP_3)
	v_lshl_add_u32 v38, 0x200000, v37, -1
	v_lshrrev_b32_e32 v39, v37, v36
	v_lshlrev_b32_e64 v49, v37, 0x100000
	s_delay_alu instid0(VALU_DEP_4) | instskip(NEXT) | instid1(VALU_DEP_4)
	v_add_nc_u32_e32 v37, v37, v27
	v_and_b32_e32 v36, v38, v36
	s_delay_alu instid0(VALU_DEP_4) | instskip(NEXT) | instid1(VALU_DEP_2)
	v_bfe_u32 v48, v39, 21, 1
	v_cmp_eq_u32_e64 s13, v36, v49
	s_delay_alu instid0(VALU_DEP_2) | instskip(NEXT) | instid1(VALU_DEP_1)
	v_add_nc_u32_e32 v38, -1, v48
	v_cndmask_b32_e64 v36, 0, v38, s13
	v_lshrrev_b32_e32 v38, 23, v39
	s_mov_b32 s13, exec_lo
	s_delay_alu instid0(VALU_DEP_2) | instskip(NEXT) | instid1(VALU_DEP_2)
	v_add_nc_u32_e32 v36, v36, v39
	v_xor_b32_e32 v38, 1, v38
	s_delay_alu instid0(VALU_DEP_2) | instskip(NEXT) | instid1(VALU_DEP_1)
	v_and_b32_e32 v27, 0x1fffff, v36
	v_add_nc_u32_e32 v36, v27, v39
                                        ; implicit-def: $vgpr27
	s_delay_alu instid0(VALU_DEP_3)
	v_cmpx_ne_u32_e64 v37, v38
	s_xor_b32 s13, exec_lo, s13
; %bb.16631:                            ;   in Loop: Header=BB6_15906 Depth=3
	s_delay_alu instid0(VALU_DEP_2) | instskip(SKIP_2) | instid1(VALU_DEP_2)
	v_cmp_lt_u32_e32 vcc_lo, 0xffffff, v36
	v_sub_nc_u32_e32 v27, v37, v38
	v_cndmask_b32_e64 v37, 0, 1, vcc_lo
	v_add_co_ci_u32_e32 v27, vcc_lo, 0, v27, vcc_lo
	s_delay_alu instid0(VALU_DEP_2)
	v_lshrrev_b32_e32 v36, v37, v36
; %bb.16632:                            ;   in Loop: Header=BB6_15906 Depth=3
	s_and_not1_saveexec_b32 s13, s13
; %bb.16633:                            ;   in Loop: Header=BB6_15906 Depth=3
	s_delay_alu instid0(VALU_DEP_1)
	v_bfe_u32 v27, v36, 23, 1
; %bb.16634:                            ;   in Loop: Header=BB6_15906 Depth=3
	s_or_b32 exec_lo, exec_lo, s13
	v_lshrrev_b32_e32 v36, 21, v36
	s_delay_alu instid0(VALU_DEP_2) | instskip(SKIP_2) | instid1(VALU_DEP_2)
	v_cmp_gt_i32_e32 vcc_lo, 32, v27
	v_min_i32_e32 v37, 31, v27
	v_lshrrev_b32_e32 v26, 24, v26
	v_dual_cndmask_b32 v36, 3, v36 :: v_dual_lshlrev_b32 v37, 2, v37
	s_delay_alu instid0(VALU_DEP_2) | instskip(NEXT) | instid1(VALU_DEP_2)
	v_and_b32_e32 v26, 0x80, v26
	v_or_b32_e32 v27, v27, v36
	s_delay_alu instid0(VALU_DEP_1) | instskip(SKIP_1) | instid1(VALU_DEP_1)
	v_cmp_ne_u32_e32 vcc_lo, 0, v27
	v_and_b32_e32 v38, 3, v36
	v_or3_b32 v26, v37, v26, v38
	s_delay_alu instid0(VALU_DEP_1)
	v_cndmask_b32_e32 v129, 0, v26, vcc_lo
.LBB6_16635:                            ;   in Loop: Header=BB6_15906 Depth=3
	s_or_b32 exec_lo, exec_lo, s30
.LBB6_16636:                            ;   in Loop: Header=BB6_15906 Depth=3
	s_delay_alu instid0(SALU_CYCLE_1) | instskip(SKIP_3) | instid1(VALU_DEP_1)
	s_or_b32 exec_lo, exec_lo, s17
	v_and_b32_e32 v27, 0xff, v162
	s_mov_b32 s13, 0
	s_mov_b32 s30, exec_lo
                                        ; implicit-def: $sgpr17
	v_cmpx_lt_i16_e32 0x7f, v27
	s_xor_b32 s30, exec_lo, s30
	s_cbranch_execnz .LBB6_17109
; %bb.16637:                            ;   in Loop: Header=BB6_15906 Depth=3
	s_or_saveexec_b32 s30, s30
	v_mov_b32_e32 v26, s17
	s_xor_b32 exec_lo, exec_lo, s30
	s_cbranch_execnz .LBB6_17112
.LBB6_16638:                            ;   in Loop: Header=BB6_15906 Depth=3
	s_or_b32 exec_lo, exec_lo, s30
	s_and_saveexec_b32 s17, s13
	s_cbranch_execz .LBB6_16640
.LBB6_16639:                            ;   in Loop: Header=BB6_15906 Depth=3
	v_lshrrev_b16 v37, 2, v162
	v_lshlrev_b32_e32 v38, 24, v162
	s_delay_alu instid0(VALU_DEP_2) | instskip(NEXT) | instid1(VALU_DEP_1)
	v_and_b32_e32 v37, 31, v37
	v_cmp_eq_u32_e32 vcc_lo, 0, v37
	v_and_b32_e32 v26, 3, v162
	s_delay_alu instid0(VALU_DEP_1) | instskip(NEXT) | instid1(VALU_DEP_1)
	v_clz_i32_u32_e32 v27, v26
	v_min_u32_e32 v27, 32, v27
	s_delay_alu instid0(VALU_DEP_1) | instskip(SKIP_1) | instid1(VALU_DEP_1)
	v_subrev_nc_u32_e32 v36, 29, v27
	v_sub_nc_u32_e32 v27, 30, v27
	v_dual_cndmask_b32 v27, v37, v27 :: v_dual_lshlrev_b32 v36, v36, v162
	s_delay_alu instid0(VALU_DEP_1) | instskip(NEXT) | instid1(VALU_DEP_2)
	v_and_b32_e32 v36, 3, v36
	v_lshl_add_u32 v27, v27, 23, 0x37800000
	s_delay_alu instid0(VALU_DEP_2) | instskip(SKIP_1) | instid1(VALU_DEP_2)
	v_cndmask_b32_e32 v26, v26, v36, vcc_lo
	v_and_b32_e32 v36, 0x80000000, v38
	v_lshlrev_b32_e32 v26, 21, v26
	s_delay_alu instid0(VALU_DEP_1)
	v_or3_b32 v26, v36, v27, v26
.LBB6_16640:                            ;   in Loop: Header=BB6_15906 Depth=3
	s_or_b32 exec_lo, exec_lo, s17
	s_waitcnt vmcnt(10) lgkmcnt(10)
	v_and_b32_e32 v36, 0xff, v59
	s_mov_b32 s13, 0
	s_mov_b32 s30, exec_lo
                                        ; implicit-def: $sgpr17
	s_delay_alu instid0(VALU_DEP_1)
	v_cmpx_lt_i16_e32 0x7f, v36
	s_xor_b32 s30, exec_lo, s30
	s_cbranch_execnz .LBB6_17113
; %bb.16641:                            ;   in Loop: Header=BB6_15906 Depth=3
	s_or_saveexec_b32 s30, s30
	v_mov_b32_e32 v27, s17
	s_xor_b32 exec_lo, exec_lo, s30
	s_cbranch_execnz .LBB6_17116
.LBB6_16642:                            ;   in Loop: Header=BB6_15906 Depth=3
	s_or_b32 exec_lo, exec_lo, s30
	s_and_saveexec_b32 s17, s13
	s_cbranch_execz .LBB6_16644
.LBB6_16643:                            ;   in Loop: Header=BB6_15906 Depth=3
	v_lshrrev_b16 v38, 2, v59
	v_lshlrev_b32_e32 v39, 24, v59
	s_delay_alu instid0(VALU_DEP_2) | instskip(NEXT) | instid1(VALU_DEP_1)
	v_and_b32_e32 v38, 31, v38
	v_cmp_eq_u32_e32 vcc_lo, 0, v38
	v_and_b32_e32 v27, 3, v59
	s_delay_alu instid0(VALU_DEP_1) | instskip(NEXT) | instid1(VALU_DEP_1)
	v_clz_i32_u32_e32 v36, v27
	v_min_u32_e32 v36, 32, v36
	s_delay_alu instid0(VALU_DEP_1) | instskip(SKIP_1) | instid1(VALU_DEP_1)
	v_subrev_nc_u32_e32 v37, 29, v36
	v_sub_nc_u32_e32 v36, 30, v36
	v_dual_cndmask_b32 v36, v38, v36 :: v_dual_lshlrev_b32 v37, v37, v59
	s_delay_alu instid0(VALU_DEP_1) | instskip(NEXT) | instid1(VALU_DEP_2)
	v_and_b32_e32 v37, 3, v37
	v_lshl_add_u32 v36, v36, 23, 0x37800000
	s_delay_alu instid0(VALU_DEP_2) | instskip(SKIP_1) | instid1(VALU_DEP_2)
	v_cndmask_b32_e32 v27, v27, v37, vcc_lo
	v_and_b32_e32 v37, 0x80000000, v39
	v_lshlrev_b32_e32 v27, 21, v27
	s_delay_alu instid0(VALU_DEP_1)
	v_or3_b32 v27, v37, v36, v27
.LBB6_16644:                            ;   in Loop: Header=BB6_15906 Depth=3
	s_or_b32 exec_lo, exec_lo, s17
	s_delay_alu instid0(VALU_DEP_1) | instskip(SKIP_2) | instid1(VALU_DEP_2)
	v_add_f32_e32 v26, v26, v27
	v_mov_b32_e32 v132, 0x80
	s_mov_b32 s17, exec_lo
	v_and_b32_e32 v27, 0x7f800000, v26
	s_delay_alu instid0(VALU_DEP_1)
	v_cmpx_ne_u32_e32 0x7f800000, v27
	s_cbranch_execz .LBB6_16652
; %bb.16645:                            ;   in Loop: Header=BB6_15906 Depth=3
	v_mov_b32_e32 v132, 0
	s_mov_b32 s30, exec_lo
	v_cmpx_ne_u32_e32 0, v26
	s_cbranch_execz .LBB6_16651
; %bb.16646:                            ;   in Loop: Header=BB6_15906 Depth=3
	v_bfe_u32 v27, v26, 23, 8
	s_delay_alu instid0(VALU_DEP_1) | instskip(SKIP_1) | instid1(VALU_DEP_2)
	v_sub_nc_u32_e32 v37, 0x70, v27
	v_cmp_gt_u32_e32 vcc_lo, 0x71, v27
	v_dual_cndmask_b32 v37, 0, v37 :: v_dual_and_b32 v36, 0x7fffff, v26
	s_delay_alu instid0(VALU_DEP_1) | instskip(SKIP_2) | instid1(VALU_DEP_4)
	v_or_b32_e32 v38, 0x800000, v36
	v_cmp_eq_u32_e32 vcc_lo, 0, v27
	v_add_nc_u32_e32 v27, 0xffffff91, v27
	v_cndmask_b32_e64 v37, v37, 0x6f, vcc_lo
	s_delay_alu instid0(VALU_DEP_4) | instskip(NEXT) | instid1(VALU_DEP_3)
	v_cndmask_b32_e32 v36, v38, v36, vcc_lo
	v_cndmask_b32_e64 v27, v27, 0xffffff92, vcc_lo
	s_delay_alu instid0(VALU_DEP_3) | instskip(NEXT) | instid1(VALU_DEP_3)
	v_lshl_add_u32 v38, 0x200000, v37, -1
	v_lshrrev_b32_e32 v39, v37, v36
	v_lshlrev_b32_e64 v49, v37, 0x100000
	s_delay_alu instid0(VALU_DEP_4) | instskip(NEXT) | instid1(VALU_DEP_4)
	v_add_nc_u32_e32 v37, v37, v27
	v_and_b32_e32 v36, v38, v36
	s_delay_alu instid0(VALU_DEP_4) | instskip(NEXT) | instid1(VALU_DEP_2)
	v_bfe_u32 v48, v39, 21, 1
	v_cmp_eq_u32_e64 s13, v36, v49
	s_delay_alu instid0(VALU_DEP_2) | instskip(NEXT) | instid1(VALU_DEP_1)
	v_add_nc_u32_e32 v38, -1, v48
	v_cndmask_b32_e64 v36, 0, v38, s13
	v_lshrrev_b32_e32 v38, 23, v39
	s_mov_b32 s13, exec_lo
	s_delay_alu instid0(VALU_DEP_2) | instskip(NEXT) | instid1(VALU_DEP_2)
	v_add_nc_u32_e32 v36, v36, v39
	v_xor_b32_e32 v38, 1, v38
	s_delay_alu instid0(VALU_DEP_2) | instskip(NEXT) | instid1(VALU_DEP_1)
	v_and_b32_e32 v27, 0x1fffff, v36
	v_add_nc_u32_e32 v36, v27, v39
                                        ; implicit-def: $vgpr27
	s_delay_alu instid0(VALU_DEP_3)
	v_cmpx_ne_u32_e64 v37, v38
	s_xor_b32 s13, exec_lo, s13
; %bb.16647:                            ;   in Loop: Header=BB6_15906 Depth=3
	s_delay_alu instid0(VALU_DEP_2) | instskip(SKIP_2) | instid1(VALU_DEP_2)
	v_cmp_lt_u32_e32 vcc_lo, 0xffffff, v36
	v_sub_nc_u32_e32 v27, v37, v38
	v_cndmask_b32_e64 v37, 0, 1, vcc_lo
	v_add_co_ci_u32_e32 v27, vcc_lo, 0, v27, vcc_lo
	s_delay_alu instid0(VALU_DEP_2)
	v_lshrrev_b32_e32 v36, v37, v36
; %bb.16648:                            ;   in Loop: Header=BB6_15906 Depth=3
	s_and_not1_saveexec_b32 s13, s13
; %bb.16649:                            ;   in Loop: Header=BB6_15906 Depth=3
	s_delay_alu instid0(VALU_DEP_1)
	v_bfe_u32 v27, v36, 23, 1
; %bb.16650:                            ;   in Loop: Header=BB6_15906 Depth=3
	s_or_b32 exec_lo, exec_lo, s13
	v_lshrrev_b32_e32 v36, 21, v36
	s_delay_alu instid0(VALU_DEP_2) | instskip(SKIP_2) | instid1(VALU_DEP_4)
	v_cmp_gt_i32_e32 vcc_lo, 32, v27
	v_lshrrev_b32_e32 v26, 24, v26
	v_min_i32_e32 v37, 31, v27
	v_cndmask_b32_e32 v36, 3, v36, vcc_lo
	s_delay_alu instid0(VALU_DEP_3) | instskip(NEXT) | instid1(VALU_DEP_3)
	v_and_b32_e32 v26, 0x80, v26
	v_lshlrev_b32_e32 v37, 2, v37
	s_delay_alu instid0(VALU_DEP_3) | instskip(SKIP_1) | instid1(VALU_DEP_2)
	v_and_b32_e32 v38, 3, v36
	v_or_b32_e32 v27, v27, v36
	v_or3_b32 v26, v37, v26, v38
	s_delay_alu instid0(VALU_DEP_2) | instskip(NEXT) | instid1(VALU_DEP_2)
	v_cmp_ne_u32_e32 vcc_lo, 0, v27
	v_cndmask_b32_e32 v132, 0, v26, vcc_lo
.LBB6_16651:                            ;   in Loop: Header=BB6_15906 Depth=3
	s_or_b32 exec_lo, exec_lo, s30
.LBB6_16652:                            ;   in Loop: Header=BB6_15906 Depth=3
	s_delay_alu instid0(SALU_CYCLE_1) | instskip(SKIP_3) | instid1(VALU_DEP_1)
	s_or_b32 exec_lo, exec_lo, s17
	v_and_b32_e32 v27, 0xff, v161
	s_mov_b32 s13, 0
	s_mov_b32 s30, exec_lo
                                        ; implicit-def: $sgpr17
	v_cmpx_lt_i16_e32 0x7f, v27
	s_xor_b32 s30, exec_lo, s30
	s_cbranch_execnz .LBB6_17117
; %bb.16653:                            ;   in Loop: Header=BB6_15906 Depth=3
	s_or_saveexec_b32 s30, s30
	v_mov_b32_e32 v26, s17
	s_xor_b32 exec_lo, exec_lo, s30
	s_cbranch_execnz .LBB6_17120
.LBB6_16654:                            ;   in Loop: Header=BB6_15906 Depth=3
	s_or_b32 exec_lo, exec_lo, s30
	s_and_saveexec_b32 s17, s13
	s_cbranch_execz .LBB6_16656
.LBB6_16655:                            ;   in Loop: Header=BB6_15906 Depth=3
	v_lshrrev_b16 v37, 2, v161
	v_lshlrev_b32_e32 v38, 24, v161
	s_delay_alu instid0(VALU_DEP_2) | instskip(NEXT) | instid1(VALU_DEP_1)
	v_and_b32_e32 v37, 31, v37
	v_cmp_eq_u32_e32 vcc_lo, 0, v37
	v_and_b32_e32 v26, 3, v161
	s_delay_alu instid0(VALU_DEP_1) | instskip(NEXT) | instid1(VALU_DEP_1)
	v_clz_i32_u32_e32 v27, v26
	v_min_u32_e32 v27, 32, v27
	s_delay_alu instid0(VALU_DEP_1) | instskip(SKIP_1) | instid1(VALU_DEP_1)
	v_subrev_nc_u32_e32 v36, 29, v27
	v_sub_nc_u32_e32 v27, 30, v27
	v_dual_cndmask_b32 v27, v37, v27 :: v_dual_lshlrev_b32 v36, v36, v161
	s_delay_alu instid0(VALU_DEP_1) | instskip(NEXT) | instid1(VALU_DEP_2)
	v_and_b32_e32 v36, 3, v36
	v_lshl_add_u32 v27, v27, 23, 0x37800000
	s_delay_alu instid0(VALU_DEP_2) | instskip(SKIP_1) | instid1(VALU_DEP_2)
	v_cndmask_b32_e32 v26, v26, v36, vcc_lo
	v_and_b32_e32 v36, 0x80000000, v38
	v_lshlrev_b32_e32 v26, 21, v26
	s_delay_alu instid0(VALU_DEP_1)
	v_or3_b32 v26, v36, v27, v26
.LBB6_16656:                            ;   in Loop: Header=BB6_15906 Depth=3
	s_or_b32 exec_lo, exec_lo, s17
	s_waitcnt vmcnt(9) lgkmcnt(9)
	v_and_b32_e32 v36, 0xff, v58
	s_mov_b32 s13, 0
	s_mov_b32 s30, exec_lo
                                        ; implicit-def: $sgpr17
	s_delay_alu instid0(VALU_DEP_1)
	v_cmpx_lt_i16_e32 0x7f, v36
	s_xor_b32 s30, exec_lo, s30
	s_cbranch_execnz .LBB6_17121
; %bb.16657:                            ;   in Loop: Header=BB6_15906 Depth=3
	s_or_saveexec_b32 s30, s30
	v_mov_b32_e32 v27, s17
	s_xor_b32 exec_lo, exec_lo, s30
	s_cbranch_execnz .LBB6_17124
.LBB6_16658:                            ;   in Loop: Header=BB6_15906 Depth=3
	s_or_b32 exec_lo, exec_lo, s30
	s_and_saveexec_b32 s17, s13
	s_cbranch_execz .LBB6_16660
.LBB6_16659:                            ;   in Loop: Header=BB6_15906 Depth=3
	v_lshrrev_b16 v38, 2, v58
	v_lshlrev_b32_e32 v39, 24, v58
	s_delay_alu instid0(VALU_DEP_2) | instskip(NEXT) | instid1(VALU_DEP_1)
	v_and_b32_e32 v38, 31, v38
	v_cmp_eq_u32_e32 vcc_lo, 0, v38
	v_and_b32_e32 v27, 3, v58
	s_delay_alu instid0(VALU_DEP_1) | instskip(NEXT) | instid1(VALU_DEP_1)
	v_clz_i32_u32_e32 v36, v27
	v_min_u32_e32 v36, 32, v36
	s_delay_alu instid0(VALU_DEP_1) | instskip(SKIP_1) | instid1(VALU_DEP_1)
	v_subrev_nc_u32_e32 v37, 29, v36
	v_sub_nc_u32_e32 v36, 30, v36
	v_dual_cndmask_b32 v36, v38, v36 :: v_dual_lshlrev_b32 v37, v37, v58
	s_delay_alu instid0(VALU_DEP_1) | instskip(NEXT) | instid1(VALU_DEP_2)
	v_and_b32_e32 v37, 3, v37
	v_lshl_add_u32 v36, v36, 23, 0x37800000
	s_delay_alu instid0(VALU_DEP_2) | instskip(SKIP_1) | instid1(VALU_DEP_2)
	v_cndmask_b32_e32 v27, v27, v37, vcc_lo
	v_and_b32_e32 v37, 0x80000000, v39
	v_lshlrev_b32_e32 v27, 21, v27
	s_delay_alu instid0(VALU_DEP_1)
	v_or3_b32 v27, v37, v36, v27
.LBB6_16660:                            ;   in Loop: Header=BB6_15906 Depth=3
	s_or_b32 exec_lo, exec_lo, s17
	s_delay_alu instid0(VALU_DEP_1) | instskip(SKIP_1) | instid1(VALU_DEP_1)
	v_dual_add_f32 v26, v26, v27 :: v_dual_mov_b32 v115, 0x80
	s_mov_b32 s17, exec_lo
	v_and_b32_e32 v27, 0x7f800000, v26
	s_delay_alu instid0(VALU_DEP_1)
	v_cmpx_ne_u32_e32 0x7f800000, v27
	s_cbranch_execz .LBB6_16668
; %bb.16661:                            ;   in Loop: Header=BB6_15906 Depth=3
	v_mov_b32_e32 v115, 0
	s_mov_b32 s30, exec_lo
	v_cmpx_ne_u32_e32 0, v26
	s_cbranch_execz .LBB6_16667
; %bb.16662:                            ;   in Loop: Header=BB6_15906 Depth=3
	v_bfe_u32 v27, v26, 23, 8
	s_delay_alu instid0(VALU_DEP_1) | instskip(SKIP_1) | instid1(VALU_DEP_2)
	v_sub_nc_u32_e32 v37, 0x70, v27
	v_cmp_gt_u32_e32 vcc_lo, 0x71, v27
	v_dual_cndmask_b32 v37, 0, v37 :: v_dual_and_b32 v36, 0x7fffff, v26
	s_delay_alu instid0(VALU_DEP_1) | instskip(SKIP_2) | instid1(VALU_DEP_4)
	v_or_b32_e32 v38, 0x800000, v36
	v_cmp_eq_u32_e32 vcc_lo, 0, v27
	v_add_nc_u32_e32 v27, 0xffffff91, v27
	v_cndmask_b32_e64 v37, v37, 0x6f, vcc_lo
	s_delay_alu instid0(VALU_DEP_4) | instskip(NEXT) | instid1(VALU_DEP_3)
	v_cndmask_b32_e32 v36, v38, v36, vcc_lo
	v_cndmask_b32_e64 v27, v27, 0xffffff92, vcc_lo
	s_delay_alu instid0(VALU_DEP_3) | instskip(NEXT) | instid1(VALU_DEP_3)
	v_lshl_add_u32 v38, 0x200000, v37, -1
	v_lshrrev_b32_e32 v39, v37, v36
	v_lshlrev_b32_e64 v49, v37, 0x100000
	s_delay_alu instid0(VALU_DEP_4) | instskip(NEXT) | instid1(VALU_DEP_4)
	v_add_nc_u32_e32 v37, v37, v27
	v_and_b32_e32 v36, v38, v36
	s_delay_alu instid0(VALU_DEP_4) | instskip(NEXT) | instid1(VALU_DEP_2)
	v_bfe_u32 v48, v39, 21, 1
	v_cmp_eq_u32_e64 s13, v36, v49
	s_delay_alu instid0(VALU_DEP_2) | instskip(NEXT) | instid1(VALU_DEP_1)
	v_add_nc_u32_e32 v38, -1, v48
	v_cndmask_b32_e64 v36, 0, v38, s13
	v_lshrrev_b32_e32 v38, 23, v39
	s_mov_b32 s13, exec_lo
	s_delay_alu instid0(VALU_DEP_2) | instskip(NEXT) | instid1(VALU_DEP_2)
	v_add_nc_u32_e32 v36, v36, v39
	v_xor_b32_e32 v38, 1, v38
	s_delay_alu instid0(VALU_DEP_2) | instskip(NEXT) | instid1(VALU_DEP_1)
	v_and_b32_e32 v27, 0x1fffff, v36
	v_add_nc_u32_e32 v36, v27, v39
                                        ; implicit-def: $vgpr27
	s_delay_alu instid0(VALU_DEP_3)
	v_cmpx_ne_u32_e64 v37, v38
	s_xor_b32 s13, exec_lo, s13
; %bb.16663:                            ;   in Loop: Header=BB6_15906 Depth=3
	s_delay_alu instid0(VALU_DEP_2) | instskip(SKIP_2) | instid1(VALU_DEP_2)
	v_cmp_lt_u32_e32 vcc_lo, 0xffffff, v36
	v_sub_nc_u32_e32 v27, v37, v38
	v_cndmask_b32_e64 v37, 0, 1, vcc_lo
	v_add_co_ci_u32_e32 v27, vcc_lo, 0, v27, vcc_lo
	s_delay_alu instid0(VALU_DEP_2)
	v_lshrrev_b32_e32 v36, v37, v36
; %bb.16664:                            ;   in Loop: Header=BB6_15906 Depth=3
	s_and_not1_saveexec_b32 s13, s13
; %bb.16665:                            ;   in Loop: Header=BB6_15906 Depth=3
	s_delay_alu instid0(VALU_DEP_1)
	v_bfe_u32 v27, v36, 23, 1
; %bb.16666:                            ;   in Loop: Header=BB6_15906 Depth=3
	s_or_b32 exec_lo, exec_lo, s13
	v_lshrrev_b32_e32 v36, 21, v36
	s_delay_alu instid0(VALU_DEP_2) | instskip(SKIP_2) | instid1(VALU_DEP_2)
	v_cmp_gt_i32_e32 vcc_lo, 32, v27
	v_min_i32_e32 v37, 31, v27
	v_lshrrev_b32_e32 v26, 24, v26
	v_dual_cndmask_b32 v36, 3, v36 :: v_dual_lshlrev_b32 v37, 2, v37
	s_delay_alu instid0(VALU_DEP_2) | instskip(NEXT) | instid1(VALU_DEP_2)
	v_and_b32_e32 v26, 0x80, v26
	v_or_b32_e32 v27, v27, v36
	s_delay_alu instid0(VALU_DEP_1) | instskip(SKIP_1) | instid1(VALU_DEP_1)
	v_cmp_ne_u32_e32 vcc_lo, 0, v27
	v_and_b32_e32 v38, 3, v36
	v_or3_b32 v26, v37, v26, v38
	s_delay_alu instid0(VALU_DEP_1)
	v_cndmask_b32_e32 v115, 0, v26, vcc_lo
.LBB6_16667:                            ;   in Loop: Header=BB6_15906 Depth=3
	s_or_b32 exec_lo, exec_lo, s30
.LBB6_16668:                            ;   in Loop: Header=BB6_15906 Depth=3
	s_delay_alu instid0(SALU_CYCLE_1) | instskip(SKIP_3) | instid1(VALU_DEP_1)
	s_or_b32 exec_lo, exec_lo, s17
	v_and_b32_e32 v27, 0xff, v151
	s_mov_b32 s13, 0
	s_mov_b32 s30, exec_lo
                                        ; implicit-def: $sgpr17
	v_cmpx_lt_i16_e32 0x7f, v27
	s_xor_b32 s30, exec_lo, s30
	s_cbranch_execnz .LBB6_17125
; %bb.16669:                            ;   in Loop: Header=BB6_15906 Depth=3
	s_or_saveexec_b32 s30, s30
	v_mov_b32_e32 v26, s17
	s_xor_b32 exec_lo, exec_lo, s30
	s_cbranch_execnz .LBB6_17128
.LBB6_16670:                            ;   in Loop: Header=BB6_15906 Depth=3
	s_or_b32 exec_lo, exec_lo, s30
	s_and_saveexec_b32 s17, s13
	s_cbranch_execz .LBB6_16672
.LBB6_16671:                            ;   in Loop: Header=BB6_15906 Depth=3
	v_and_b32_e32 v26, 3, v151
	v_lshrrev_b16 v37, 2, v151
	v_lshlrev_b32_e32 v38, 24, v151
	s_delay_alu instid0(VALU_DEP_3) | instskip(NEXT) | instid1(VALU_DEP_1)
	v_clz_i32_u32_e32 v27, v26
	v_min_u32_e32 v27, 32, v27
	s_delay_alu instid0(VALU_DEP_1) | instskip(SKIP_1) | instid1(VALU_DEP_2)
	v_subrev_nc_u32_e32 v36, 29, v27
	v_sub_nc_u32_e32 v27, 30, v27
	v_lshlrev_b32_e32 v36, v36, v151
	s_delay_alu instid0(VALU_DEP_1) | instskip(SKIP_1) | instid1(VALU_DEP_1)
	v_and_b32_e32 v36, 3, v36
	v_and_b32_e32 v37, 31, v37
	v_cmp_eq_u32_e32 vcc_lo, 0, v37
	s_delay_alu instid0(VALU_DEP_3) | instskip(SKIP_1) | instid1(VALU_DEP_2)
	v_dual_cndmask_b32 v26, v26, v36 :: v_dual_cndmask_b32 v27, v37, v27
	v_and_b32_e32 v36, 0x80000000, v38
	v_lshlrev_b32_e32 v26, 21, v26
	s_delay_alu instid0(VALU_DEP_3) | instskip(NEXT) | instid1(VALU_DEP_1)
	v_lshl_add_u32 v27, v27, 23, 0x37800000
	v_or3_b32 v26, v36, v27, v26
.LBB6_16672:                            ;   in Loop: Header=BB6_15906 Depth=3
	s_or_b32 exec_lo, exec_lo, s17
	s_waitcnt vmcnt(8) lgkmcnt(8)
	v_and_b32_e32 v36, 0xff, v57
	s_mov_b32 s13, 0
	s_mov_b32 s30, exec_lo
                                        ; implicit-def: $sgpr17
	s_delay_alu instid0(VALU_DEP_1)
	v_cmpx_lt_i16_e32 0x7f, v36
	s_xor_b32 s30, exec_lo, s30
	s_cbranch_execnz .LBB6_17129
; %bb.16673:                            ;   in Loop: Header=BB6_15906 Depth=3
	s_or_saveexec_b32 s30, s30
	v_mov_b32_e32 v27, s17
	s_xor_b32 exec_lo, exec_lo, s30
	s_cbranch_execnz .LBB6_17132
.LBB6_16674:                            ;   in Loop: Header=BB6_15906 Depth=3
	s_or_b32 exec_lo, exec_lo, s30
	s_and_saveexec_b32 s17, s13
	s_cbranch_execz .LBB6_16676
.LBB6_16675:                            ;   in Loop: Header=BB6_15906 Depth=3
	v_lshrrev_b16 v38, 2, v57
	v_lshlrev_b32_e32 v39, 24, v57
	s_delay_alu instid0(VALU_DEP_2) | instskip(NEXT) | instid1(VALU_DEP_1)
	v_and_b32_e32 v38, 31, v38
	v_cmp_eq_u32_e32 vcc_lo, 0, v38
	v_and_b32_e32 v27, 3, v57
	s_delay_alu instid0(VALU_DEP_1) | instskip(NEXT) | instid1(VALU_DEP_1)
	v_clz_i32_u32_e32 v36, v27
	v_min_u32_e32 v36, 32, v36
	s_delay_alu instid0(VALU_DEP_1) | instskip(SKIP_1) | instid1(VALU_DEP_1)
	v_subrev_nc_u32_e32 v37, 29, v36
	v_sub_nc_u32_e32 v36, 30, v36
	v_dual_cndmask_b32 v36, v38, v36 :: v_dual_lshlrev_b32 v37, v37, v57
	s_delay_alu instid0(VALU_DEP_1) | instskip(NEXT) | instid1(VALU_DEP_2)
	v_and_b32_e32 v37, 3, v37
	v_lshl_add_u32 v36, v36, 23, 0x37800000
	s_delay_alu instid0(VALU_DEP_2) | instskip(SKIP_1) | instid1(VALU_DEP_2)
	v_cndmask_b32_e32 v27, v27, v37, vcc_lo
	v_and_b32_e32 v37, 0x80000000, v39
	v_lshlrev_b32_e32 v27, 21, v27
	s_delay_alu instid0(VALU_DEP_1)
	v_or3_b32 v27, v37, v36, v27
.LBB6_16676:                            ;   in Loop: Header=BB6_15906 Depth=3
	s_or_b32 exec_lo, exec_lo, s17
	s_delay_alu instid0(VALU_DEP_1) | instskip(SKIP_1) | instid1(VALU_DEP_1)
	v_dual_add_f32 v26, v26, v27 :: v_dual_mov_b32 v151, 0x80
	s_mov_b32 s17, exec_lo
	v_and_b32_e32 v27, 0x7f800000, v26
	s_delay_alu instid0(VALU_DEP_1)
	v_cmpx_ne_u32_e32 0x7f800000, v27
	s_cbranch_execz .LBB6_16684
; %bb.16677:                            ;   in Loop: Header=BB6_15906 Depth=3
	v_mov_b32_e32 v151, 0
	s_mov_b32 s30, exec_lo
	v_cmpx_ne_u32_e32 0, v26
	s_cbranch_execz .LBB6_16683
; %bb.16678:                            ;   in Loop: Header=BB6_15906 Depth=3
	v_bfe_u32 v27, v26, 23, 8
	s_delay_alu instid0(VALU_DEP_1) | instskip(SKIP_1) | instid1(VALU_DEP_2)
	v_sub_nc_u32_e32 v37, 0x70, v27
	v_cmp_gt_u32_e32 vcc_lo, 0x71, v27
	v_dual_cndmask_b32 v37, 0, v37 :: v_dual_and_b32 v36, 0x7fffff, v26
	s_delay_alu instid0(VALU_DEP_1) | instskip(SKIP_2) | instid1(VALU_DEP_4)
	v_or_b32_e32 v38, 0x800000, v36
	v_cmp_eq_u32_e32 vcc_lo, 0, v27
	v_add_nc_u32_e32 v27, 0xffffff91, v27
	v_cndmask_b32_e64 v37, v37, 0x6f, vcc_lo
	s_delay_alu instid0(VALU_DEP_4) | instskip(NEXT) | instid1(VALU_DEP_3)
	v_cndmask_b32_e32 v36, v38, v36, vcc_lo
	v_cndmask_b32_e64 v27, v27, 0xffffff92, vcc_lo
	s_delay_alu instid0(VALU_DEP_3) | instskip(NEXT) | instid1(VALU_DEP_3)
	v_lshl_add_u32 v38, 0x200000, v37, -1
	v_lshrrev_b32_e32 v39, v37, v36
	v_lshlrev_b32_e64 v49, v37, 0x100000
	s_delay_alu instid0(VALU_DEP_4) | instskip(NEXT) | instid1(VALU_DEP_4)
	v_add_nc_u32_e32 v37, v37, v27
	v_and_b32_e32 v36, v38, v36
	s_delay_alu instid0(VALU_DEP_4) | instskip(NEXT) | instid1(VALU_DEP_2)
	v_bfe_u32 v48, v39, 21, 1
	v_cmp_eq_u32_e64 s13, v36, v49
	s_delay_alu instid0(VALU_DEP_2) | instskip(NEXT) | instid1(VALU_DEP_1)
	v_add_nc_u32_e32 v38, -1, v48
	v_cndmask_b32_e64 v36, 0, v38, s13
	v_lshrrev_b32_e32 v38, 23, v39
	s_mov_b32 s13, exec_lo
	s_delay_alu instid0(VALU_DEP_2) | instskip(NEXT) | instid1(VALU_DEP_2)
	v_add_nc_u32_e32 v36, v36, v39
	v_xor_b32_e32 v38, 1, v38
	s_delay_alu instid0(VALU_DEP_2) | instskip(NEXT) | instid1(VALU_DEP_1)
	v_and_b32_e32 v27, 0x1fffff, v36
	v_add_nc_u32_e32 v36, v27, v39
                                        ; implicit-def: $vgpr27
	s_delay_alu instid0(VALU_DEP_3)
	v_cmpx_ne_u32_e64 v37, v38
	s_xor_b32 s13, exec_lo, s13
; %bb.16679:                            ;   in Loop: Header=BB6_15906 Depth=3
	s_delay_alu instid0(VALU_DEP_2) | instskip(SKIP_2) | instid1(VALU_DEP_2)
	v_cmp_lt_u32_e32 vcc_lo, 0xffffff, v36
	v_sub_nc_u32_e32 v27, v37, v38
	v_cndmask_b32_e64 v37, 0, 1, vcc_lo
	v_add_co_ci_u32_e32 v27, vcc_lo, 0, v27, vcc_lo
	s_delay_alu instid0(VALU_DEP_2)
	v_lshrrev_b32_e32 v36, v37, v36
; %bb.16680:                            ;   in Loop: Header=BB6_15906 Depth=3
	s_and_not1_saveexec_b32 s13, s13
; %bb.16681:                            ;   in Loop: Header=BB6_15906 Depth=3
	s_delay_alu instid0(VALU_DEP_1)
	v_bfe_u32 v27, v36, 23, 1
; %bb.16682:                            ;   in Loop: Header=BB6_15906 Depth=3
	s_or_b32 exec_lo, exec_lo, s13
	v_lshrrev_b32_e32 v36, 21, v36
	s_delay_alu instid0(VALU_DEP_2) | instskip(SKIP_2) | instid1(VALU_DEP_2)
	v_cmp_gt_i32_e32 vcc_lo, 32, v27
	v_min_i32_e32 v37, 31, v27
	v_lshrrev_b32_e32 v26, 24, v26
	v_dual_cndmask_b32 v36, 3, v36 :: v_dual_lshlrev_b32 v37, 2, v37
	s_delay_alu instid0(VALU_DEP_2) | instskip(NEXT) | instid1(VALU_DEP_2)
	v_and_b32_e32 v26, 0x80, v26
	v_or_b32_e32 v27, v27, v36
	s_delay_alu instid0(VALU_DEP_1) | instskip(SKIP_1) | instid1(VALU_DEP_1)
	v_cmp_ne_u32_e32 vcc_lo, 0, v27
	v_and_b32_e32 v38, 3, v36
	v_or3_b32 v26, v37, v26, v38
	s_delay_alu instid0(VALU_DEP_1)
	v_cndmask_b32_e32 v151, 0, v26, vcc_lo
.LBB6_16683:                            ;   in Loop: Header=BB6_15906 Depth=3
	s_or_b32 exec_lo, exec_lo, s30
.LBB6_16684:                            ;   in Loop: Header=BB6_15906 Depth=3
	s_delay_alu instid0(SALU_CYCLE_1) | instskip(SKIP_3) | instid1(VALU_DEP_1)
	s_or_b32 exec_lo, exec_lo, s17
	v_and_b32_e32 v27, 0xff, v84
	s_mov_b32 s13, 0
	s_mov_b32 s30, exec_lo
                                        ; implicit-def: $sgpr17
	v_cmpx_lt_i16_e32 0x7f, v27
	s_xor_b32 s30, exec_lo, s30
	s_cbranch_execnz .LBB6_17133
; %bb.16685:                            ;   in Loop: Header=BB6_15906 Depth=3
	s_or_saveexec_b32 s30, s30
	v_mov_b32_e32 v26, s17
	s_xor_b32 exec_lo, exec_lo, s30
	s_cbranch_execnz .LBB6_17136
.LBB6_16686:                            ;   in Loop: Header=BB6_15906 Depth=3
	s_or_b32 exec_lo, exec_lo, s30
	s_and_saveexec_b32 s17, s13
	s_cbranch_execz .LBB6_16688
.LBB6_16687:                            ;   in Loop: Header=BB6_15906 Depth=3
	v_lshrrev_b16 v37, 2, v84
	v_lshlrev_b32_e32 v38, 24, v84
	s_delay_alu instid0(VALU_DEP_2) | instskip(NEXT) | instid1(VALU_DEP_1)
	v_and_b32_e32 v37, 31, v37
	v_cmp_eq_u32_e32 vcc_lo, 0, v37
	v_and_b32_e32 v26, 3, v84
	s_delay_alu instid0(VALU_DEP_1) | instskip(NEXT) | instid1(VALU_DEP_1)
	v_clz_i32_u32_e32 v27, v26
	v_min_u32_e32 v27, 32, v27
	s_delay_alu instid0(VALU_DEP_1) | instskip(SKIP_1) | instid1(VALU_DEP_1)
	v_subrev_nc_u32_e32 v36, 29, v27
	v_sub_nc_u32_e32 v27, 30, v27
	v_dual_cndmask_b32 v27, v37, v27 :: v_dual_lshlrev_b32 v36, v36, v84
	s_delay_alu instid0(VALU_DEP_1) | instskip(NEXT) | instid1(VALU_DEP_2)
	v_and_b32_e32 v36, 3, v36
	v_lshl_add_u32 v27, v27, 23, 0x37800000
	s_delay_alu instid0(VALU_DEP_2) | instskip(SKIP_1) | instid1(VALU_DEP_2)
	v_cndmask_b32_e32 v26, v26, v36, vcc_lo
	v_and_b32_e32 v36, 0x80000000, v38
	v_lshlrev_b32_e32 v26, 21, v26
	s_delay_alu instid0(VALU_DEP_1)
	v_or3_b32 v26, v36, v27, v26
.LBB6_16688:                            ;   in Loop: Header=BB6_15906 Depth=3
	s_or_b32 exec_lo, exec_lo, s17
	s_waitcnt vmcnt(7) lgkmcnt(7)
	v_and_b32_e32 v36, 0xff, v45
	s_mov_b32 s13, 0
	s_mov_b32 s30, exec_lo
                                        ; implicit-def: $sgpr17
	s_delay_alu instid0(VALU_DEP_1)
	v_cmpx_lt_i16_e32 0x7f, v36
	s_xor_b32 s30, exec_lo, s30
	s_cbranch_execnz .LBB6_17137
; %bb.16689:                            ;   in Loop: Header=BB6_15906 Depth=3
	s_or_saveexec_b32 s30, s30
	v_mov_b32_e32 v27, s17
	s_xor_b32 exec_lo, exec_lo, s30
	s_cbranch_execnz .LBB6_17140
.LBB6_16690:                            ;   in Loop: Header=BB6_15906 Depth=3
	s_or_b32 exec_lo, exec_lo, s30
	s_and_saveexec_b32 s17, s13
	s_cbranch_execz .LBB6_16692
.LBB6_16691:                            ;   in Loop: Header=BB6_15906 Depth=3
	v_lshrrev_b16 v38, 2, v45
	v_lshlrev_b32_e32 v39, 24, v45
	s_delay_alu instid0(VALU_DEP_2) | instskip(NEXT) | instid1(VALU_DEP_1)
	v_and_b32_e32 v38, 31, v38
	v_cmp_eq_u32_e32 vcc_lo, 0, v38
	v_and_b32_e32 v27, 3, v45
	s_delay_alu instid0(VALU_DEP_1) | instskip(NEXT) | instid1(VALU_DEP_1)
	v_clz_i32_u32_e32 v36, v27
	v_min_u32_e32 v36, 32, v36
	s_delay_alu instid0(VALU_DEP_1) | instskip(SKIP_1) | instid1(VALU_DEP_1)
	v_subrev_nc_u32_e32 v37, 29, v36
	v_sub_nc_u32_e32 v36, 30, v36
	v_dual_cndmask_b32 v36, v38, v36 :: v_dual_lshlrev_b32 v37, v37, v45
	s_delay_alu instid0(VALU_DEP_1) | instskip(NEXT) | instid1(VALU_DEP_2)
	v_and_b32_e32 v37, 3, v37
	v_lshl_add_u32 v36, v36, 23, 0x37800000
	s_delay_alu instid0(VALU_DEP_2) | instskip(SKIP_1) | instid1(VALU_DEP_2)
	v_cndmask_b32_e32 v27, v27, v37, vcc_lo
	v_and_b32_e32 v37, 0x80000000, v39
	v_lshlrev_b32_e32 v27, 21, v27
	s_delay_alu instid0(VALU_DEP_1)
	v_or3_b32 v27, v37, v36, v27
.LBB6_16692:                            ;   in Loop: Header=BB6_15906 Depth=3
	s_or_b32 exec_lo, exec_lo, s17
	s_delay_alu instid0(VALU_DEP_1) | instskip(SKIP_2) | instid1(VALU_DEP_2)
	v_add_f32_e32 v26, v26, v27
	v_mov_b32_e32 v52, 0x80
	s_mov_b32 s17, exec_lo
	v_and_b32_e32 v27, 0x7f800000, v26
	s_delay_alu instid0(VALU_DEP_1)
	v_cmpx_ne_u32_e32 0x7f800000, v27
	s_cbranch_execz .LBB6_16700
; %bb.16693:                            ;   in Loop: Header=BB6_15906 Depth=3
	v_mov_b32_e32 v52, 0
	s_mov_b32 s30, exec_lo
	v_cmpx_ne_u32_e32 0, v26
	s_cbranch_execz .LBB6_16699
; %bb.16694:                            ;   in Loop: Header=BB6_15906 Depth=3
	v_bfe_u32 v27, v26, 23, 8
	s_delay_alu instid0(VALU_DEP_1) | instskip(SKIP_1) | instid1(VALU_DEP_2)
	v_sub_nc_u32_e32 v37, 0x70, v27
	v_cmp_gt_u32_e32 vcc_lo, 0x71, v27
	v_dual_cndmask_b32 v37, 0, v37 :: v_dual_and_b32 v36, 0x7fffff, v26
	s_delay_alu instid0(VALU_DEP_1) | instskip(SKIP_2) | instid1(VALU_DEP_4)
	v_or_b32_e32 v38, 0x800000, v36
	v_cmp_eq_u32_e32 vcc_lo, 0, v27
	v_add_nc_u32_e32 v27, 0xffffff91, v27
	v_cndmask_b32_e64 v37, v37, 0x6f, vcc_lo
	s_delay_alu instid0(VALU_DEP_4) | instskip(NEXT) | instid1(VALU_DEP_3)
	v_cndmask_b32_e32 v36, v38, v36, vcc_lo
	v_cndmask_b32_e64 v27, v27, 0xffffff92, vcc_lo
	s_delay_alu instid0(VALU_DEP_3) | instskip(NEXT) | instid1(VALU_DEP_3)
	v_lshl_add_u32 v38, 0x200000, v37, -1
	v_lshrrev_b32_e32 v39, v37, v36
	v_lshlrev_b32_e64 v49, v37, 0x100000
	s_delay_alu instid0(VALU_DEP_4) | instskip(NEXT) | instid1(VALU_DEP_4)
	v_add_nc_u32_e32 v37, v37, v27
	v_and_b32_e32 v36, v38, v36
	s_delay_alu instid0(VALU_DEP_4) | instskip(NEXT) | instid1(VALU_DEP_2)
	v_bfe_u32 v48, v39, 21, 1
	v_cmp_eq_u32_e64 s13, v36, v49
	s_delay_alu instid0(VALU_DEP_2) | instskip(NEXT) | instid1(VALU_DEP_1)
	v_add_nc_u32_e32 v38, -1, v48
	v_cndmask_b32_e64 v36, 0, v38, s13
	v_lshrrev_b32_e32 v38, 23, v39
	s_mov_b32 s13, exec_lo
	s_delay_alu instid0(VALU_DEP_2) | instskip(NEXT) | instid1(VALU_DEP_2)
	v_add_nc_u32_e32 v36, v36, v39
	v_xor_b32_e32 v38, 1, v38
	s_delay_alu instid0(VALU_DEP_2) | instskip(NEXT) | instid1(VALU_DEP_1)
	v_and_b32_e32 v27, 0x1fffff, v36
	v_add_nc_u32_e32 v36, v27, v39
                                        ; implicit-def: $vgpr27
	s_delay_alu instid0(VALU_DEP_3)
	v_cmpx_ne_u32_e64 v37, v38
	s_xor_b32 s13, exec_lo, s13
; %bb.16695:                            ;   in Loop: Header=BB6_15906 Depth=3
	s_delay_alu instid0(VALU_DEP_2) | instskip(SKIP_2) | instid1(VALU_DEP_2)
	v_cmp_lt_u32_e32 vcc_lo, 0xffffff, v36
	v_sub_nc_u32_e32 v27, v37, v38
	v_cndmask_b32_e64 v37, 0, 1, vcc_lo
	v_add_co_ci_u32_e32 v27, vcc_lo, 0, v27, vcc_lo
	s_delay_alu instid0(VALU_DEP_2)
	v_lshrrev_b32_e32 v36, v37, v36
; %bb.16696:                            ;   in Loop: Header=BB6_15906 Depth=3
	s_and_not1_saveexec_b32 s13, s13
; %bb.16697:                            ;   in Loop: Header=BB6_15906 Depth=3
	s_delay_alu instid0(VALU_DEP_1)
	v_bfe_u32 v27, v36, 23, 1
; %bb.16698:                            ;   in Loop: Header=BB6_15906 Depth=3
	s_or_b32 exec_lo, exec_lo, s13
	v_lshrrev_b32_e32 v36, 21, v36
	s_delay_alu instid0(VALU_DEP_2) | instskip(SKIP_2) | instid1(VALU_DEP_4)
	v_cmp_gt_i32_e32 vcc_lo, 32, v27
	v_lshrrev_b32_e32 v26, 24, v26
	v_min_i32_e32 v37, 31, v27
	v_cndmask_b32_e32 v36, 3, v36, vcc_lo
	s_delay_alu instid0(VALU_DEP_3) | instskip(NEXT) | instid1(VALU_DEP_3)
	v_and_b32_e32 v26, 0x80, v26
	v_lshlrev_b32_e32 v37, 2, v37
	s_delay_alu instid0(VALU_DEP_3) | instskip(SKIP_1) | instid1(VALU_DEP_2)
	v_and_b32_e32 v38, 3, v36
	v_or_b32_e32 v27, v27, v36
	v_or3_b32 v26, v37, v26, v38
	s_delay_alu instid0(VALU_DEP_2) | instskip(NEXT) | instid1(VALU_DEP_2)
	v_cmp_ne_u32_e32 vcc_lo, 0, v27
	v_cndmask_b32_e32 v52, 0, v26, vcc_lo
.LBB6_16699:                            ;   in Loop: Header=BB6_15906 Depth=3
	s_or_b32 exec_lo, exec_lo, s30
.LBB6_16700:                            ;   in Loop: Header=BB6_15906 Depth=3
	s_delay_alu instid0(SALU_CYCLE_1) | instskip(SKIP_3) | instid1(VALU_DEP_1)
	s_or_b32 exec_lo, exec_lo, s17
	v_and_b32_e32 v27, 0xff, v83
	s_mov_b32 s13, 0
	s_mov_b32 s30, exec_lo
                                        ; implicit-def: $sgpr17
	v_cmpx_lt_i16_e32 0x7f, v27
	s_xor_b32 s30, exec_lo, s30
	s_cbranch_execnz .LBB6_17141
; %bb.16701:                            ;   in Loop: Header=BB6_15906 Depth=3
	s_or_saveexec_b32 s30, s30
	v_mov_b32_e32 v26, s17
	s_xor_b32 exec_lo, exec_lo, s30
	s_cbranch_execnz .LBB6_17144
.LBB6_16702:                            ;   in Loop: Header=BB6_15906 Depth=3
	s_or_b32 exec_lo, exec_lo, s30
	s_and_saveexec_b32 s17, s13
	s_cbranch_execz .LBB6_16704
.LBB6_16703:                            ;   in Loop: Header=BB6_15906 Depth=3
	v_and_b32_e32 v26, 3, v83
	v_lshrrev_b16 v37, 2, v83
	v_lshlrev_b32_e32 v38, 24, v83
	s_delay_alu instid0(VALU_DEP_3) | instskip(NEXT) | instid1(VALU_DEP_1)
	v_clz_i32_u32_e32 v27, v26
	v_min_u32_e32 v27, 32, v27
	s_delay_alu instid0(VALU_DEP_1) | instskip(SKIP_1) | instid1(VALU_DEP_2)
	v_subrev_nc_u32_e32 v36, 29, v27
	v_sub_nc_u32_e32 v27, 30, v27
	v_lshlrev_b32_e32 v36, v36, v83
	s_delay_alu instid0(VALU_DEP_1) | instskip(SKIP_1) | instid1(VALU_DEP_1)
	v_and_b32_e32 v36, 3, v36
	v_and_b32_e32 v37, 31, v37
	v_cmp_eq_u32_e32 vcc_lo, 0, v37
	s_delay_alu instid0(VALU_DEP_3) | instskip(SKIP_1) | instid1(VALU_DEP_2)
	v_dual_cndmask_b32 v26, v26, v36 :: v_dual_cndmask_b32 v27, v37, v27
	v_and_b32_e32 v36, 0x80000000, v38
	v_lshlrev_b32_e32 v26, 21, v26
	s_delay_alu instid0(VALU_DEP_3) | instskip(NEXT) | instid1(VALU_DEP_1)
	v_lshl_add_u32 v27, v27, 23, 0x37800000
	v_or3_b32 v26, v36, v27, v26
.LBB6_16704:                            ;   in Loop: Header=BB6_15906 Depth=3
	s_or_b32 exec_lo, exec_lo, s17
	s_waitcnt vmcnt(6) lgkmcnt(6)
	v_and_b32_e32 v36, 0xff, v40
	s_mov_b32 s13, 0
	s_mov_b32 s30, exec_lo
                                        ; implicit-def: $sgpr17
	s_delay_alu instid0(VALU_DEP_1)
	v_cmpx_lt_i16_e32 0x7f, v36
	s_xor_b32 s30, exec_lo, s30
	s_cbranch_execnz .LBB6_17145
; %bb.16705:                            ;   in Loop: Header=BB6_15906 Depth=3
	s_or_saveexec_b32 s30, s30
	v_mov_b32_e32 v27, s17
	s_xor_b32 exec_lo, exec_lo, s30
	s_cbranch_execnz .LBB6_17148
.LBB6_16706:                            ;   in Loop: Header=BB6_15906 Depth=3
	s_or_b32 exec_lo, exec_lo, s30
	s_and_saveexec_b32 s17, s13
	s_cbranch_execz .LBB6_16708
.LBB6_16707:                            ;   in Loop: Header=BB6_15906 Depth=3
	v_and_b32_e32 v27, 3, v40
	v_lshrrev_b16 v38, 2, v40
	v_lshlrev_b32_e32 v39, 24, v40
	s_delay_alu instid0(VALU_DEP_3) | instskip(NEXT) | instid1(VALU_DEP_1)
	v_clz_i32_u32_e32 v36, v27
	v_min_u32_e32 v36, 32, v36
	s_delay_alu instid0(VALU_DEP_1) | instskip(SKIP_1) | instid1(VALU_DEP_2)
	v_subrev_nc_u32_e32 v37, 29, v36
	v_sub_nc_u32_e32 v36, 30, v36
	v_lshlrev_b32_e32 v37, v37, v40
	s_delay_alu instid0(VALU_DEP_1) | instskip(SKIP_1) | instid1(VALU_DEP_1)
	v_and_b32_e32 v37, 3, v37
	v_and_b32_e32 v38, 31, v38
	v_cmp_eq_u32_e32 vcc_lo, 0, v38
	s_delay_alu instid0(VALU_DEP_3) | instskip(SKIP_1) | instid1(VALU_DEP_2)
	v_dual_cndmask_b32 v27, v27, v37 :: v_dual_cndmask_b32 v36, v38, v36
	v_and_b32_e32 v37, 0x80000000, v39
	v_lshlrev_b32_e32 v27, 21, v27
	s_delay_alu instid0(VALU_DEP_3) | instskip(NEXT) | instid1(VALU_DEP_1)
	v_lshl_add_u32 v36, v36, 23, 0x37800000
	v_or3_b32 v27, v37, v36, v27
.LBB6_16708:                            ;   in Loop: Header=BB6_15906 Depth=3
	s_or_b32 exec_lo, exec_lo, s17
	s_delay_alu instid0(VALU_DEP_1) | instskip(NEXT) | instid1(VALU_DEP_1)
	v_add_f32_e32 v27, v26, v27
	v_and_b32_e32 v26, 0x7f800000, v27
	s_delay_alu instid0(VALU_DEP_1)
	v_cmp_ne_u32_e32 vcc_lo, 0x7f800000, v26
	v_mov_b32_e32 v26, 0x80
	s_and_saveexec_b32 s17, vcc_lo
	s_cbranch_execz .LBB6_16716
; %bb.16709:                            ;   in Loop: Header=BB6_15906 Depth=3
	v_mov_b32_e32 v26, 0
	s_mov_b32 s30, exec_lo
	v_cmpx_ne_u32_e32 0, v27
	s_cbranch_execz .LBB6_16715
; %bb.16710:                            ;   in Loop: Header=BB6_15906 Depth=3
	v_bfe_u32 v26, v27, 23, 8
	s_delay_alu instid0(VALU_DEP_1) | instskip(SKIP_1) | instid1(VALU_DEP_2)
	v_sub_nc_u32_e32 v37, 0x70, v26
	v_cmp_gt_u32_e32 vcc_lo, 0x71, v26
	v_dual_cndmask_b32 v37, 0, v37 :: v_dual_and_b32 v36, 0x7fffff, v27
	s_delay_alu instid0(VALU_DEP_1) | instskip(SKIP_2) | instid1(VALU_DEP_4)
	v_or_b32_e32 v38, 0x800000, v36
	v_cmp_eq_u32_e32 vcc_lo, 0, v26
	v_add_nc_u32_e32 v26, 0xffffff91, v26
	v_cndmask_b32_e64 v37, v37, 0x6f, vcc_lo
	s_delay_alu instid0(VALU_DEP_2) | instskip(SKIP_1) | instid1(VALU_DEP_3)
	v_cndmask_b32_e64 v26, v26, 0xffffff92, vcc_lo
	v_cndmask_b32_e32 v36, v38, v36, vcc_lo
	v_lshl_add_u32 v38, 0x200000, v37, -1
	v_lshlrev_b32_e64 v49, v37, 0x100000
	s_delay_alu instid0(VALU_DEP_3) | instskip(SKIP_1) | instid1(VALU_DEP_4)
	v_lshrrev_b32_e32 v39, v37, v36
	v_add_nc_u32_e32 v37, v37, v26
	v_and_b32_e32 v36, v38, v36
	s_delay_alu instid0(VALU_DEP_3) | instskip(NEXT) | instid1(VALU_DEP_2)
	v_bfe_u32 v48, v39, 21, 1
	v_cmp_eq_u32_e64 s13, v36, v49
	s_delay_alu instid0(VALU_DEP_2) | instskip(NEXT) | instid1(VALU_DEP_1)
	v_add_nc_u32_e32 v38, -1, v48
	v_cndmask_b32_e64 v36, 0, v38, s13
	v_lshrrev_b32_e32 v38, 23, v39
	s_mov_b32 s13, exec_lo
	s_delay_alu instid0(VALU_DEP_2) | instskip(NEXT) | instid1(VALU_DEP_2)
	v_add_nc_u32_e32 v36, v36, v39
	v_xor_b32_e32 v38, 1, v38
	s_delay_alu instid0(VALU_DEP_2) | instskip(NEXT) | instid1(VALU_DEP_1)
	v_and_b32_e32 v26, 0x1fffff, v36
	v_add_nc_u32_e32 v36, v26, v39
                                        ; implicit-def: $vgpr26
	s_delay_alu instid0(VALU_DEP_3)
	v_cmpx_ne_u32_e64 v37, v38
	s_xor_b32 s13, exec_lo, s13
; %bb.16711:                            ;   in Loop: Header=BB6_15906 Depth=3
	s_delay_alu instid0(VALU_DEP_2) | instskip(SKIP_2) | instid1(VALU_DEP_2)
	v_cmp_lt_u32_e32 vcc_lo, 0xffffff, v36
	v_sub_nc_u32_e32 v26, v37, v38
	v_cndmask_b32_e64 v37, 0, 1, vcc_lo
	v_add_co_ci_u32_e32 v26, vcc_lo, 0, v26, vcc_lo
	s_delay_alu instid0(VALU_DEP_2)
	v_lshrrev_b32_e32 v36, v37, v36
; %bb.16712:                            ;   in Loop: Header=BB6_15906 Depth=3
	s_and_not1_saveexec_b32 s13, s13
; %bb.16713:                            ;   in Loop: Header=BB6_15906 Depth=3
	s_delay_alu instid0(VALU_DEP_1)
	v_bfe_u32 v26, v36, 23, 1
; %bb.16714:                            ;   in Loop: Header=BB6_15906 Depth=3
	s_or_b32 exec_lo, exec_lo, s13
	v_lshrrev_b32_e32 v36, 21, v36
	s_delay_alu instid0(VALU_DEP_2) | instskip(SKIP_2) | instid1(VALU_DEP_2)
	v_cmp_gt_i32_e32 vcc_lo, 32, v26
	v_lshrrev_b32_e32 v27, 24, v27
	v_min_i32_e32 v37, 31, v26
	v_dual_cndmask_b32 v36, 3, v36 :: v_dual_and_b32 v27, 0x80, v27
	s_delay_alu instid0(VALU_DEP_1) | instskip(SKIP_1) | instid1(VALU_DEP_2)
	v_or_b32_e32 v26, v26, v36
	v_and_b32_e32 v38, 3, v36
	v_cmp_ne_u32_e32 vcc_lo, 0, v26
	v_lshlrev_b32_e32 v37, 2, v37
	s_delay_alu instid0(VALU_DEP_1) | instskip(NEXT) | instid1(VALU_DEP_1)
	v_or3_b32 v27, v37, v27, v38
	v_cndmask_b32_e32 v26, 0, v27, vcc_lo
.LBB6_16715:                            ;   in Loop: Header=BB6_15906 Depth=3
	s_or_b32 exec_lo, exec_lo, s30
.LBB6_16716:                            ;   in Loop: Header=BB6_15906 Depth=3
	s_delay_alu instid0(SALU_CYCLE_1) | instskip(SKIP_3) | instid1(VALU_DEP_1)
	s_or_b32 exec_lo, exec_lo, s17
	v_and_b32_e32 v36, 0xff, v81
	s_mov_b32 s13, 0
	s_mov_b32 s30, exec_lo
                                        ; implicit-def: $sgpr17
	v_cmpx_lt_i16_e32 0x7f, v36
	s_xor_b32 s30, exec_lo, s30
	s_cbranch_execnz .LBB6_17149
; %bb.16717:                            ;   in Loop: Header=BB6_15906 Depth=3
	s_or_saveexec_b32 s30, s30
	v_mov_b32_e32 v27, s17
	s_xor_b32 exec_lo, exec_lo, s30
	s_cbranch_execnz .LBB6_17152
.LBB6_16718:                            ;   in Loop: Header=BB6_15906 Depth=3
	s_or_b32 exec_lo, exec_lo, s30
	s_and_saveexec_b32 s17, s13
	s_cbranch_execz .LBB6_16720
.LBB6_16719:                            ;   in Loop: Header=BB6_15906 Depth=3
	v_lshrrev_b16 v38, 2, v81
	v_lshlrev_b32_e32 v39, 24, v81
	s_delay_alu instid0(VALU_DEP_2) | instskip(NEXT) | instid1(VALU_DEP_1)
	v_and_b32_e32 v38, 31, v38
	v_cmp_eq_u32_e32 vcc_lo, 0, v38
	v_and_b32_e32 v27, 3, v81
	s_delay_alu instid0(VALU_DEP_1) | instskip(NEXT) | instid1(VALU_DEP_1)
	v_clz_i32_u32_e32 v36, v27
	v_min_u32_e32 v36, 32, v36
	s_delay_alu instid0(VALU_DEP_1) | instskip(SKIP_1) | instid1(VALU_DEP_1)
	v_subrev_nc_u32_e32 v37, 29, v36
	v_sub_nc_u32_e32 v36, 30, v36
	v_dual_cndmask_b32 v36, v38, v36 :: v_dual_lshlrev_b32 v37, v37, v81
	s_delay_alu instid0(VALU_DEP_1) | instskip(NEXT) | instid1(VALU_DEP_2)
	v_and_b32_e32 v37, 3, v37
	v_lshl_add_u32 v36, v36, 23, 0x37800000
	s_delay_alu instid0(VALU_DEP_2) | instskip(SKIP_1) | instid1(VALU_DEP_2)
	v_cndmask_b32_e32 v27, v27, v37, vcc_lo
	v_and_b32_e32 v37, 0x80000000, v39
	v_lshlrev_b32_e32 v27, 21, v27
	s_delay_alu instid0(VALU_DEP_1)
	v_or3_b32 v27, v37, v36, v27
.LBB6_16720:                            ;   in Loop: Header=BB6_15906 Depth=3
	s_or_b32 exec_lo, exec_lo, s17
	s_waitcnt vmcnt(5) lgkmcnt(5)
	v_and_b32_e32 v37, 0xff, v179
	s_mov_b32 s13, 0
	s_mov_b32 s30, exec_lo
                                        ; implicit-def: $sgpr17
	s_delay_alu instid0(VALU_DEP_1)
	v_cmpx_lt_i16_e32 0x7f, v37
	s_xor_b32 s30, exec_lo, s30
	s_cbranch_execnz .LBB6_17153
; %bb.16721:                            ;   in Loop: Header=BB6_15906 Depth=3
	s_or_saveexec_b32 s30, s30
	v_mov_b32_e32 v36, s17
	s_xor_b32 exec_lo, exec_lo, s30
	s_cbranch_execnz .LBB6_17156
.LBB6_16722:                            ;   in Loop: Header=BB6_15906 Depth=3
	s_or_b32 exec_lo, exec_lo, s30
	s_and_saveexec_b32 s17, s13
	s_cbranch_execz .LBB6_16724
.LBB6_16723:                            ;   in Loop: Header=BB6_15906 Depth=3
	v_lshrrev_b16 v39, 2, v179
	v_lshlrev_b32_e32 v48, 24, v179
	s_delay_alu instid0(VALU_DEP_2) | instskip(NEXT) | instid1(VALU_DEP_1)
	v_and_b32_e32 v39, 31, v39
	v_cmp_eq_u32_e32 vcc_lo, 0, v39
	v_and_b32_e32 v36, 3, v179
	s_delay_alu instid0(VALU_DEP_1) | instskip(NEXT) | instid1(VALU_DEP_1)
	v_clz_i32_u32_e32 v37, v36
	v_min_u32_e32 v37, 32, v37
	s_delay_alu instid0(VALU_DEP_1) | instskip(SKIP_1) | instid1(VALU_DEP_1)
	v_subrev_nc_u32_e32 v38, 29, v37
	v_sub_nc_u32_e32 v37, 30, v37
	v_dual_cndmask_b32 v37, v39, v37 :: v_dual_lshlrev_b32 v38, v38, v179
	s_delay_alu instid0(VALU_DEP_1) | instskip(NEXT) | instid1(VALU_DEP_2)
	v_and_b32_e32 v38, 3, v38
	v_lshl_add_u32 v37, v37, 23, 0x37800000
	s_delay_alu instid0(VALU_DEP_2) | instskip(SKIP_1) | instid1(VALU_DEP_2)
	v_cndmask_b32_e32 v36, v36, v38, vcc_lo
	v_and_b32_e32 v38, 0x80000000, v48
	v_lshlrev_b32_e32 v36, 21, v36
	s_delay_alu instid0(VALU_DEP_1)
	v_or3_b32 v36, v38, v37, v36
.LBB6_16724:                            ;   in Loop: Header=BB6_15906 Depth=3
	s_or_b32 exec_lo, exec_lo, s17
	s_delay_alu instid0(VALU_DEP_1) | instskip(NEXT) | instid1(VALU_DEP_1)
	v_add_f32_e32 v36, v27, v36
	v_and_b32_e32 v27, 0x7f800000, v36
	s_delay_alu instid0(VALU_DEP_1)
	v_cmp_ne_u32_e32 vcc_lo, 0x7f800000, v27
	v_mov_b32_e32 v27, 0x80
	s_and_saveexec_b32 s17, vcc_lo
	s_cbranch_execz .LBB6_16732
; %bb.16725:                            ;   in Loop: Header=BB6_15906 Depth=3
	v_mov_b32_e32 v27, 0
	s_mov_b32 s30, exec_lo
	v_cmpx_ne_u32_e32 0, v36
	s_cbranch_execz .LBB6_16731
; %bb.16726:                            ;   in Loop: Header=BB6_15906 Depth=3
	v_bfe_u32 v27, v36, 23, 8
	s_delay_alu instid0(VALU_DEP_1) | instskip(SKIP_1) | instid1(VALU_DEP_2)
	v_sub_nc_u32_e32 v38, 0x70, v27
	v_cmp_gt_u32_e32 vcc_lo, 0x71, v27
	v_dual_cndmask_b32 v38, 0, v38 :: v_dual_and_b32 v37, 0x7fffff, v36
	s_delay_alu instid0(VALU_DEP_1) | instskip(SKIP_2) | instid1(VALU_DEP_4)
	v_or_b32_e32 v39, 0x800000, v37
	v_cmp_eq_u32_e32 vcc_lo, 0, v27
	v_add_nc_u32_e32 v27, 0xffffff91, v27
	v_cndmask_b32_e64 v38, v38, 0x6f, vcc_lo
	s_delay_alu instid0(VALU_DEP_2) | instskip(SKIP_1) | instid1(VALU_DEP_3)
	v_cndmask_b32_e64 v27, v27, 0xffffff92, vcc_lo
	v_cndmask_b32_e32 v37, v39, v37, vcc_lo
	v_lshl_add_u32 v39, 0x200000, v38, -1
	v_lshlrev_b32_e64 v50, v38, 0x100000
	s_delay_alu instid0(VALU_DEP_3) | instskip(SKIP_1) | instid1(VALU_DEP_4)
	v_lshrrev_b32_e32 v48, v38, v37
	v_add_nc_u32_e32 v38, v38, v27
	v_and_b32_e32 v37, v39, v37
	s_delay_alu instid0(VALU_DEP_3) | instskip(NEXT) | instid1(VALU_DEP_2)
	v_bfe_u32 v49, v48, 21, 1
	v_cmp_eq_u32_e64 s13, v37, v50
	s_delay_alu instid0(VALU_DEP_2) | instskip(NEXT) | instid1(VALU_DEP_1)
	v_add_nc_u32_e32 v39, -1, v49
	v_cndmask_b32_e64 v37, 0, v39, s13
	v_lshrrev_b32_e32 v39, 23, v48
	s_mov_b32 s13, exec_lo
	s_delay_alu instid0(VALU_DEP_2) | instskip(NEXT) | instid1(VALU_DEP_2)
	v_add_nc_u32_e32 v37, v37, v48
	v_xor_b32_e32 v39, 1, v39
	s_delay_alu instid0(VALU_DEP_2) | instskip(NEXT) | instid1(VALU_DEP_1)
	v_and_b32_e32 v27, 0x1fffff, v37
	v_add_nc_u32_e32 v37, v27, v48
                                        ; implicit-def: $vgpr27
	s_delay_alu instid0(VALU_DEP_3)
	v_cmpx_ne_u32_e64 v38, v39
	s_xor_b32 s13, exec_lo, s13
; %bb.16727:                            ;   in Loop: Header=BB6_15906 Depth=3
	s_delay_alu instid0(VALU_DEP_2) | instskip(SKIP_2) | instid1(VALU_DEP_2)
	v_cmp_lt_u32_e32 vcc_lo, 0xffffff, v37
	v_sub_nc_u32_e32 v27, v38, v39
	v_cndmask_b32_e64 v38, 0, 1, vcc_lo
	v_add_co_ci_u32_e32 v27, vcc_lo, 0, v27, vcc_lo
	s_delay_alu instid0(VALU_DEP_2)
	v_lshrrev_b32_e32 v37, v38, v37
; %bb.16728:                            ;   in Loop: Header=BB6_15906 Depth=3
	s_and_not1_saveexec_b32 s13, s13
; %bb.16729:                            ;   in Loop: Header=BB6_15906 Depth=3
	s_delay_alu instid0(VALU_DEP_1)
	v_bfe_u32 v27, v37, 23, 1
; %bb.16730:                            ;   in Loop: Header=BB6_15906 Depth=3
	s_or_b32 exec_lo, exec_lo, s13
	v_lshrrev_b32_e32 v37, 21, v37
	s_delay_alu instid0(VALU_DEP_2) | instskip(SKIP_2) | instid1(VALU_DEP_2)
	v_cmp_gt_i32_e32 vcc_lo, 32, v27
	v_lshrrev_b32_e32 v36, 24, v36
	v_min_i32_e32 v38, 31, v27
	v_dual_cndmask_b32 v37, 3, v37 :: v_dual_and_b32 v36, 0x80, v36
	s_delay_alu instid0(VALU_DEP_1) | instskip(SKIP_1) | instid1(VALU_DEP_2)
	v_or_b32_e32 v27, v27, v37
	v_and_b32_e32 v39, 3, v37
	v_cmp_ne_u32_e32 vcc_lo, 0, v27
	v_lshlrev_b32_e32 v38, 2, v38
	s_delay_alu instid0(VALU_DEP_1) | instskip(NEXT) | instid1(VALU_DEP_1)
	v_or3_b32 v36, v38, v36, v39
	v_cndmask_b32_e32 v27, 0, v36, vcc_lo
.LBB6_16731:                            ;   in Loop: Header=BB6_15906 Depth=3
	s_or_b32 exec_lo, exec_lo, s30
.LBB6_16732:                            ;   in Loop: Header=BB6_15906 Depth=3
	s_delay_alu instid0(SALU_CYCLE_1) | instskip(SKIP_3) | instid1(VALU_DEP_1)
	s_or_b32 exec_lo, exec_lo, s17
	v_and_b32_e32 v37, 0xff, v70
	s_mov_b32 s13, 0
	s_mov_b32 s30, exec_lo
                                        ; implicit-def: $sgpr17
	v_cmpx_lt_i16_e32 0x7f, v37
	s_xor_b32 s30, exec_lo, s30
	s_cbranch_execnz .LBB6_17157
; %bb.16733:                            ;   in Loop: Header=BB6_15906 Depth=3
	s_or_saveexec_b32 s30, s30
	v_mov_b32_e32 v36, s17
	s_xor_b32 exec_lo, exec_lo, s30
	s_cbranch_execnz .LBB6_17160
.LBB6_16734:                            ;   in Loop: Header=BB6_15906 Depth=3
	s_or_b32 exec_lo, exec_lo, s30
	s_and_saveexec_b32 s17, s13
	s_cbranch_execz .LBB6_16736
.LBB6_16735:                            ;   in Loop: Header=BB6_15906 Depth=3
	v_lshrrev_b16 v39, 2, v70
	v_lshlrev_b32_e32 v48, 24, v70
	s_delay_alu instid0(VALU_DEP_2) | instskip(NEXT) | instid1(VALU_DEP_1)
	v_and_b32_e32 v39, 31, v39
	v_cmp_eq_u32_e32 vcc_lo, 0, v39
	v_and_b32_e32 v36, 3, v70
	s_delay_alu instid0(VALU_DEP_1) | instskip(NEXT) | instid1(VALU_DEP_1)
	v_clz_i32_u32_e32 v37, v36
	v_min_u32_e32 v37, 32, v37
	s_delay_alu instid0(VALU_DEP_1) | instskip(SKIP_1) | instid1(VALU_DEP_1)
	v_subrev_nc_u32_e32 v38, 29, v37
	v_sub_nc_u32_e32 v37, 30, v37
	v_dual_cndmask_b32 v37, v39, v37 :: v_dual_lshlrev_b32 v38, v38, v70
	s_delay_alu instid0(VALU_DEP_1) | instskip(NEXT) | instid1(VALU_DEP_2)
	v_and_b32_e32 v38, 3, v38
	v_lshl_add_u32 v37, v37, 23, 0x37800000
	s_delay_alu instid0(VALU_DEP_2) | instskip(SKIP_1) | instid1(VALU_DEP_2)
	v_cndmask_b32_e32 v36, v36, v38, vcc_lo
	v_and_b32_e32 v38, 0x80000000, v48
	v_lshlrev_b32_e32 v36, 21, v36
	s_delay_alu instid0(VALU_DEP_1)
	v_or3_b32 v36, v38, v37, v36
.LBB6_16736:                            ;   in Loop: Header=BB6_15906 Depth=3
	s_or_b32 exec_lo, exec_lo, s17
	s_waitcnt vmcnt(4) lgkmcnt(4)
	v_and_b32_e32 v38, 0xff, v166
	s_mov_b32 s13, 0
	s_mov_b32 s30, exec_lo
                                        ; implicit-def: $sgpr17
	s_delay_alu instid0(VALU_DEP_1)
	v_cmpx_lt_i16_e32 0x7f, v38
	s_xor_b32 s30, exec_lo, s30
	s_cbranch_execnz .LBB6_17161
; %bb.16737:                            ;   in Loop: Header=BB6_15906 Depth=3
	s_or_saveexec_b32 s30, s30
	v_mov_b32_e32 v37, s17
	s_xor_b32 exec_lo, exec_lo, s30
	s_cbranch_execnz .LBB6_17164
.LBB6_16738:                            ;   in Loop: Header=BB6_15906 Depth=3
	s_or_b32 exec_lo, exec_lo, s30
	s_and_saveexec_b32 s17, s13
	s_cbranch_execz .LBB6_16740
.LBB6_16739:                            ;   in Loop: Header=BB6_15906 Depth=3
	v_and_b32_e32 v37, 3, v166
	v_lshrrev_b16 v48, 2, v166
	v_lshlrev_b32_e32 v49, 24, v166
	s_delay_alu instid0(VALU_DEP_3) | instskip(NEXT) | instid1(VALU_DEP_1)
	v_clz_i32_u32_e32 v38, v37
	v_min_u32_e32 v38, 32, v38
	s_delay_alu instid0(VALU_DEP_1) | instskip(SKIP_1) | instid1(VALU_DEP_2)
	v_subrev_nc_u32_e32 v39, 29, v38
	v_sub_nc_u32_e32 v38, 30, v38
	v_lshlrev_b32_e32 v39, v39, v166
	s_delay_alu instid0(VALU_DEP_1) | instskip(SKIP_1) | instid1(VALU_DEP_1)
	v_and_b32_e32 v39, 3, v39
	v_and_b32_e32 v48, 31, v48
	v_cmp_eq_u32_e32 vcc_lo, 0, v48
	s_delay_alu instid0(VALU_DEP_3) | instskip(SKIP_1) | instid1(VALU_DEP_2)
	v_dual_cndmask_b32 v37, v37, v39 :: v_dual_cndmask_b32 v38, v48, v38
	v_and_b32_e32 v39, 0x80000000, v49
	v_lshlrev_b32_e32 v37, 21, v37
	s_delay_alu instid0(VALU_DEP_3) | instskip(NEXT) | instid1(VALU_DEP_1)
	v_lshl_add_u32 v38, v38, 23, 0x37800000
	v_or3_b32 v37, v39, v38, v37
.LBB6_16740:                            ;   in Loop: Header=BB6_15906 Depth=3
	s_or_b32 exec_lo, exec_lo, s17
	s_delay_alu instid0(VALU_DEP_1) | instskip(NEXT) | instid1(VALU_DEP_1)
	v_add_f32_e32 v37, v36, v37
	v_and_b32_e32 v36, 0x7f800000, v37
	s_delay_alu instid0(VALU_DEP_1)
	v_cmp_ne_u32_e32 vcc_lo, 0x7f800000, v36
	v_mov_b32_e32 v36, 0x80
	s_and_saveexec_b32 s17, vcc_lo
	s_cbranch_execz .LBB6_16748
; %bb.16741:                            ;   in Loop: Header=BB6_15906 Depth=3
	v_mov_b32_e32 v36, 0
	s_mov_b32 s30, exec_lo
	v_cmpx_ne_u32_e32 0, v37
	s_cbranch_execz .LBB6_16747
; %bb.16742:                            ;   in Loop: Header=BB6_15906 Depth=3
	v_bfe_u32 v36, v37, 23, 8
	s_delay_alu instid0(VALU_DEP_1) | instskip(SKIP_1) | instid1(VALU_DEP_2)
	v_sub_nc_u32_e32 v39, 0x70, v36
	v_cmp_gt_u32_e32 vcc_lo, 0x71, v36
	v_dual_cndmask_b32 v39, 0, v39 :: v_dual_and_b32 v38, 0x7fffff, v37
	s_delay_alu instid0(VALU_DEP_1) | instskip(SKIP_2) | instid1(VALU_DEP_4)
	v_or_b32_e32 v48, 0x800000, v38
	v_cmp_eq_u32_e32 vcc_lo, 0, v36
	v_add_nc_u32_e32 v36, 0xffffff91, v36
	v_cndmask_b32_e64 v39, v39, 0x6f, vcc_lo
	s_delay_alu instid0(VALU_DEP_2) | instskip(SKIP_1) | instid1(VALU_DEP_3)
	v_cndmask_b32_e64 v36, v36, 0xffffff92, vcc_lo
	v_cndmask_b32_e32 v38, v48, v38, vcc_lo
	v_lshl_add_u32 v48, 0x200000, v39, -1
	v_lshlrev_b32_e64 v51, v39, 0x100000
	s_delay_alu instid0(VALU_DEP_3) | instskip(SKIP_1) | instid1(VALU_DEP_4)
	v_lshrrev_b32_e32 v49, v39, v38
	v_add_nc_u32_e32 v39, v39, v36
	v_and_b32_e32 v38, v48, v38
	s_delay_alu instid0(VALU_DEP_3) | instskip(NEXT) | instid1(VALU_DEP_2)
	v_bfe_u32 v50, v49, 21, 1
	v_cmp_eq_u32_e64 s13, v38, v51
	s_delay_alu instid0(VALU_DEP_2) | instskip(NEXT) | instid1(VALU_DEP_1)
	v_add_nc_u32_e32 v48, -1, v50
	v_cndmask_b32_e64 v38, 0, v48, s13
	v_lshrrev_b32_e32 v48, 23, v49
	s_mov_b32 s13, exec_lo
	s_delay_alu instid0(VALU_DEP_2) | instskip(NEXT) | instid1(VALU_DEP_2)
	v_add_nc_u32_e32 v38, v38, v49
	v_xor_b32_e32 v48, 1, v48
	s_delay_alu instid0(VALU_DEP_2) | instskip(NEXT) | instid1(VALU_DEP_1)
	v_and_b32_e32 v36, 0x1fffff, v38
	v_add_nc_u32_e32 v38, v36, v49
                                        ; implicit-def: $vgpr36
	s_delay_alu instid0(VALU_DEP_3)
	v_cmpx_ne_u32_e64 v39, v48
	s_xor_b32 s13, exec_lo, s13
; %bb.16743:                            ;   in Loop: Header=BB6_15906 Depth=3
	s_delay_alu instid0(VALU_DEP_2) | instskip(SKIP_2) | instid1(VALU_DEP_2)
	v_cmp_lt_u32_e32 vcc_lo, 0xffffff, v38
	v_sub_nc_u32_e32 v36, v39, v48
	v_cndmask_b32_e64 v39, 0, 1, vcc_lo
	v_add_co_ci_u32_e32 v36, vcc_lo, 0, v36, vcc_lo
	s_delay_alu instid0(VALU_DEP_2)
	v_lshrrev_b32_e32 v38, v39, v38
; %bb.16744:                            ;   in Loop: Header=BB6_15906 Depth=3
	s_and_not1_saveexec_b32 s13, s13
; %bb.16745:                            ;   in Loop: Header=BB6_15906 Depth=3
	s_delay_alu instid0(VALU_DEP_1)
	v_bfe_u32 v36, v38, 23, 1
; %bb.16746:                            ;   in Loop: Header=BB6_15906 Depth=3
	s_or_b32 exec_lo, exec_lo, s13
	v_lshrrev_b32_e32 v38, 21, v38
	s_delay_alu instid0(VALU_DEP_2) | instskip(SKIP_2) | instid1(VALU_DEP_2)
	v_cmp_gt_i32_e32 vcc_lo, 32, v36
	v_lshrrev_b32_e32 v37, 24, v37
	v_min_i32_e32 v39, 31, v36
	v_dual_cndmask_b32 v38, 3, v38 :: v_dual_and_b32 v37, 0x80, v37
	s_delay_alu instid0(VALU_DEP_1) | instskip(SKIP_1) | instid1(VALU_DEP_2)
	v_or_b32_e32 v36, v36, v38
	v_and_b32_e32 v48, 3, v38
	v_cmp_ne_u32_e32 vcc_lo, 0, v36
	v_lshlrev_b32_e32 v39, 2, v39
	s_delay_alu instid0(VALU_DEP_1) | instskip(NEXT) | instid1(VALU_DEP_1)
	v_or3_b32 v37, v39, v37, v48
	v_cndmask_b32_e32 v36, 0, v37, vcc_lo
.LBB6_16747:                            ;   in Loop: Header=BB6_15906 Depth=3
	s_or_b32 exec_lo, exec_lo, s30
.LBB6_16748:                            ;   in Loop: Header=BB6_15906 Depth=3
	s_delay_alu instid0(SALU_CYCLE_1) | instskip(SKIP_3) | instid1(VALU_DEP_1)
	s_or_b32 exec_lo, exec_lo, s17
	v_and_b32_e32 v38, 0xff, v69
	s_mov_b32 s13, 0
	s_mov_b32 s30, exec_lo
                                        ; implicit-def: $sgpr17
	v_cmpx_lt_i16_e32 0x7f, v38
	s_xor_b32 s30, exec_lo, s30
	s_cbranch_execnz .LBB6_17165
; %bb.16749:                            ;   in Loop: Header=BB6_15906 Depth=3
	s_or_saveexec_b32 s30, s30
	v_mov_b32_e32 v37, s17
	s_xor_b32 exec_lo, exec_lo, s30
	s_cbranch_execnz .LBB6_17168
.LBB6_16750:                            ;   in Loop: Header=BB6_15906 Depth=3
	s_or_b32 exec_lo, exec_lo, s30
	s_and_saveexec_b32 s17, s13
	s_cbranch_execz .LBB6_16752
.LBB6_16751:                            ;   in Loop: Header=BB6_15906 Depth=3
	v_lshrrev_b16 v48, 2, v69
	v_lshlrev_b32_e32 v49, 24, v69
	s_delay_alu instid0(VALU_DEP_2) | instskip(NEXT) | instid1(VALU_DEP_1)
	v_and_b32_e32 v48, 31, v48
	v_cmp_eq_u32_e32 vcc_lo, 0, v48
	v_and_b32_e32 v37, 3, v69
	s_delay_alu instid0(VALU_DEP_1) | instskip(NEXT) | instid1(VALU_DEP_1)
	v_clz_i32_u32_e32 v38, v37
	v_min_u32_e32 v38, 32, v38
	s_delay_alu instid0(VALU_DEP_1) | instskip(SKIP_1) | instid1(VALU_DEP_1)
	v_subrev_nc_u32_e32 v39, 29, v38
	v_sub_nc_u32_e32 v38, 30, v38
	v_dual_cndmask_b32 v38, v48, v38 :: v_dual_lshlrev_b32 v39, v39, v69
	s_delay_alu instid0(VALU_DEP_1) | instskip(NEXT) | instid1(VALU_DEP_2)
	v_and_b32_e32 v39, 3, v39
	v_lshl_add_u32 v38, v38, 23, 0x37800000
	s_delay_alu instid0(VALU_DEP_2) | instskip(SKIP_1) | instid1(VALU_DEP_2)
	v_cndmask_b32_e32 v37, v37, v39, vcc_lo
	v_and_b32_e32 v39, 0x80000000, v49
	v_lshlrev_b32_e32 v37, 21, v37
	s_delay_alu instid0(VALU_DEP_1)
	v_or3_b32 v37, v39, v38, v37
.LBB6_16752:                            ;   in Loop: Header=BB6_15906 Depth=3
	s_or_b32 exec_lo, exec_lo, s17
	s_waitcnt vmcnt(3) lgkmcnt(3)
	v_and_b32_e32 v39, 0xff, v160
	s_mov_b32 s13, 0
	s_mov_b32 s30, exec_lo
                                        ; implicit-def: $sgpr17
	s_delay_alu instid0(VALU_DEP_1)
	v_cmpx_lt_i16_e32 0x7f, v39
	s_xor_b32 s30, exec_lo, s30
	s_cbranch_execnz .LBB6_17169
; %bb.16753:                            ;   in Loop: Header=BB6_15906 Depth=3
	s_or_saveexec_b32 s30, s30
	v_mov_b32_e32 v38, s17
	s_xor_b32 exec_lo, exec_lo, s30
	s_cbranch_execnz .LBB6_17172
.LBB6_16754:                            ;   in Loop: Header=BB6_15906 Depth=3
	s_or_b32 exec_lo, exec_lo, s30
	s_and_saveexec_b32 s17, s13
	s_cbranch_execz .LBB6_16756
.LBB6_16755:                            ;   in Loop: Header=BB6_15906 Depth=3
	v_lshrrev_b16 v49, 2, v160
	v_lshlrev_b32_e32 v50, 24, v160
	s_delay_alu instid0(VALU_DEP_2) | instskip(NEXT) | instid1(VALU_DEP_1)
	v_and_b32_e32 v49, 31, v49
	v_cmp_eq_u32_e32 vcc_lo, 0, v49
	v_and_b32_e32 v38, 3, v160
	s_delay_alu instid0(VALU_DEP_1) | instskip(NEXT) | instid1(VALU_DEP_1)
	v_clz_i32_u32_e32 v39, v38
	v_min_u32_e32 v39, 32, v39
	s_delay_alu instid0(VALU_DEP_1) | instskip(SKIP_1) | instid1(VALU_DEP_1)
	v_subrev_nc_u32_e32 v48, 29, v39
	v_sub_nc_u32_e32 v39, 30, v39
	v_dual_cndmask_b32 v39, v49, v39 :: v_dual_lshlrev_b32 v48, v48, v160
	s_delay_alu instid0(VALU_DEP_1) | instskip(NEXT) | instid1(VALU_DEP_2)
	v_and_b32_e32 v48, 3, v48
	v_lshl_add_u32 v39, v39, 23, 0x37800000
	s_delay_alu instid0(VALU_DEP_2) | instskip(SKIP_1) | instid1(VALU_DEP_2)
	v_cndmask_b32_e32 v38, v38, v48, vcc_lo
	v_and_b32_e32 v48, 0x80000000, v50
	v_lshlrev_b32_e32 v38, 21, v38
	s_delay_alu instid0(VALU_DEP_1)
	v_or3_b32 v38, v48, v39, v38
.LBB6_16756:                            ;   in Loop: Header=BB6_15906 Depth=3
	s_or_b32 exec_lo, exec_lo, s17
	s_delay_alu instid0(VALU_DEP_1) | instskip(NEXT) | instid1(VALU_DEP_1)
	v_add_f32_e32 v38, v37, v38
	v_and_b32_e32 v37, 0x7f800000, v38
	s_delay_alu instid0(VALU_DEP_1)
	v_cmp_ne_u32_e32 vcc_lo, 0x7f800000, v37
	v_mov_b32_e32 v37, 0x80
	s_and_saveexec_b32 s17, vcc_lo
	s_cbranch_execz .LBB6_16764
; %bb.16757:                            ;   in Loop: Header=BB6_15906 Depth=3
	v_mov_b32_e32 v37, 0
	s_mov_b32 s30, exec_lo
	v_cmpx_ne_u32_e32 0, v38
	s_cbranch_execz .LBB6_16763
; %bb.16758:                            ;   in Loop: Header=BB6_15906 Depth=3
	v_bfe_u32 v37, v38, 23, 8
	s_delay_alu instid0(VALU_DEP_1) | instskip(SKIP_1) | instid1(VALU_DEP_2)
	v_sub_nc_u32_e32 v48, 0x70, v37
	v_cmp_gt_u32_e32 vcc_lo, 0x71, v37
	v_dual_cndmask_b32 v48, 0, v48 :: v_dual_and_b32 v39, 0x7fffff, v38
	s_delay_alu instid0(VALU_DEP_1) | instskip(SKIP_2) | instid1(VALU_DEP_4)
	v_or_b32_e32 v49, 0x800000, v39
	v_cmp_eq_u32_e32 vcc_lo, 0, v37
	v_add_nc_u32_e32 v37, 0xffffff91, v37
	v_cndmask_b32_e64 v48, v48, 0x6f, vcc_lo
	s_delay_alu instid0(VALU_DEP_2) | instskip(SKIP_1) | instid1(VALU_DEP_3)
	v_cndmask_b32_e64 v37, v37, 0xffffff92, vcc_lo
	v_cndmask_b32_e32 v39, v49, v39, vcc_lo
	v_lshl_add_u32 v49, 0x200000, v48, -1
	v_lshlrev_b32_e64 v53, v48, 0x100000
	s_delay_alu instid0(VALU_DEP_3) | instskip(SKIP_1) | instid1(VALU_DEP_4)
	v_lshrrev_b32_e32 v50, v48, v39
	v_add_nc_u32_e32 v48, v48, v37
	v_and_b32_e32 v39, v49, v39
	s_delay_alu instid0(VALU_DEP_3) | instskip(NEXT) | instid1(VALU_DEP_2)
	v_bfe_u32 v51, v50, 21, 1
	v_cmp_eq_u32_e64 s13, v39, v53
	s_delay_alu instid0(VALU_DEP_2) | instskip(NEXT) | instid1(VALU_DEP_1)
	v_add_nc_u32_e32 v49, -1, v51
	v_cndmask_b32_e64 v39, 0, v49, s13
	v_lshrrev_b32_e32 v49, 23, v50
	s_mov_b32 s13, exec_lo
	s_delay_alu instid0(VALU_DEP_2) | instskip(NEXT) | instid1(VALU_DEP_2)
	v_add_nc_u32_e32 v39, v39, v50
	v_xor_b32_e32 v49, 1, v49
	s_delay_alu instid0(VALU_DEP_2) | instskip(NEXT) | instid1(VALU_DEP_1)
	v_and_b32_e32 v37, 0x1fffff, v39
	v_add_nc_u32_e32 v39, v37, v50
                                        ; implicit-def: $vgpr37
	s_delay_alu instid0(VALU_DEP_3)
	v_cmpx_ne_u32_e64 v48, v49
	s_xor_b32 s13, exec_lo, s13
; %bb.16759:                            ;   in Loop: Header=BB6_15906 Depth=3
	s_delay_alu instid0(VALU_DEP_2) | instskip(SKIP_2) | instid1(VALU_DEP_2)
	v_cmp_lt_u32_e32 vcc_lo, 0xffffff, v39
	v_sub_nc_u32_e32 v37, v48, v49
	v_cndmask_b32_e64 v48, 0, 1, vcc_lo
	v_add_co_ci_u32_e32 v37, vcc_lo, 0, v37, vcc_lo
	s_delay_alu instid0(VALU_DEP_2)
	v_lshrrev_b32_e32 v39, v48, v39
; %bb.16760:                            ;   in Loop: Header=BB6_15906 Depth=3
	s_and_not1_saveexec_b32 s13, s13
; %bb.16761:                            ;   in Loop: Header=BB6_15906 Depth=3
	s_delay_alu instid0(VALU_DEP_1)
	v_bfe_u32 v37, v39, 23, 1
; %bb.16762:                            ;   in Loop: Header=BB6_15906 Depth=3
	s_or_b32 exec_lo, exec_lo, s13
	v_lshrrev_b32_e32 v39, 21, v39
	s_delay_alu instid0(VALU_DEP_2) | instskip(SKIP_2) | instid1(VALU_DEP_2)
	v_cmp_gt_i32_e32 vcc_lo, 32, v37
	v_lshrrev_b32_e32 v38, 24, v38
	v_min_i32_e32 v48, 31, v37
	v_dual_cndmask_b32 v39, 3, v39 :: v_dual_and_b32 v38, 0x80, v38
	s_delay_alu instid0(VALU_DEP_1) | instskip(SKIP_1) | instid1(VALU_DEP_2)
	v_or_b32_e32 v37, v37, v39
	v_and_b32_e32 v49, 3, v39
	v_cmp_ne_u32_e32 vcc_lo, 0, v37
	v_lshlrev_b32_e32 v48, 2, v48
	s_delay_alu instid0(VALU_DEP_1) | instskip(NEXT) | instid1(VALU_DEP_1)
	v_or3_b32 v38, v48, v38, v49
	v_cndmask_b32_e32 v37, 0, v38, vcc_lo
.LBB6_16763:                            ;   in Loop: Header=BB6_15906 Depth=3
	s_or_b32 exec_lo, exec_lo, s30
.LBB6_16764:                            ;   in Loop: Header=BB6_15906 Depth=3
	s_delay_alu instid0(SALU_CYCLE_1) | instskip(SKIP_3) | instid1(VALU_DEP_1)
	s_or_b32 exec_lo, exec_lo, s17
	v_and_b32_e32 v39, 0xff, v22
	s_mov_b32 s13, 0
	s_mov_b32 s30, exec_lo
                                        ; implicit-def: $sgpr17
	v_cmpx_lt_i16_e32 0x7f, v39
	s_xor_b32 s30, exec_lo, s30
	s_cbranch_execnz .LBB6_17173
; %bb.16765:                            ;   in Loop: Header=BB6_15906 Depth=3
	s_or_saveexec_b32 s30, s30
	v_mov_b32_e32 v38, s17
	s_xor_b32 exec_lo, exec_lo, s30
	s_cbranch_execnz .LBB6_17176
.LBB6_16766:                            ;   in Loop: Header=BB6_15906 Depth=3
	s_or_b32 exec_lo, exec_lo, s30
	s_and_saveexec_b32 s17, s13
	s_cbranch_execz .LBB6_16768
.LBB6_16767:                            ;   in Loop: Header=BB6_15906 Depth=3
	v_lshrrev_b16 v49, 2, v22
	s_delay_alu instid0(VALU_DEP_1) | instskip(NEXT) | instid1(VALU_DEP_1)
	v_and_b32_e32 v49, 31, v49
	v_cmp_eq_u32_e32 vcc_lo, 0, v49
	v_and_b32_e32 v38, 3, v22
	s_delay_alu instid0(VALU_DEP_1) | instskip(NEXT) | instid1(VALU_DEP_1)
	v_clz_i32_u32_e32 v39, v38
	v_min_u32_e32 v39, 32, v39
	s_delay_alu instid0(VALU_DEP_1) | instskip(SKIP_1) | instid1(VALU_DEP_1)
	v_subrev_nc_u32_e32 v48, 29, v39
	v_sub_nc_u32_e32 v39, 30, v39
	v_dual_cndmask_b32 v39, v49, v39 :: v_dual_lshlrev_b32 v48, v48, v22
	v_lshlrev_b32_e32 v22, 24, v22
	s_delay_alu instid0(VALU_DEP_2) | instskip(NEXT) | instid1(VALU_DEP_3)
	v_and_b32_e32 v48, 3, v48
	v_lshl_add_u32 v39, v39, 23, 0x37800000
	s_delay_alu instid0(VALU_DEP_3) | instskip(NEXT) | instid1(VALU_DEP_3)
	v_and_b32_e32 v22, 0x80000000, v22
	v_cndmask_b32_e32 v38, v38, v48, vcc_lo
	s_delay_alu instid0(VALU_DEP_1) | instskip(NEXT) | instid1(VALU_DEP_1)
	v_lshlrev_b32_e32 v38, 21, v38
	v_or3_b32 v38, v22, v39, v38
.LBB6_16768:                            ;   in Loop: Header=BB6_15906 Depth=3
	s_or_b32 exec_lo, exec_lo, s17
	s_waitcnt vmcnt(2) lgkmcnt(2)
	v_and_b32_e32 v39, 0xff, v82
	s_mov_b32 s13, 0
	s_mov_b32 s30, exec_lo
                                        ; implicit-def: $sgpr17
	s_delay_alu instid0(VALU_DEP_1)
	v_cmpx_lt_i16_e32 0x7f, v39
	s_xor_b32 s30, exec_lo, s30
	s_cbranch_execnz .LBB6_17177
; %bb.16769:                            ;   in Loop: Header=BB6_15906 Depth=3
	s_or_saveexec_b32 s30, s30
	v_mov_b32_e32 v22, s17
	s_xor_b32 exec_lo, exec_lo, s30
	s_cbranch_execnz .LBB6_17180
.LBB6_16770:                            ;   in Loop: Header=BB6_15906 Depth=3
	s_or_b32 exec_lo, exec_lo, s30
	s_and_saveexec_b32 s17, s13
	s_cbranch_execz .LBB6_16772
.LBB6_16771:                            ;   in Loop: Header=BB6_15906 Depth=3
	v_lshrrev_b16 v49, 2, v82
	v_lshlrev_b32_e32 v50, 24, v82
	s_delay_alu instid0(VALU_DEP_2) | instskip(NEXT) | instid1(VALU_DEP_1)
	v_and_b32_e32 v49, 31, v49
	v_cmp_eq_u32_e32 vcc_lo, 0, v49
	v_and_b32_e32 v22, 3, v82
	s_delay_alu instid0(VALU_DEP_1) | instskip(NEXT) | instid1(VALU_DEP_1)
	v_clz_i32_u32_e32 v39, v22
	v_min_u32_e32 v39, 32, v39
	s_delay_alu instid0(VALU_DEP_1) | instskip(SKIP_1) | instid1(VALU_DEP_1)
	v_subrev_nc_u32_e32 v48, 29, v39
	v_sub_nc_u32_e32 v39, 30, v39
	v_dual_cndmask_b32 v39, v49, v39 :: v_dual_lshlrev_b32 v48, v48, v82
	s_delay_alu instid0(VALU_DEP_1) | instskip(NEXT) | instid1(VALU_DEP_2)
	v_and_b32_e32 v48, 3, v48
	v_lshl_add_u32 v39, v39, 23, 0x37800000
	s_delay_alu instid0(VALU_DEP_2) | instskip(SKIP_1) | instid1(VALU_DEP_2)
	v_cndmask_b32_e32 v22, v22, v48, vcc_lo
	v_and_b32_e32 v48, 0x80000000, v50
	v_lshlrev_b32_e32 v22, 21, v22
	s_delay_alu instid0(VALU_DEP_1)
	v_or3_b32 v22, v48, v39, v22
.LBB6_16772:                            ;   in Loop: Header=BB6_15906 Depth=3
	s_or_b32 exec_lo, exec_lo, s17
	s_delay_alu instid0(VALU_DEP_1) | instskip(NEXT) | instid1(VALU_DEP_1)
	v_add_f32_e32 v38, v38, v22
	v_and_b32_e32 v22, 0x7f800000, v38
	s_delay_alu instid0(VALU_DEP_1)
	v_cmp_ne_u32_e32 vcc_lo, 0x7f800000, v22
	v_mov_b32_e32 v22, 0x80
	s_and_saveexec_b32 s17, vcc_lo
	s_cbranch_execz .LBB6_16780
; %bb.16773:                            ;   in Loop: Header=BB6_15906 Depth=3
	v_mov_b32_e32 v22, 0
	s_mov_b32 s30, exec_lo
	v_cmpx_ne_u32_e32 0, v38
	s_cbranch_execz .LBB6_16779
; %bb.16774:                            ;   in Loop: Header=BB6_15906 Depth=3
	v_bfe_u32 v22, v38, 23, 8
	s_delay_alu instid0(VALU_DEP_1) | instskip(SKIP_1) | instid1(VALU_DEP_2)
	v_sub_nc_u32_e32 v48, 0x70, v22
	v_cmp_gt_u32_e32 vcc_lo, 0x71, v22
	v_dual_cndmask_b32 v48, 0, v48 :: v_dual_and_b32 v39, 0x7fffff, v38
	s_delay_alu instid0(VALU_DEP_1) | instskip(SKIP_2) | instid1(VALU_DEP_4)
	v_or_b32_e32 v49, 0x800000, v39
	v_cmp_eq_u32_e32 vcc_lo, 0, v22
	v_add_nc_u32_e32 v22, 0xffffff91, v22
	v_cndmask_b32_e64 v48, v48, 0x6f, vcc_lo
	s_delay_alu instid0(VALU_DEP_4) | instskip(NEXT) | instid1(VALU_DEP_3)
	v_cndmask_b32_e32 v39, v49, v39, vcc_lo
	v_cndmask_b32_e64 v22, v22, 0xffffff92, vcc_lo
	s_delay_alu instid0(VALU_DEP_3) | instskip(NEXT) | instid1(VALU_DEP_3)
	v_lshl_add_u32 v49, 0x200000, v48, -1
	v_lshrrev_b32_e32 v50, v48, v39
	v_lshlrev_b32_e64 v53, v48, 0x100000
	s_delay_alu instid0(VALU_DEP_4) | instskip(NEXT) | instid1(VALU_DEP_4)
	v_add_nc_u32_e32 v48, v48, v22
	v_and_b32_e32 v39, v49, v39
	s_delay_alu instid0(VALU_DEP_4) | instskip(NEXT) | instid1(VALU_DEP_2)
	v_bfe_u32 v51, v50, 21, 1
	v_cmp_eq_u32_e64 s13, v39, v53
	s_delay_alu instid0(VALU_DEP_2) | instskip(NEXT) | instid1(VALU_DEP_1)
	v_add_nc_u32_e32 v49, -1, v51
	v_cndmask_b32_e64 v39, 0, v49, s13
	v_lshrrev_b32_e32 v49, 23, v50
	s_mov_b32 s13, exec_lo
	s_delay_alu instid0(VALU_DEP_2) | instskip(NEXT) | instid1(VALU_DEP_2)
	v_add_nc_u32_e32 v39, v39, v50
	v_xor_b32_e32 v49, 1, v49
	s_delay_alu instid0(VALU_DEP_2) | instskip(NEXT) | instid1(VALU_DEP_1)
	v_and_b32_e32 v22, 0x1fffff, v39
	v_add_nc_u32_e32 v39, v22, v50
                                        ; implicit-def: $vgpr22
	s_delay_alu instid0(VALU_DEP_3)
	v_cmpx_ne_u32_e64 v48, v49
	s_xor_b32 s13, exec_lo, s13
; %bb.16775:                            ;   in Loop: Header=BB6_15906 Depth=3
	s_delay_alu instid0(VALU_DEP_2) | instskip(SKIP_2) | instid1(VALU_DEP_2)
	v_cmp_lt_u32_e32 vcc_lo, 0xffffff, v39
	v_sub_nc_u32_e32 v22, v48, v49
	v_cndmask_b32_e64 v48, 0, 1, vcc_lo
	v_add_co_ci_u32_e32 v22, vcc_lo, 0, v22, vcc_lo
	s_delay_alu instid0(VALU_DEP_2)
	v_lshrrev_b32_e32 v39, v48, v39
; %bb.16776:                            ;   in Loop: Header=BB6_15906 Depth=3
	s_and_not1_saveexec_b32 s13, s13
; %bb.16777:                            ;   in Loop: Header=BB6_15906 Depth=3
	s_delay_alu instid0(VALU_DEP_1)
	v_bfe_u32 v22, v39, 23, 1
; %bb.16778:                            ;   in Loop: Header=BB6_15906 Depth=3
	s_or_b32 exec_lo, exec_lo, s13
	v_lshrrev_b32_e32 v39, 21, v39
	s_delay_alu instid0(VALU_DEP_2) | instskip(SKIP_2) | instid1(VALU_DEP_2)
	v_cmp_gt_i32_e32 vcc_lo, 32, v22
	v_lshrrev_b32_e32 v38, 24, v38
	v_min_i32_e32 v48, 31, v22
	v_dual_cndmask_b32 v39, 3, v39 :: v_dual_and_b32 v38, 0x80, v38
	s_delay_alu instid0(VALU_DEP_2) | instskip(NEXT) | instid1(VALU_DEP_2)
	v_lshlrev_b32_e32 v48, 2, v48
	v_or_b32_e32 v22, v22, v39
	s_delay_alu instid0(VALU_DEP_1) | instskip(SKIP_1) | instid1(VALU_DEP_1)
	v_cmp_ne_u32_e32 vcc_lo, 0, v22
	v_and_b32_e32 v49, 3, v39
	v_or3_b32 v38, v48, v38, v49
	s_delay_alu instid0(VALU_DEP_1)
	v_cndmask_b32_e32 v22, 0, v38, vcc_lo
.LBB6_16779:                            ;   in Loop: Header=BB6_15906 Depth=3
	s_or_b32 exec_lo, exec_lo, s30
.LBB6_16780:                            ;   in Loop: Header=BB6_15906 Depth=3
	s_delay_alu instid0(SALU_CYCLE_1) | instskip(SKIP_3) | instid1(VALU_DEP_1)
	s_or_b32 exec_lo, exec_lo, s17
	v_and_b32_e32 v39, 0xff, v20
	s_mov_b32 s13, 0
	s_mov_b32 s30, exec_lo
                                        ; implicit-def: $sgpr17
	v_cmpx_lt_i16_e32 0x7f, v39
	s_xor_b32 s30, exec_lo, s30
	s_cbranch_execnz .LBB6_17181
; %bb.16781:                            ;   in Loop: Header=BB6_15906 Depth=3
	s_or_saveexec_b32 s30, s30
	v_mov_b32_e32 v38, s17
	s_xor_b32 exec_lo, exec_lo, s30
	s_cbranch_execnz .LBB6_17184
.LBB6_16782:                            ;   in Loop: Header=BB6_15906 Depth=3
	s_or_b32 exec_lo, exec_lo, s30
	s_and_saveexec_b32 s17, s13
	s_cbranch_execz .LBB6_16784
.LBB6_16783:                            ;   in Loop: Header=BB6_15906 Depth=3
	v_lshrrev_b16 v49, 2, v20
	s_delay_alu instid0(VALU_DEP_1) | instskip(NEXT) | instid1(VALU_DEP_1)
	v_and_b32_e32 v49, 31, v49
	v_cmp_eq_u32_e32 vcc_lo, 0, v49
	v_and_b32_e32 v38, 3, v20
	s_delay_alu instid0(VALU_DEP_1) | instskip(NEXT) | instid1(VALU_DEP_1)
	v_clz_i32_u32_e32 v39, v38
	v_min_u32_e32 v39, 32, v39
	s_delay_alu instid0(VALU_DEP_1) | instskip(SKIP_1) | instid1(VALU_DEP_1)
	v_subrev_nc_u32_e32 v48, 29, v39
	v_sub_nc_u32_e32 v39, 30, v39
	v_dual_cndmask_b32 v39, v49, v39 :: v_dual_lshlrev_b32 v48, v48, v20
	v_lshlrev_b32_e32 v20, 24, v20
	s_delay_alu instid0(VALU_DEP_2) | instskip(NEXT) | instid1(VALU_DEP_3)
	v_and_b32_e32 v48, 3, v48
	v_lshl_add_u32 v39, v39, 23, 0x37800000
	s_delay_alu instid0(VALU_DEP_3) | instskip(NEXT) | instid1(VALU_DEP_3)
	v_and_b32_e32 v20, 0x80000000, v20
	v_cndmask_b32_e32 v38, v38, v48, vcc_lo
	s_delay_alu instid0(VALU_DEP_1) | instskip(NEXT) | instid1(VALU_DEP_1)
	v_lshlrev_b32_e32 v38, 21, v38
	v_or3_b32 v38, v20, v39, v38
.LBB6_16784:                            ;   in Loop: Header=BB6_15906 Depth=3
	s_or_b32 exec_lo, exec_lo, s17
	s_waitcnt vmcnt(1) lgkmcnt(1)
	v_and_b32_e32 v39, 0xff, v23
	s_mov_b32 s13, 0
	s_mov_b32 s30, exec_lo
                                        ; implicit-def: $sgpr17
	s_delay_alu instid0(VALU_DEP_1)
	v_cmpx_lt_i16_e32 0x7f, v39
	s_xor_b32 s30, exec_lo, s30
	s_cbranch_execnz .LBB6_17185
; %bb.16785:                            ;   in Loop: Header=BB6_15906 Depth=3
	s_or_saveexec_b32 s30, s30
	v_mov_b32_e32 v20, s17
	s_xor_b32 exec_lo, exec_lo, s30
	s_cbranch_execnz .LBB6_17188
.LBB6_16786:                            ;   in Loop: Header=BB6_15906 Depth=3
	s_or_b32 exec_lo, exec_lo, s30
	s_and_saveexec_b32 s17, s13
	s_cbranch_execz .LBB6_16788
.LBB6_16787:                            ;   in Loop: Header=BB6_15906 Depth=3
	v_and_b32_e32 v20, 3, v23
	v_lshrrev_b16 v49, 2, v23
	s_delay_alu instid0(VALU_DEP_2) | instskip(NEXT) | instid1(VALU_DEP_1)
	v_clz_i32_u32_e32 v39, v20
	v_min_u32_e32 v39, 32, v39
	s_delay_alu instid0(VALU_DEP_1) | instskip(SKIP_1) | instid1(VALU_DEP_2)
	v_subrev_nc_u32_e32 v48, 29, v39
	v_sub_nc_u32_e32 v39, 30, v39
	v_lshlrev_b32_e32 v48, v48, v23
	v_lshlrev_b32_e32 v23, 24, v23
	s_delay_alu instid0(VALU_DEP_2) | instskip(SKIP_1) | instid1(VALU_DEP_3)
	v_and_b32_e32 v48, 3, v48
	v_and_b32_e32 v49, 31, v49
	;; [unrolled: 1-line block ×3, first 2 shown]
	s_delay_alu instid0(VALU_DEP_2) | instskip(NEXT) | instid1(VALU_DEP_4)
	v_cmp_eq_u32_e32 vcc_lo, 0, v49
	v_dual_cndmask_b32 v20, v20, v48 :: v_dual_cndmask_b32 v39, v49, v39
	s_delay_alu instid0(VALU_DEP_1) | instskip(NEXT) | instid1(VALU_DEP_2)
	v_lshlrev_b32_e32 v20, 21, v20
	v_lshl_add_u32 v39, v39, 23, 0x37800000
	s_delay_alu instid0(VALU_DEP_1)
	v_or3_b32 v20, v23, v39, v20
.LBB6_16788:                            ;   in Loop: Header=BB6_15906 Depth=3
	s_or_b32 exec_lo, exec_lo, s17
	s_delay_alu instid0(VALU_DEP_1) | instskip(NEXT) | instid1(VALU_DEP_1)
	v_add_f32_e32 v23, v38, v20
	v_and_b32_e32 v20, 0x7f800000, v23
	s_delay_alu instid0(VALU_DEP_1)
	v_cmp_ne_u32_e32 vcc_lo, 0x7f800000, v20
	v_mov_b32_e32 v20, 0x80
	s_and_saveexec_b32 s17, vcc_lo
	s_cbranch_execz .LBB6_16796
; %bb.16789:                            ;   in Loop: Header=BB6_15906 Depth=3
	v_mov_b32_e32 v20, 0
	s_mov_b32 s30, exec_lo
	v_cmpx_ne_u32_e32 0, v23
	s_cbranch_execz .LBB6_16795
; %bb.16790:                            ;   in Loop: Header=BB6_15906 Depth=3
	v_bfe_u32 v20, v23, 23, 8
	v_and_b32_e32 v38, 0x7fffff, v23
	s_delay_alu instid0(VALU_DEP_2) | instskip(SKIP_1) | instid1(VALU_DEP_3)
	v_sub_nc_u32_e32 v39, 0x70, v20
	v_cmp_gt_u32_e32 vcc_lo, 0x71, v20
	v_or_b32_e32 v48, 0x800000, v38
	s_delay_alu instid0(VALU_DEP_3) | instskip(SKIP_2) | instid1(VALU_DEP_4)
	v_cndmask_b32_e32 v39, 0, v39, vcc_lo
	v_cmp_eq_u32_e32 vcc_lo, 0, v20
	v_add_nc_u32_e32 v20, 0xffffff91, v20
	v_cndmask_b32_e32 v38, v48, v38, vcc_lo
	s_delay_alu instid0(VALU_DEP_4) | instskip(NEXT) | instid1(VALU_DEP_3)
	v_cndmask_b32_e64 v39, v39, 0x6f, vcc_lo
	v_cndmask_b32_e64 v20, v20, 0xffffff92, vcc_lo
	s_delay_alu instid0(VALU_DEP_2) | instskip(SKIP_2) | instid1(VALU_DEP_4)
	v_lshrrev_b32_e32 v49, v39, v38
	v_lshl_add_u32 v48, 0x200000, v39, -1
	v_lshlrev_b32_e64 v51, v39, 0x100000
	v_add_nc_u32_e32 v39, v39, v20
	s_delay_alu instid0(VALU_DEP_4) | instskip(NEXT) | instid1(VALU_DEP_4)
	v_bfe_u32 v50, v49, 21, 1
	v_and_b32_e32 v38, v48, v38
	s_delay_alu instid0(VALU_DEP_2) | instskip(NEXT) | instid1(VALU_DEP_2)
	v_add_nc_u32_e32 v48, -1, v50
	v_cmp_eq_u32_e64 s13, v38, v51
	s_delay_alu instid0(VALU_DEP_1) | instskip(SKIP_2) | instid1(VALU_DEP_2)
	v_cndmask_b32_e64 v38, 0, v48, s13
	v_lshrrev_b32_e32 v48, 23, v49
	s_mov_b32 s13, exec_lo
	v_add_nc_u32_e32 v38, v38, v49
	s_delay_alu instid0(VALU_DEP_2) | instskip(NEXT) | instid1(VALU_DEP_2)
	v_xor_b32_e32 v48, 1, v48
	v_and_b32_e32 v20, 0x1fffff, v38
	s_delay_alu instid0(VALU_DEP_1) | instskip(NEXT) | instid1(VALU_DEP_3)
	v_add_nc_u32_e32 v38, v20, v49
                                        ; implicit-def: $vgpr20
	v_cmpx_ne_u32_e64 v39, v48
	s_xor_b32 s13, exec_lo, s13
; %bb.16791:                            ;   in Loop: Header=BB6_15906 Depth=3
	s_delay_alu instid0(VALU_DEP_2) | instskip(SKIP_2) | instid1(VALU_DEP_2)
	v_cmp_lt_u32_e32 vcc_lo, 0xffffff, v38
	v_sub_nc_u32_e32 v20, v39, v48
	v_cndmask_b32_e64 v39, 0, 1, vcc_lo
	v_add_co_ci_u32_e32 v20, vcc_lo, 0, v20, vcc_lo
	s_delay_alu instid0(VALU_DEP_2)
	v_lshrrev_b32_e32 v38, v39, v38
; %bb.16792:                            ;   in Loop: Header=BB6_15906 Depth=3
	s_and_not1_saveexec_b32 s13, s13
; %bb.16793:                            ;   in Loop: Header=BB6_15906 Depth=3
	s_delay_alu instid0(VALU_DEP_1)
	v_bfe_u32 v20, v38, 23, 1
; %bb.16794:                            ;   in Loop: Header=BB6_15906 Depth=3
	s_or_b32 exec_lo, exec_lo, s13
	v_lshrrev_b32_e32 v38, 21, v38
	s_delay_alu instid0(VALU_DEP_2) | instskip(SKIP_2) | instid1(VALU_DEP_2)
	v_cmp_gt_i32_e32 vcc_lo, 32, v20
	v_lshrrev_b32_e32 v23, 24, v23
	v_min_i32_e32 v39, 31, v20
	v_dual_cndmask_b32 v38, 3, v38 :: v_dual_and_b32 v23, 0x80, v23
	s_delay_alu instid0(VALU_DEP_2) | instskip(NEXT) | instid1(VALU_DEP_2)
	v_lshlrev_b32_e32 v39, 2, v39
	v_and_b32_e32 v48, 3, v38
	v_or_b32_e32 v20, v20, v38
	s_delay_alu instid0(VALU_DEP_2) | instskip(NEXT) | instid1(VALU_DEP_2)
	v_or3_b32 v23, v39, v23, v48
	v_cmp_ne_u32_e32 vcc_lo, 0, v20
	s_delay_alu instid0(VALU_DEP_2)
	v_cndmask_b32_e32 v20, 0, v23, vcc_lo
.LBB6_16795:                            ;   in Loop: Header=BB6_15906 Depth=3
	s_or_b32 exec_lo, exec_lo, s30
.LBB6_16796:                            ;   in Loop: Header=BB6_15906 Depth=3
	s_delay_alu instid0(SALU_CYCLE_1) | instskip(SKIP_3) | instid1(VALU_DEP_1)
	s_or_b32 exec_lo, exec_lo, s17
	v_and_b32_e32 v38, 0xff, v15
	s_mov_b32 s13, 0
	s_mov_b32 s30, exec_lo
                                        ; implicit-def: $sgpr17
	v_cmpx_lt_i16_e32 0x7f, v38
	s_xor_b32 s30, exec_lo, s30
	s_cbranch_execnz .LBB6_17189
; %bb.16797:                            ;   in Loop: Header=BB6_15906 Depth=3
	s_or_saveexec_b32 s30, s30
	v_mov_b32_e32 v23, s17
	s_xor_b32 exec_lo, exec_lo, s30
	s_cbranch_execnz .LBB6_17192
.LBB6_16798:                            ;   in Loop: Header=BB6_15906 Depth=3
	s_or_b32 exec_lo, exec_lo, s30
	s_and_saveexec_b32 s17, s13
	s_cbranch_execz .LBB6_16800
.LBB6_16799:                            ;   in Loop: Header=BB6_15906 Depth=3
	v_lshrrev_b16 v48, 2, v15
	s_delay_alu instid0(VALU_DEP_1) | instskip(NEXT) | instid1(VALU_DEP_1)
	v_and_b32_e32 v48, 31, v48
	v_cmp_eq_u32_e32 vcc_lo, 0, v48
	v_and_b32_e32 v23, 3, v15
	s_delay_alu instid0(VALU_DEP_1) | instskip(NEXT) | instid1(VALU_DEP_1)
	v_clz_i32_u32_e32 v38, v23
	v_min_u32_e32 v38, 32, v38
	s_delay_alu instid0(VALU_DEP_1) | instskip(SKIP_1) | instid1(VALU_DEP_1)
	v_subrev_nc_u32_e32 v39, 29, v38
	v_sub_nc_u32_e32 v38, 30, v38
	v_dual_cndmask_b32 v38, v48, v38 :: v_dual_lshlrev_b32 v39, v39, v15
	v_lshlrev_b32_e32 v15, 24, v15
	s_delay_alu instid0(VALU_DEP_2) | instskip(NEXT) | instid1(VALU_DEP_3)
	v_and_b32_e32 v39, 3, v39
	v_lshl_add_u32 v38, v38, 23, 0x37800000
	s_delay_alu instid0(VALU_DEP_3) | instskip(NEXT) | instid1(VALU_DEP_3)
	v_and_b32_e32 v15, 0x80000000, v15
	v_cndmask_b32_e32 v23, v23, v39, vcc_lo
	s_delay_alu instid0(VALU_DEP_1) | instskip(NEXT) | instid1(VALU_DEP_1)
	v_lshlrev_b32_e32 v23, 21, v23
	v_or3_b32 v23, v15, v38, v23
.LBB6_16800:                            ;   in Loop: Header=BB6_15906 Depth=3
	s_or_b32 exec_lo, exec_lo, s17
	s_waitcnt vmcnt(0) lgkmcnt(0)
	v_and_b32_e32 v38, 0xff, v14
	s_mov_b32 s13, 0
	s_mov_b32 s30, exec_lo
                                        ; implicit-def: $sgpr17
	s_delay_alu instid0(VALU_DEP_1)
	v_cmpx_lt_i16_e32 0x7f, v38
	s_xor_b32 s30, exec_lo, s30
	s_cbranch_execnz .LBB6_17193
; %bb.16801:                            ;   in Loop: Header=BB6_15906 Depth=3
	s_or_saveexec_b32 s30, s30
	v_mov_b32_e32 v15, s17
	s_xor_b32 exec_lo, exec_lo, s30
	s_cbranch_execnz .LBB6_17196
.LBB6_16802:                            ;   in Loop: Header=BB6_15906 Depth=3
	s_or_b32 exec_lo, exec_lo, s30
	s_and_saveexec_b32 s17, s13
	s_cbranch_execz .LBB6_16804
.LBB6_16803:                            ;   in Loop: Header=BB6_15906 Depth=3
	v_and_b32_e32 v15, 3, v14
	v_lshrrev_b16 v48, 2, v14
	s_delay_alu instid0(VALU_DEP_2) | instskip(NEXT) | instid1(VALU_DEP_1)
	v_clz_i32_u32_e32 v38, v15
	v_min_u32_e32 v38, 32, v38
	s_delay_alu instid0(VALU_DEP_1) | instskip(SKIP_1) | instid1(VALU_DEP_2)
	v_subrev_nc_u32_e32 v39, 29, v38
	v_sub_nc_u32_e32 v38, 30, v38
	v_lshlrev_b32_e32 v39, v39, v14
	v_lshlrev_b32_e32 v14, 24, v14
	s_delay_alu instid0(VALU_DEP_2) | instskip(SKIP_1) | instid1(VALU_DEP_3)
	v_and_b32_e32 v39, 3, v39
	v_and_b32_e32 v48, 31, v48
	;; [unrolled: 1-line block ×3, first 2 shown]
	s_delay_alu instid0(VALU_DEP_2) | instskip(NEXT) | instid1(VALU_DEP_4)
	v_cmp_eq_u32_e32 vcc_lo, 0, v48
	v_dual_cndmask_b32 v15, v15, v39 :: v_dual_cndmask_b32 v38, v48, v38
	s_delay_alu instid0(VALU_DEP_1) | instskip(NEXT) | instid1(VALU_DEP_2)
	v_lshlrev_b32_e32 v15, 21, v15
	v_lshl_add_u32 v38, v38, 23, 0x37800000
	s_delay_alu instid0(VALU_DEP_1)
	v_or3_b32 v15, v14, v38, v15
.LBB6_16804:                            ;   in Loop: Header=BB6_15906 Depth=3
	s_or_b32 exec_lo, exec_lo, s17
	s_delay_alu instid0(VALU_DEP_1) | instskip(NEXT) | instid1(VALU_DEP_1)
	v_add_f32_e32 v15, v23, v15
	v_and_b32_e32 v14, 0x7f800000, v15
	s_delay_alu instid0(VALU_DEP_1)
	v_cmp_ne_u32_e32 vcc_lo, 0x7f800000, v14
	v_mov_b32_e32 v14, 0x80
	s_and_saveexec_b32 s17, vcc_lo
	s_cbranch_execz .LBB6_16812
; %bb.16805:                            ;   in Loop: Header=BB6_15906 Depth=3
	v_mov_b32_e32 v14, 0
	s_mov_b32 s30, exec_lo
	v_cmpx_ne_u32_e32 0, v15
	s_cbranch_execz .LBB6_16811
; %bb.16806:                            ;   in Loop: Header=BB6_15906 Depth=3
	v_bfe_u32 v14, v15, 23, 8
	s_delay_alu instid0(VALU_DEP_1) | instskip(SKIP_1) | instid1(VALU_DEP_2)
	v_sub_nc_u32_e32 v38, 0x70, v14
	v_cmp_gt_u32_e32 vcc_lo, 0x71, v14
	v_dual_cndmask_b32 v38, 0, v38 :: v_dual_and_b32 v23, 0x7fffff, v15
	s_delay_alu instid0(VALU_DEP_1) | instskip(SKIP_2) | instid1(VALU_DEP_4)
	v_or_b32_e32 v39, 0x800000, v23
	v_cmp_eq_u32_e32 vcc_lo, 0, v14
	v_add_nc_u32_e32 v14, 0xffffff91, v14
	v_cndmask_b32_e64 v38, v38, 0x6f, vcc_lo
	s_delay_alu instid0(VALU_DEP_4) | instskip(NEXT) | instid1(VALU_DEP_3)
	v_cndmask_b32_e32 v23, v39, v23, vcc_lo
	v_cndmask_b32_e64 v14, v14, 0xffffff92, vcc_lo
	s_delay_alu instid0(VALU_DEP_3) | instskip(NEXT) | instid1(VALU_DEP_3)
	v_lshl_add_u32 v39, 0x200000, v38, -1
	v_lshrrev_b32_e32 v48, v38, v23
	v_lshlrev_b32_e64 v50, v38, 0x100000
	s_delay_alu instid0(VALU_DEP_4) | instskip(NEXT) | instid1(VALU_DEP_4)
	v_add_nc_u32_e32 v38, v38, v14
	v_and_b32_e32 v23, v39, v23
	s_delay_alu instid0(VALU_DEP_4) | instskip(NEXT) | instid1(VALU_DEP_2)
	v_bfe_u32 v49, v48, 21, 1
	v_cmp_eq_u32_e64 s13, v23, v50
	s_delay_alu instid0(VALU_DEP_2) | instskip(NEXT) | instid1(VALU_DEP_1)
	v_add_nc_u32_e32 v39, -1, v49
	v_cndmask_b32_e64 v23, 0, v39, s13
	v_lshrrev_b32_e32 v39, 23, v48
	s_mov_b32 s13, exec_lo
	s_delay_alu instid0(VALU_DEP_2) | instskip(NEXT) | instid1(VALU_DEP_2)
	v_add_nc_u32_e32 v23, v23, v48
	v_xor_b32_e32 v39, 1, v39
	s_delay_alu instid0(VALU_DEP_2) | instskip(NEXT) | instid1(VALU_DEP_1)
	v_and_b32_e32 v14, 0x1fffff, v23
	v_add_nc_u32_e32 v23, v14, v48
                                        ; implicit-def: $vgpr14
	s_delay_alu instid0(VALU_DEP_3)
	v_cmpx_ne_u32_e64 v38, v39
	s_xor_b32 s13, exec_lo, s13
; %bb.16807:                            ;   in Loop: Header=BB6_15906 Depth=3
	s_delay_alu instid0(VALU_DEP_2) | instskip(SKIP_2) | instid1(VALU_DEP_2)
	v_cmp_lt_u32_e32 vcc_lo, 0xffffff, v23
	v_sub_nc_u32_e32 v14, v38, v39
	v_cndmask_b32_e64 v38, 0, 1, vcc_lo
	v_add_co_ci_u32_e32 v14, vcc_lo, 0, v14, vcc_lo
	s_delay_alu instid0(VALU_DEP_2)
	v_lshrrev_b32_e32 v23, v38, v23
; %bb.16808:                            ;   in Loop: Header=BB6_15906 Depth=3
	s_and_not1_saveexec_b32 s13, s13
; %bb.16809:                            ;   in Loop: Header=BB6_15906 Depth=3
	s_delay_alu instid0(VALU_DEP_1)
	v_bfe_u32 v14, v23, 23, 1
; %bb.16810:                            ;   in Loop: Header=BB6_15906 Depth=3
	s_or_b32 exec_lo, exec_lo, s13
	v_lshrrev_b32_e32 v23, 21, v23
	s_delay_alu instid0(VALU_DEP_2) | instskip(SKIP_2) | instid1(VALU_DEP_4)
	v_cmp_gt_i32_e32 vcc_lo, 32, v14
	v_lshrrev_b32_e32 v15, 24, v15
	v_min_i32_e32 v38, 31, v14
	v_cndmask_b32_e32 v23, 3, v23, vcc_lo
	s_delay_alu instid0(VALU_DEP_3) | instskip(NEXT) | instid1(VALU_DEP_3)
	v_and_b32_e32 v15, 0x80, v15
	v_lshlrev_b32_e32 v38, 2, v38
	s_delay_alu instid0(VALU_DEP_3) | instskip(SKIP_1) | instid1(VALU_DEP_2)
	v_and_b32_e32 v39, 3, v23
	v_or_b32_e32 v14, v14, v23
	v_or3_b32 v15, v38, v15, v39
	s_delay_alu instid0(VALU_DEP_2) | instskip(NEXT) | instid1(VALU_DEP_2)
	v_cmp_ne_u32_e32 vcc_lo, 0, v14
	v_cndmask_b32_e32 v14, 0, v15, vcc_lo
.LBB6_16811:                            ;   in Loop: Header=BB6_15906 Depth=3
	s_or_b32 exec_lo, exec_lo, s30
.LBB6_16812:                            ;   in Loop: Header=BB6_15906 Depth=3
	s_delay_alu instid0(SALU_CYCLE_1)
	s_or_b32 exec_lo, exec_lo, s17
	v_add_co_u32 v38, vcc_lo, 0xfffffc20, v12
	v_add_co_ci_u32_e32 v39, vcc_lo, -1, v13, vcc_lo
	v_sub_nc_u32_e32 v2, v2, v97
	v_mov_b32_e32 v15, v184
	flat_store_b8 v[38:39], v21 glc slc dlc
	v_add_co_u32 v38, vcc_lo, 0xfffffc40, v12
	v_add_co_ci_u32_e32 v39, vcc_lo, -1, v13, vcc_lo
	v_add_co_u32 v48, vcc_lo, 0xfffffc60, v12
	v_add_co_ci_u32_e32 v49, vcc_lo, -1, v13, vcc_lo
	v_add_co_u32 v53, vcc_lo, 0xfffffc80, v12
	v_add_co_ci_u32_e32 v54, vcc_lo, -1, v13, vcc_lo
	v_add_co_u32 v69, vcc_lo, 0xfffffca0, v12
	v_add_co_ci_u32_e32 v70, vcc_lo, -1, v13, vcc_lo
	v_add_co_u32 v81, vcc_lo, 0xfffffcc0, v12
	v_add_co_ci_u32_e32 v82, vcc_lo, -1, v13, vcc_lo
	flat_store_b8 v[38:39], v80 glc slc dlc
	flat_store_b8 v[48:49], v85 glc slc dlc
	flat_store_b8 v[53:54], v163 glc slc dlc
	flat_store_b8 v[69:70], v176 glc slc dlc
	flat_store_b8 v[81:82], v101 glc slc dlc
	v_add_co_u32 v38, vcc_lo, 0xfffffce0, v12
	v_add_co_ci_u32_e32 v39, vcc_lo, -1, v13, vcc_lo
	v_add_co_u32 v48, vcc_lo, 0xfffffd00, v12
	v_add_co_ci_u32_e32 v49, vcc_lo, -1, v13, vcc_lo
	v_add_co_u32 v53, vcc_lo, 0xfffffd20, v12
	v_add_co_ci_u32_e32 v54, vcc_lo, -1, v13, vcc_lo
	v_add_co_u32 v69, vcc_lo, 0xfffffd40, v12
	v_add_co_ci_u32_e32 v70, vcc_lo, -1, v13, vcc_lo
	v_add_co_u32 v80, vcc_lo, 0xfffffd60, v12
	v_add_co_ci_u32_e32 v81, vcc_lo, -1, v13, vcc_lo
	flat_store_b8 v[38:39], v42 glc slc dlc
	flat_store_b8 v[48:49], v47 glc slc dlc
	flat_store_b8 v[53:54], v56 glc slc dlc
	flat_store_b8 v[69:70], v113 glc slc dlc
	;; [unrolled: 15-line block ×6, first 2 shown]
	flat_store_b8 v[69:70], v20 glc slc dlc
	flat_store_b8 v[12:13], v14 glc slc dlc
	v_mov_b32_e32 v14, v175
	s_delay_alu instid0(VALU_DEP_1)
	v_add_co_u32 v8, vcc_lo, v8, v14
	v_add_co_ci_u32_e32 v9, vcc_lo, v9, v15, vcc_lo
	v_add_co_u32 v10, vcc_lo, v10, v14
	v_add_co_ci_u32_e32 v11, vcc_lo, v11, v15, vcc_lo
	v_cmp_gt_i32_e32 vcc_lo, 1, v2
	v_add_co_u32 v12, s13, v12, v14
	s_delay_alu instid0(VALU_DEP_1) | instskip(SKIP_1) | instid1(SALU_CYCLE_1)
	v_add_co_ci_u32_e64 v13, s13, v13, v15, s13
	s_or_b32 s16, vcc_lo, s16
	s_and_not1_b32 exec_lo, exec_lo, s16
	s_cbranch_execnz .LBB6_15906
	s_branch .LBB6_17197
.LBB6_16813:                            ;   in Loop: Header=BB6_15906 Depth=3
	s_mov_b32 s13, -1
	s_mov_b32 s31, exec_lo
                                        ; implicit-def: $sgpr17
	v_cmpx_eq_u16_e32 0x80, v14
; %bb.16814:                            ;   in Loop: Header=BB6_15906 Depth=3
	s_mov_b32 s17, 0x7f800001
	s_xor_b32 s13, exec_lo, -1
; %bb.16815:                            ;   in Loop: Header=BB6_15906 Depth=3
	s_or_b32 exec_lo, exec_lo, s31
	s_delay_alu instid0(SALU_CYCLE_1)
	s_and_b32 s13, s13, exec_lo
	s_or_saveexec_b32 s30, s30
	v_mov_b32_e32 v20, s17
	s_xor_b32 exec_lo, exec_lo, s30
	s_cbranch_execz .LBB6_15918
.LBB6_16816:                            ;   in Loop: Header=BB6_15906 Depth=3
	v_cmp_ne_u16_e32 vcc_lo, 0, v14
	v_mov_b32_e32 v20, 0
	s_and_not1_b32 s13, s13, exec_lo
	s_and_b32 s17, vcc_lo, exec_lo
	s_delay_alu instid0(SALU_CYCLE_1)
	s_or_b32 s13, s13, s17
	s_or_b32 exec_lo, exec_lo, s30
	s_and_saveexec_b32 s17, s13
	s_cbranch_execnz .LBB6_15919
	s_branch .LBB6_15920
.LBB6_16817:                            ;   in Loop: Header=BB6_15906 Depth=3
	s_mov_b32 s13, -1
	s_mov_b32 s31, exec_lo
                                        ; implicit-def: $sgpr17
	v_cmpx_eq_u16_e32 0x80, v14
; %bb.16818:                            ;   in Loop: Header=BB6_15906 Depth=3
	s_mov_b32 s17, 0x7f800001
	s_xor_b32 s13, exec_lo, -1
; %bb.16819:                            ;   in Loop: Header=BB6_15906 Depth=3
	s_or_b32 exec_lo, exec_lo, s31
	s_delay_alu instid0(SALU_CYCLE_1)
	s_and_b32 s13, s13, exec_lo
	s_or_saveexec_b32 s30, s30
	v_mov_b32_e32 v20, s17
	s_xor_b32 exec_lo, exec_lo, s30
	s_cbranch_execz .LBB6_15930
.LBB6_16820:                            ;   in Loop: Header=BB6_15906 Depth=3
	v_cmp_ne_u16_e32 vcc_lo, 0, v14
	v_mov_b32_e32 v20, 0
	s_and_not1_b32 s13, s13, exec_lo
	s_and_b32 s17, vcc_lo, exec_lo
	s_delay_alu instid0(SALU_CYCLE_1)
	s_or_b32 s13, s13, s17
	s_or_b32 exec_lo, exec_lo, s30
	s_and_saveexec_b32 s17, s13
	s_cbranch_execnz .LBB6_15931
	s_branch .LBB6_15932
.LBB6_16821:                            ;   in Loop: Header=BB6_15906 Depth=3
	s_mov_b32 s13, -1
	s_mov_b32 s31, exec_lo
                                        ; implicit-def: $sgpr17
	v_cmpx_eq_u16_e32 0x80, v14
; %bb.16822:                            ;   in Loop: Header=BB6_15906 Depth=3
	s_mov_b32 s17, 0x7f800001
	s_xor_b32 s13, exec_lo, -1
; %bb.16823:                            ;   in Loop: Header=BB6_15906 Depth=3
	s_or_b32 exec_lo, exec_lo, s31
	s_delay_alu instid0(SALU_CYCLE_1)
	s_and_b32 s13, s13, exec_lo
	s_or_saveexec_b32 s30, s30
	v_mov_b32_e32 v20, s17
	s_xor_b32 exec_lo, exec_lo, s30
	s_cbranch_execz .LBB6_15942
.LBB6_16824:                            ;   in Loop: Header=BB6_15906 Depth=3
	v_cmp_ne_u16_e32 vcc_lo, 0, v14
	v_mov_b32_e32 v20, 0
	s_and_not1_b32 s13, s13, exec_lo
	s_and_b32 s17, vcc_lo, exec_lo
	s_delay_alu instid0(SALU_CYCLE_1)
	s_or_b32 s13, s13, s17
	s_or_b32 exec_lo, exec_lo, s30
	s_and_saveexec_b32 s17, s13
	s_cbranch_execnz .LBB6_15943
	s_branch .LBB6_15944
.LBB6_16825:                            ;   in Loop: Header=BB6_15906 Depth=3
	s_mov_b32 s13, -1
	s_mov_b32 s31, exec_lo
                                        ; implicit-def: $sgpr17
	v_cmpx_eq_u16_e32 0x80, v14
; %bb.16826:                            ;   in Loop: Header=BB6_15906 Depth=3
	s_mov_b32 s17, 0x7f800001
	s_xor_b32 s13, exec_lo, -1
; %bb.16827:                            ;   in Loop: Header=BB6_15906 Depth=3
	s_or_b32 exec_lo, exec_lo, s31
	s_delay_alu instid0(SALU_CYCLE_1)
	s_and_b32 s13, s13, exec_lo
	s_or_saveexec_b32 s30, s30
	v_mov_b32_e32 v20, s17
	s_xor_b32 exec_lo, exec_lo, s30
	s_cbranch_execz .LBB6_15954
.LBB6_16828:                            ;   in Loop: Header=BB6_15906 Depth=3
	v_cmp_ne_u16_e32 vcc_lo, 0, v14
	v_mov_b32_e32 v20, 0
	s_and_not1_b32 s13, s13, exec_lo
	s_and_b32 s17, vcc_lo, exec_lo
	s_delay_alu instid0(SALU_CYCLE_1)
	s_or_b32 s13, s13, s17
	s_or_b32 exec_lo, exec_lo, s30
	s_and_saveexec_b32 s17, s13
	s_cbranch_execnz .LBB6_15955
	s_branch .LBB6_15956
.LBB6_16829:                            ;   in Loop: Header=BB6_15906 Depth=3
	s_mov_b32 s13, -1
	s_mov_b32 s31, exec_lo
                                        ; implicit-def: $sgpr17
	v_cmpx_eq_u16_e32 0x80, v14
; %bb.16830:                            ;   in Loop: Header=BB6_15906 Depth=3
	s_mov_b32 s17, 0x7f800001
	s_xor_b32 s13, exec_lo, -1
; %bb.16831:                            ;   in Loop: Header=BB6_15906 Depth=3
	s_or_b32 exec_lo, exec_lo, s31
	s_delay_alu instid0(SALU_CYCLE_1)
	s_and_b32 s13, s13, exec_lo
	s_or_saveexec_b32 s30, s30
	v_mov_b32_e32 v20, s17
	s_xor_b32 exec_lo, exec_lo, s30
	s_cbranch_execz .LBB6_15966
.LBB6_16832:                            ;   in Loop: Header=BB6_15906 Depth=3
	v_cmp_ne_u16_e32 vcc_lo, 0, v14
	v_mov_b32_e32 v20, 0
	s_and_not1_b32 s13, s13, exec_lo
	s_and_b32 s17, vcc_lo, exec_lo
	s_delay_alu instid0(SALU_CYCLE_1)
	s_or_b32 s13, s13, s17
	s_or_b32 exec_lo, exec_lo, s30
	s_and_saveexec_b32 s17, s13
	s_cbranch_execnz .LBB6_15967
	s_branch .LBB6_15968
.LBB6_16833:                            ;   in Loop: Header=BB6_15906 Depth=3
	s_mov_b32 s13, -1
	s_mov_b32 s31, exec_lo
                                        ; implicit-def: $sgpr17
	v_cmpx_eq_u16_e32 0x80, v14
; %bb.16834:                            ;   in Loop: Header=BB6_15906 Depth=3
	s_mov_b32 s17, 0x7f800001
	s_xor_b32 s13, exec_lo, -1
; %bb.16835:                            ;   in Loop: Header=BB6_15906 Depth=3
	s_or_b32 exec_lo, exec_lo, s31
	s_delay_alu instid0(SALU_CYCLE_1)
	s_and_b32 s13, s13, exec_lo
	s_or_saveexec_b32 s30, s30
	v_mov_b32_e32 v20, s17
	s_xor_b32 exec_lo, exec_lo, s30
	s_cbranch_execz .LBB6_15978
.LBB6_16836:                            ;   in Loop: Header=BB6_15906 Depth=3
	v_cmp_ne_u16_e32 vcc_lo, 0, v14
	v_mov_b32_e32 v20, 0
	s_and_not1_b32 s13, s13, exec_lo
	s_and_b32 s17, vcc_lo, exec_lo
	s_delay_alu instid0(SALU_CYCLE_1)
	s_or_b32 s13, s13, s17
	s_or_b32 exec_lo, exec_lo, s30
	s_and_saveexec_b32 s17, s13
	s_cbranch_execnz .LBB6_15979
	s_branch .LBB6_15980
.LBB6_16837:                            ;   in Loop: Header=BB6_15906 Depth=3
	s_mov_b32 s13, -1
	s_mov_b32 s31, exec_lo
                                        ; implicit-def: $sgpr17
	v_cmpx_eq_u16_e32 0x80, v14
; %bb.16838:                            ;   in Loop: Header=BB6_15906 Depth=3
	s_mov_b32 s17, 0x7f800001
	s_xor_b32 s13, exec_lo, -1
; %bb.16839:                            ;   in Loop: Header=BB6_15906 Depth=3
	s_or_b32 exec_lo, exec_lo, s31
	s_delay_alu instid0(SALU_CYCLE_1)
	s_and_b32 s13, s13, exec_lo
	s_or_saveexec_b32 s30, s30
	v_mov_b32_e32 v20, s17
	s_xor_b32 exec_lo, exec_lo, s30
	s_cbranch_execz .LBB6_15990
.LBB6_16840:                            ;   in Loop: Header=BB6_15906 Depth=3
	v_cmp_ne_u16_e32 vcc_lo, 0, v14
	v_mov_b32_e32 v20, 0
	s_and_not1_b32 s13, s13, exec_lo
	s_and_b32 s17, vcc_lo, exec_lo
	s_delay_alu instid0(SALU_CYCLE_1)
	s_or_b32 s13, s13, s17
	s_or_b32 exec_lo, exec_lo, s30
	s_and_saveexec_b32 s17, s13
	s_cbranch_execnz .LBB6_15991
	s_branch .LBB6_15992
.LBB6_16841:                            ;   in Loop: Header=BB6_15906 Depth=3
	s_mov_b32 s13, -1
	s_mov_b32 s31, exec_lo
                                        ; implicit-def: $sgpr17
	v_cmpx_eq_u16_e32 0x80, v14
; %bb.16842:                            ;   in Loop: Header=BB6_15906 Depth=3
	s_mov_b32 s17, 0x7f800001
	s_xor_b32 s13, exec_lo, -1
; %bb.16843:                            ;   in Loop: Header=BB6_15906 Depth=3
	s_or_b32 exec_lo, exec_lo, s31
	s_delay_alu instid0(SALU_CYCLE_1)
	s_and_b32 s13, s13, exec_lo
	s_or_saveexec_b32 s30, s30
	v_mov_b32_e32 v20, s17
	s_xor_b32 exec_lo, exec_lo, s30
	s_cbranch_execz .LBB6_16002
.LBB6_16844:                            ;   in Loop: Header=BB6_15906 Depth=3
	v_cmp_ne_u16_e32 vcc_lo, 0, v14
	v_mov_b32_e32 v20, 0
	s_and_not1_b32 s13, s13, exec_lo
	s_and_b32 s17, vcc_lo, exec_lo
	s_delay_alu instid0(SALU_CYCLE_1)
	s_or_b32 s13, s13, s17
	s_or_b32 exec_lo, exec_lo, s30
	s_and_saveexec_b32 s17, s13
	s_cbranch_execnz .LBB6_16003
	s_branch .LBB6_16004
.LBB6_16845:                            ;   in Loop: Header=BB6_15906 Depth=3
	s_mov_b32 s13, -1
	s_mov_b32 s31, exec_lo
                                        ; implicit-def: $sgpr17
	v_cmpx_eq_u16_e32 0x80, v14
; %bb.16846:                            ;   in Loop: Header=BB6_15906 Depth=3
	s_mov_b32 s17, 0x7f800001
	s_xor_b32 s13, exec_lo, -1
; %bb.16847:                            ;   in Loop: Header=BB6_15906 Depth=3
	s_or_b32 exec_lo, exec_lo, s31
	s_delay_alu instid0(SALU_CYCLE_1)
	s_and_b32 s13, s13, exec_lo
	s_or_saveexec_b32 s30, s30
	v_mov_b32_e32 v20, s17
	s_xor_b32 exec_lo, exec_lo, s30
	s_cbranch_execz .LBB6_16014
.LBB6_16848:                            ;   in Loop: Header=BB6_15906 Depth=3
	v_cmp_ne_u16_e32 vcc_lo, 0, v14
	v_mov_b32_e32 v20, 0
	s_and_not1_b32 s13, s13, exec_lo
	s_and_b32 s17, vcc_lo, exec_lo
	s_delay_alu instid0(SALU_CYCLE_1)
	s_or_b32 s13, s13, s17
	s_or_b32 exec_lo, exec_lo, s30
	s_and_saveexec_b32 s17, s13
	s_cbranch_execnz .LBB6_16015
	s_branch .LBB6_16016
.LBB6_16849:                            ;   in Loop: Header=BB6_15906 Depth=3
	s_mov_b32 s13, -1
	s_mov_b32 s31, exec_lo
                                        ; implicit-def: $sgpr17
	v_cmpx_eq_u16_e32 0x80, v14
; %bb.16850:                            ;   in Loop: Header=BB6_15906 Depth=3
	s_mov_b32 s17, 0x7f800001
	s_xor_b32 s13, exec_lo, -1
; %bb.16851:                            ;   in Loop: Header=BB6_15906 Depth=3
	s_or_b32 exec_lo, exec_lo, s31
	s_delay_alu instid0(SALU_CYCLE_1)
	s_and_b32 s13, s13, exec_lo
	s_or_saveexec_b32 s30, s30
	v_mov_b32_e32 v20, s17
	s_xor_b32 exec_lo, exec_lo, s30
	s_cbranch_execz .LBB6_16026
.LBB6_16852:                            ;   in Loop: Header=BB6_15906 Depth=3
	v_cmp_ne_u16_e32 vcc_lo, 0, v14
	v_mov_b32_e32 v20, 0
	s_and_not1_b32 s13, s13, exec_lo
	s_and_b32 s17, vcc_lo, exec_lo
	s_delay_alu instid0(SALU_CYCLE_1)
	s_or_b32 s13, s13, s17
	s_or_b32 exec_lo, exec_lo, s30
	s_and_saveexec_b32 s17, s13
	s_cbranch_execnz .LBB6_16027
	s_branch .LBB6_16028
.LBB6_16853:                            ;   in Loop: Header=BB6_15906 Depth=3
	s_mov_b32 s13, -1
	s_mov_b32 s31, exec_lo
                                        ; implicit-def: $sgpr17
	v_cmpx_eq_u16_e32 0x80, v14
; %bb.16854:                            ;   in Loop: Header=BB6_15906 Depth=3
	s_mov_b32 s17, 0x7f800001
	s_xor_b32 s13, exec_lo, -1
; %bb.16855:                            ;   in Loop: Header=BB6_15906 Depth=3
	s_or_b32 exec_lo, exec_lo, s31
	s_delay_alu instid0(SALU_CYCLE_1)
	s_and_b32 s13, s13, exec_lo
	s_or_saveexec_b32 s30, s30
	v_mov_b32_e32 v20, s17
	s_xor_b32 exec_lo, exec_lo, s30
	s_cbranch_execz .LBB6_16038
.LBB6_16856:                            ;   in Loop: Header=BB6_15906 Depth=3
	v_cmp_ne_u16_e32 vcc_lo, 0, v14
	v_mov_b32_e32 v20, 0
	s_and_not1_b32 s13, s13, exec_lo
	s_and_b32 s17, vcc_lo, exec_lo
	s_delay_alu instid0(SALU_CYCLE_1)
	s_or_b32 s13, s13, s17
	s_or_b32 exec_lo, exec_lo, s30
	s_and_saveexec_b32 s17, s13
	s_cbranch_execnz .LBB6_16039
	s_branch .LBB6_16040
.LBB6_16857:                            ;   in Loop: Header=BB6_15906 Depth=3
	s_mov_b32 s13, -1
	s_mov_b32 s31, exec_lo
                                        ; implicit-def: $sgpr17
	v_cmpx_eq_u16_e32 0x80, v14
; %bb.16858:                            ;   in Loop: Header=BB6_15906 Depth=3
	s_mov_b32 s17, 0x7f800001
	s_xor_b32 s13, exec_lo, -1
; %bb.16859:                            ;   in Loop: Header=BB6_15906 Depth=3
	s_or_b32 exec_lo, exec_lo, s31
	s_delay_alu instid0(SALU_CYCLE_1)
	s_and_b32 s13, s13, exec_lo
	s_or_saveexec_b32 s30, s30
	v_mov_b32_e32 v20, s17
	s_xor_b32 exec_lo, exec_lo, s30
	s_cbranch_execz .LBB6_16050
.LBB6_16860:                            ;   in Loop: Header=BB6_15906 Depth=3
	v_cmp_ne_u16_e32 vcc_lo, 0, v14
	v_mov_b32_e32 v20, 0
	s_and_not1_b32 s13, s13, exec_lo
	s_and_b32 s17, vcc_lo, exec_lo
	s_delay_alu instid0(SALU_CYCLE_1)
	s_or_b32 s13, s13, s17
	s_or_b32 exec_lo, exec_lo, s30
	s_and_saveexec_b32 s17, s13
	s_cbranch_execnz .LBB6_16051
	s_branch .LBB6_16052
.LBB6_16861:                            ;   in Loop: Header=BB6_15906 Depth=3
	s_mov_b32 s13, -1
	s_mov_b32 s31, exec_lo
                                        ; implicit-def: $sgpr17
	v_cmpx_eq_u16_e32 0x80, v14
; %bb.16862:                            ;   in Loop: Header=BB6_15906 Depth=3
	s_mov_b32 s17, 0x7f800001
	s_xor_b32 s13, exec_lo, -1
; %bb.16863:                            ;   in Loop: Header=BB6_15906 Depth=3
	s_or_b32 exec_lo, exec_lo, s31
	s_delay_alu instid0(SALU_CYCLE_1)
	s_and_b32 s13, s13, exec_lo
	s_or_saveexec_b32 s30, s30
	v_mov_b32_e32 v20, s17
	s_xor_b32 exec_lo, exec_lo, s30
	s_cbranch_execz .LBB6_16062
.LBB6_16864:                            ;   in Loop: Header=BB6_15906 Depth=3
	v_cmp_ne_u16_e32 vcc_lo, 0, v14
	v_mov_b32_e32 v20, 0
	s_and_not1_b32 s13, s13, exec_lo
	s_and_b32 s17, vcc_lo, exec_lo
	s_delay_alu instid0(SALU_CYCLE_1)
	s_or_b32 s13, s13, s17
	s_or_b32 exec_lo, exec_lo, s30
	s_and_saveexec_b32 s17, s13
	s_cbranch_execnz .LBB6_16063
	s_branch .LBB6_16064
.LBB6_16865:                            ;   in Loop: Header=BB6_15906 Depth=3
	s_mov_b32 s13, -1
	s_mov_b32 s31, exec_lo
                                        ; implicit-def: $sgpr17
	v_cmpx_eq_u16_e32 0x80, v14
; %bb.16866:                            ;   in Loop: Header=BB6_15906 Depth=3
	s_mov_b32 s17, 0x7f800001
	s_xor_b32 s13, exec_lo, -1
; %bb.16867:                            ;   in Loop: Header=BB6_15906 Depth=3
	s_or_b32 exec_lo, exec_lo, s31
	s_delay_alu instid0(SALU_CYCLE_1)
	s_and_b32 s13, s13, exec_lo
	s_or_saveexec_b32 s30, s30
	v_mov_b32_e32 v20, s17
	s_xor_b32 exec_lo, exec_lo, s30
	s_cbranch_execz .LBB6_16074
.LBB6_16868:                            ;   in Loop: Header=BB6_15906 Depth=3
	v_cmp_ne_u16_e32 vcc_lo, 0, v14
	v_mov_b32_e32 v20, 0
	s_and_not1_b32 s13, s13, exec_lo
	s_and_b32 s17, vcc_lo, exec_lo
	s_delay_alu instid0(SALU_CYCLE_1)
	s_or_b32 s13, s13, s17
	s_or_b32 exec_lo, exec_lo, s30
	s_and_saveexec_b32 s17, s13
	s_cbranch_execnz .LBB6_16075
	s_branch .LBB6_16076
.LBB6_16869:                            ;   in Loop: Header=BB6_15906 Depth=3
	s_mov_b32 s13, -1
	s_mov_b32 s31, exec_lo
                                        ; implicit-def: $sgpr17
	v_cmpx_eq_u16_e32 0x80, v14
; %bb.16870:                            ;   in Loop: Header=BB6_15906 Depth=3
	s_mov_b32 s17, 0x7f800001
	s_xor_b32 s13, exec_lo, -1
; %bb.16871:                            ;   in Loop: Header=BB6_15906 Depth=3
	s_or_b32 exec_lo, exec_lo, s31
	s_delay_alu instid0(SALU_CYCLE_1)
	s_and_b32 s13, s13, exec_lo
	s_or_saveexec_b32 s30, s30
	v_mov_b32_e32 v20, s17
	s_xor_b32 exec_lo, exec_lo, s30
	s_cbranch_execz .LBB6_16086
.LBB6_16872:                            ;   in Loop: Header=BB6_15906 Depth=3
	v_cmp_ne_u16_e32 vcc_lo, 0, v14
	v_mov_b32_e32 v20, 0
	s_and_not1_b32 s13, s13, exec_lo
	s_and_b32 s17, vcc_lo, exec_lo
	s_delay_alu instid0(SALU_CYCLE_1)
	s_or_b32 s13, s13, s17
	s_or_b32 exec_lo, exec_lo, s30
	s_and_saveexec_b32 s17, s13
	s_cbranch_execnz .LBB6_16087
	s_branch .LBB6_16088
.LBB6_16873:                            ;   in Loop: Header=BB6_15906 Depth=3
	s_mov_b32 s13, -1
	s_mov_b32 s31, exec_lo
                                        ; implicit-def: $sgpr17
	v_cmpx_eq_u16_e32 0x80, v14
; %bb.16874:                            ;   in Loop: Header=BB6_15906 Depth=3
	s_mov_b32 s17, 0x7f800001
	s_xor_b32 s13, exec_lo, -1
; %bb.16875:                            ;   in Loop: Header=BB6_15906 Depth=3
	s_or_b32 exec_lo, exec_lo, s31
	s_delay_alu instid0(SALU_CYCLE_1)
	s_and_b32 s13, s13, exec_lo
	s_or_saveexec_b32 s30, s30
	v_mov_b32_e32 v20, s17
	s_xor_b32 exec_lo, exec_lo, s30
	s_cbranch_execz .LBB6_16098
.LBB6_16876:                            ;   in Loop: Header=BB6_15906 Depth=3
	v_cmp_ne_u16_e32 vcc_lo, 0, v14
	v_mov_b32_e32 v20, 0
	s_and_not1_b32 s13, s13, exec_lo
	s_and_b32 s17, vcc_lo, exec_lo
	s_delay_alu instid0(SALU_CYCLE_1)
	s_or_b32 s13, s13, s17
	s_or_b32 exec_lo, exec_lo, s30
	s_and_saveexec_b32 s17, s13
	s_cbranch_execnz .LBB6_16099
	s_branch .LBB6_16100
.LBB6_16877:                            ;   in Loop: Header=BB6_15906 Depth=3
	s_mov_b32 s13, -1
	s_mov_b32 s31, exec_lo
                                        ; implicit-def: $sgpr17
	v_cmpx_eq_u16_e32 0x80, v14
; %bb.16878:                            ;   in Loop: Header=BB6_15906 Depth=3
	s_mov_b32 s17, 0x7f800001
	s_xor_b32 s13, exec_lo, -1
; %bb.16879:                            ;   in Loop: Header=BB6_15906 Depth=3
	s_or_b32 exec_lo, exec_lo, s31
	s_delay_alu instid0(SALU_CYCLE_1)
	s_and_b32 s13, s13, exec_lo
	s_or_saveexec_b32 s30, s30
	v_mov_b32_e32 v20, s17
	s_xor_b32 exec_lo, exec_lo, s30
	s_cbranch_execz .LBB6_16110
.LBB6_16880:                            ;   in Loop: Header=BB6_15906 Depth=3
	v_cmp_ne_u16_e32 vcc_lo, 0, v14
	v_mov_b32_e32 v20, 0
	s_and_not1_b32 s13, s13, exec_lo
	s_and_b32 s17, vcc_lo, exec_lo
	s_delay_alu instid0(SALU_CYCLE_1)
	s_or_b32 s13, s13, s17
	s_or_b32 exec_lo, exec_lo, s30
	s_and_saveexec_b32 s17, s13
	s_cbranch_execnz .LBB6_16111
	s_branch .LBB6_16112
.LBB6_16881:                            ;   in Loop: Header=BB6_15906 Depth=3
	s_mov_b32 s13, -1
	s_mov_b32 s31, exec_lo
                                        ; implicit-def: $sgpr17
	v_cmpx_eq_u16_e32 0x80, v14
; %bb.16882:                            ;   in Loop: Header=BB6_15906 Depth=3
	s_mov_b32 s17, 0x7f800001
	s_xor_b32 s13, exec_lo, -1
; %bb.16883:                            ;   in Loop: Header=BB6_15906 Depth=3
	s_or_b32 exec_lo, exec_lo, s31
	s_delay_alu instid0(SALU_CYCLE_1)
	s_and_b32 s13, s13, exec_lo
	s_or_saveexec_b32 s30, s30
	v_mov_b32_e32 v20, s17
	s_xor_b32 exec_lo, exec_lo, s30
	s_cbranch_execz .LBB6_16122
.LBB6_16884:                            ;   in Loop: Header=BB6_15906 Depth=3
	v_cmp_ne_u16_e32 vcc_lo, 0, v14
	v_mov_b32_e32 v20, 0
	s_and_not1_b32 s13, s13, exec_lo
	s_and_b32 s17, vcc_lo, exec_lo
	s_delay_alu instid0(SALU_CYCLE_1)
	s_or_b32 s13, s13, s17
	s_or_b32 exec_lo, exec_lo, s30
	s_and_saveexec_b32 s17, s13
	s_cbranch_execnz .LBB6_16123
	s_branch .LBB6_16124
.LBB6_16885:                            ;   in Loop: Header=BB6_15906 Depth=3
	s_mov_b32 s13, -1
	s_mov_b32 s31, exec_lo
                                        ; implicit-def: $sgpr17
	v_cmpx_eq_u16_e32 0x80, v14
; %bb.16886:                            ;   in Loop: Header=BB6_15906 Depth=3
	s_mov_b32 s17, 0x7f800001
	s_xor_b32 s13, exec_lo, -1
; %bb.16887:                            ;   in Loop: Header=BB6_15906 Depth=3
	s_or_b32 exec_lo, exec_lo, s31
	s_delay_alu instid0(SALU_CYCLE_1)
	s_and_b32 s13, s13, exec_lo
	s_or_saveexec_b32 s30, s30
	v_mov_b32_e32 v20, s17
	s_xor_b32 exec_lo, exec_lo, s30
	s_cbranch_execz .LBB6_16134
.LBB6_16888:                            ;   in Loop: Header=BB6_15906 Depth=3
	v_cmp_ne_u16_e32 vcc_lo, 0, v14
	v_mov_b32_e32 v20, 0
	s_and_not1_b32 s13, s13, exec_lo
	s_and_b32 s17, vcc_lo, exec_lo
	s_delay_alu instid0(SALU_CYCLE_1)
	s_or_b32 s13, s13, s17
	s_or_b32 exec_lo, exec_lo, s30
	s_and_saveexec_b32 s17, s13
	s_cbranch_execnz .LBB6_16135
	s_branch .LBB6_16136
.LBB6_16889:                            ;   in Loop: Header=BB6_15906 Depth=3
	s_mov_b32 s13, -1
	s_mov_b32 s31, exec_lo
                                        ; implicit-def: $sgpr17
	v_cmpx_eq_u16_e32 0x80, v14
; %bb.16890:                            ;   in Loop: Header=BB6_15906 Depth=3
	s_mov_b32 s17, 0x7f800001
	s_xor_b32 s13, exec_lo, -1
; %bb.16891:                            ;   in Loop: Header=BB6_15906 Depth=3
	s_or_b32 exec_lo, exec_lo, s31
	s_delay_alu instid0(SALU_CYCLE_1)
	s_and_b32 s13, s13, exec_lo
	s_or_saveexec_b32 s30, s30
	v_mov_b32_e32 v20, s17
	s_xor_b32 exec_lo, exec_lo, s30
	s_cbranch_execz .LBB6_16146
.LBB6_16892:                            ;   in Loop: Header=BB6_15906 Depth=3
	v_cmp_ne_u16_e32 vcc_lo, 0, v14
	v_mov_b32_e32 v20, 0
	s_and_not1_b32 s13, s13, exec_lo
	s_and_b32 s17, vcc_lo, exec_lo
	s_delay_alu instid0(SALU_CYCLE_1)
	s_or_b32 s13, s13, s17
	s_or_b32 exec_lo, exec_lo, s30
	s_and_saveexec_b32 s17, s13
	s_cbranch_execnz .LBB6_16147
	s_branch .LBB6_16148
.LBB6_16893:                            ;   in Loop: Header=BB6_15906 Depth=3
	s_mov_b32 s13, -1
	s_mov_b32 s31, exec_lo
                                        ; implicit-def: $sgpr17
	v_cmpx_eq_u16_e32 0x80, v14
; %bb.16894:                            ;   in Loop: Header=BB6_15906 Depth=3
	s_mov_b32 s17, 0x7f800001
	s_xor_b32 s13, exec_lo, -1
; %bb.16895:                            ;   in Loop: Header=BB6_15906 Depth=3
	s_or_b32 exec_lo, exec_lo, s31
	s_delay_alu instid0(SALU_CYCLE_1)
	s_and_b32 s13, s13, exec_lo
	s_or_saveexec_b32 s30, s30
	v_mov_b32_e32 v20, s17
	s_xor_b32 exec_lo, exec_lo, s30
	s_cbranch_execz .LBB6_16158
.LBB6_16896:                            ;   in Loop: Header=BB6_15906 Depth=3
	v_cmp_ne_u16_e32 vcc_lo, 0, v14
	v_mov_b32_e32 v20, 0
	s_and_not1_b32 s13, s13, exec_lo
	s_and_b32 s17, vcc_lo, exec_lo
	s_delay_alu instid0(SALU_CYCLE_1)
	s_or_b32 s13, s13, s17
	s_or_b32 exec_lo, exec_lo, s30
	s_and_saveexec_b32 s17, s13
	s_cbranch_execnz .LBB6_16159
	s_branch .LBB6_16160
.LBB6_16897:                            ;   in Loop: Header=BB6_15906 Depth=3
	s_mov_b32 s13, -1
	s_mov_b32 s31, exec_lo
                                        ; implicit-def: $sgpr17
	v_cmpx_eq_u16_e32 0x80, v14
; %bb.16898:                            ;   in Loop: Header=BB6_15906 Depth=3
	s_mov_b32 s17, 0x7f800001
	s_xor_b32 s13, exec_lo, -1
; %bb.16899:                            ;   in Loop: Header=BB6_15906 Depth=3
	s_or_b32 exec_lo, exec_lo, s31
	s_delay_alu instid0(SALU_CYCLE_1)
	s_and_b32 s13, s13, exec_lo
	s_or_saveexec_b32 s30, s30
	v_mov_b32_e32 v20, s17
	s_xor_b32 exec_lo, exec_lo, s30
	s_cbranch_execz .LBB6_16170
.LBB6_16900:                            ;   in Loop: Header=BB6_15906 Depth=3
	v_cmp_ne_u16_e32 vcc_lo, 0, v14
	v_mov_b32_e32 v20, 0
	s_and_not1_b32 s13, s13, exec_lo
	s_and_b32 s17, vcc_lo, exec_lo
	s_delay_alu instid0(SALU_CYCLE_1)
	s_or_b32 s13, s13, s17
	s_or_b32 exec_lo, exec_lo, s30
	s_and_saveexec_b32 s17, s13
	s_cbranch_execnz .LBB6_16171
	s_branch .LBB6_16172
.LBB6_16901:                            ;   in Loop: Header=BB6_15906 Depth=3
	s_mov_b32 s13, -1
	s_mov_b32 s31, exec_lo
                                        ; implicit-def: $sgpr17
	v_cmpx_eq_u16_e32 0x80, v14
; %bb.16902:                            ;   in Loop: Header=BB6_15906 Depth=3
	s_mov_b32 s17, 0x7f800001
	s_xor_b32 s13, exec_lo, -1
; %bb.16903:                            ;   in Loop: Header=BB6_15906 Depth=3
	s_or_b32 exec_lo, exec_lo, s31
	s_delay_alu instid0(SALU_CYCLE_1)
	s_and_b32 s13, s13, exec_lo
	s_or_saveexec_b32 s30, s30
	v_mov_b32_e32 v20, s17
	s_xor_b32 exec_lo, exec_lo, s30
	s_cbranch_execz .LBB6_16182
.LBB6_16904:                            ;   in Loop: Header=BB6_15906 Depth=3
	v_cmp_ne_u16_e32 vcc_lo, 0, v14
	v_mov_b32_e32 v20, 0
	s_and_not1_b32 s13, s13, exec_lo
	s_and_b32 s17, vcc_lo, exec_lo
	s_delay_alu instid0(SALU_CYCLE_1)
	s_or_b32 s13, s13, s17
	s_or_b32 exec_lo, exec_lo, s30
	s_and_saveexec_b32 s17, s13
	s_cbranch_execnz .LBB6_16183
	s_branch .LBB6_16184
.LBB6_16905:                            ;   in Loop: Header=BB6_15906 Depth=3
	s_mov_b32 s13, -1
	s_mov_b32 s31, exec_lo
                                        ; implicit-def: $sgpr17
	v_cmpx_eq_u16_e32 0x80, v14
; %bb.16906:                            ;   in Loop: Header=BB6_15906 Depth=3
	s_mov_b32 s17, 0x7f800001
	s_xor_b32 s13, exec_lo, -1
; %bb.16907:                            ;   in Loop: Header=BB6_15906 Depth=3
	s_or_b32 exec_lo, exec_lo, s31
	s_delay_alu instid0(SALU_CYCLE_1)
	s_and_b32 s13, s13, exec_lo
	s_or_saveexec_b32 s30, s30
	v_mov_b32_e32 v20, s17
	s_xor_b32 exec_lo, exec_lo, s30
	s_cbranch_execz .LBB6_16194
.LBB6_16908:                            ;   in Loop: Header=BB6_15906 Depth=3
	v_cmp_ne_u16_e32 vcc_lo, 0, v14
	v_mov_b32_e32 v20, 0
	s_and_not1_b32 s13, s13, exec_lo
	s_and_b32 s17, vcc_lo, exec_lo
	s_delay_alu instid0(SALU_CYCLE_1)
	s_or_b32 s13, s13, s17
	s_or_b32 exec_lo, exec_lo, s30
	s_and_saveexec_b32 s17, s13
	s_cbranch_execnz .LBB6_16195
	s_branch .LBB6_16196
.LBB6_16909:                            ;   in Loop: Header=BB6_15906 Depth=3
	s_mov_b32 s13, -1
	s_mov_b32 s31, exec_lo
                                        ; implicit-def: $sgpr17
	v_cmpx_eq_u16_e32 0x80, v14
; %bb.16910:                            ;   in Loop: Header=BB6_15906 Depth=3
	s_mov_b32 s17, 0x7f800001
	s_xor_b32 s13, exec_lo, -1
; %bb.16911:                            ;   in Loop: Header=BB6_15906 Depth=3
	s_or_b32 exec_lo, exec_lo, s31
	s_delay_alu instid0(SALU_CYCLE_1)
	s_and_b32 s13, s13, exec_lo
	s_or_saveexec_b32 s30, s30
	v_mov_b32_e32 v20, s17
	s_xor_b32 exec_lo, exec_lo, s30
	s_cbranch_execz .LBB6_16206
.LBB6_16912:                            ;   in Loop: Header=BB6_15906 Depth=3
	v_cmp_ne_u16_e32 vcc_lo, 0, v14
	v_mov_b32_e32 v20, 0
	s_and_not1_b32 s13, s13, exec_lo
	s_and_b32 s17, vcc_lo, exec_lo
	s_delay_alu instid0(SALU_CYCLE_1)
	s_or_b32 s13, s13, s17
	s_or_b32 exec_lo, exec_lo, s30
	s_and_saveexec_b32 s17, s13
	s_cbranch_execnz .LBB6_16207
	s_branch .LBB6_16208
.LBB6_16913:                            ;   in Loop: Header=BB6_15906 Depth=3
	s_mov_b32 s13, -1
	s_mov_b32 s31, exec_lo
                                        ; implicit-def: $sgpr17
	v_cmpx_eq_u16_e32 0x80, v14
; %bb.16914:                            ;   in Loop: Header=BB6_15906 Depth=3
	s_mov_b32 s17, 0x7f800001
	s_xor_b32 s13, exec_lo, -1
; %bb.16915:                            ;   in Loop: Header=BB6_15906 Depth=3
	s_or_b32 exec_lo, exec_lo, s31
	s_delay_alu instid0(SALU_CYCLE_1)
	s_and_b32 s13, s13, exec_lo
	s_or_saveexec_b32 s30, s30
	v_mov_b32_e32 v20, s17
	s_xor_b32 exec_lo, exec_lo, s30
	s_cbranch_execz .LBB6_16218
.LBB6_16916:                            ;   in Loop: Header=BB6_15906 Depth=3
	v_cmp_ne_u16_e32 vcc_lo, 0, v14
	v_mov_b32_e32 v20, 0
	s_and_not1_b32 s13, s13, exec_lo
	s_and_b32 s17, vcc_lo, exec_lo
	s_delay_alu instid0(SALU_CYCLE_1)
	s_or_b32 s13, s13, s17
	s_or_b32 exec_lo, exec_lo, s30
	s_and_saveexec_b32 s17, s13
	s_cbranch_execnz .LBB6_16219
	s_branch .LBB6_16220
.LBB6_16917:                            ;   in Loop: Header=BB6_15906 Depth=3
	s_mov_b32 s13, -1
	s_mov_b32 s31, exec_lo
                                        ; implicit-def: $sgpr17
	v_cmpx_eq_u16_e32 0x80, v14
; %bb.16918:                            ;   in Loop: Header=BB6_15906 Depth=3
	s_mov_b32 s17, 0x7f800001
	s_xor_b32 s13, exec_lo, -1
; %bb.16919:                            ;   in Loop: Header=BB6_15906 Depth=3
	s_or_b32 exec_lo, exec_lo, s31
	s_delay_alu instid0(SALU_CYCLE_1)
	s_and_b32 s13, s13, exec_lo
	s_or_saveexec_b32 s30, s30
	v_mov_b32_e32 v20, s17
	s_xor_b32 exec_lo, exec_lo, s30
	s_cbranch_execz .LBB6_16230
.LBB6_16920:                            ;   in Loop: Header=BB6_15906 Depth=3
	v_cmp_ne_u16_e32 vcc_lo, 0, v14
	v_mov_b32_e32 v20, 0
	s_and_not1_b32 s13, s13, exec_lo
	s_and_b32 s17, vcc_lo, exec_lo
	s_delay_alu instid0(SALU_CYCLE_1)
	s_or_b32 s13, s13, s17
	s_or_b32 exec_lo, exec_lo, s30
	s_and_saveexec_b32 s17, s13
	s_cbranch_execnz .LBB6_16231
	s_branch .LBB6_16232
.LBB6_16921:                            ;   in Loop: Header=BB6_15906 Depth=3
	s_mov_b32 s13, -1
	s_mov_b32 s31, exec_lo
                                        ; implicit-def: $sgpr17
	v_cmpx_eq_u16_e32 0x80, v14
; %bb.16922:                            ;   in Loop: Header=BB6_15906 Depth=3
	s_mov_b32 s17, 0x7f800001
	s_xor_b32 s13, exec_lo, -1
; %bb.16923:                            ;   in Loop: Header=BB6_15906 Depth=3
	s_or_b32 exec_lo, exec_lo, s31
	s_delay_alu instid0(SALU_CYCLE_1)
	s_and_b32 s13, s13, exec_lo
	s_or_saveexec_b32 s30, s30
	v_mov_b32_e32 v20, s17
	s_xor_b32 exec_lo, exec_lo, s30
	s_cbranch_execz .LBB6_16242
.LBB6_16924:                            ;   in Loop: Header=BB6_15906 Depth=3
	v_cmp_ne_u16_e32 vcc_lo, 0, v14
	v_mov_b32_e32 v20, 0
	s_and_not1_b32 s13, s13, exec_lo
	s_and_b32 s17, vcc_lo, exec_lo
	s_delay_alu instid0(SALU_CYCLE_1)
	s_or_b32 s13, s13, s17
	s_or_b32 exec_lo, exec_lo, s30
	s_and_saveexec_b32 s17, s13
	s_cbranch_execnz .LBB6_16243
	s_branch .LBB6_16244
.LBB6_16925:                            ;   in Loop: Header=BB6_15906 Depth=3
	s_mov_b32 s13, -1
	s_mov_b32 s31, exec_lo
                                        ; implicit-def: $sgpr17
	v_cmpx_eq_u16_e32 0x80, v14
; %bb.16926:                            ;   in Loop: Header=BB6_15906 Depth=3
	s_mov_b32 s17, 0x7f800001
	s_xor_b32 s13, exec_lo, -1
; %bb.16927:                            ;   in Loop: Header=BB6_15906 Depth=3
	s_or_b32 exec_lo, exec_lo, s31
	s_delay_alu instid0(SALU_CYCLE_1)
	s_and_b32 s13, s13, exec_lo
	s_or_saveexec_b32 s30, s30
	v_mov_b32_e32 v20, s17
	s_xor_b32 exec_lo, exec_lo, s30
	s_cbranch_execz .LBB6_16254
.LBB6_16928:                            ;   in Loop: Header=BB6_15906 Depth=3
	v_cmp_ne_u16_e32 vcc_lo, 0, v14
	v_mov_b32_e32 v20, 0
	s_and_not1_b32 s13, s13, exec_lo
	s_and_b32 s17, vcc_lo, exec_lo
	s_delay_alu instid0(SALU_CYCLE_1)
	s_or_b32 s13, s13, s17
	s_or_b32 exec_lo, exec_lo, s30
	s_and_saveexec_b32 s17, s13
	s_cbranch_execnz .LBB6_16255
	s_branch .LBB6_16256
.LBB6_16929:                            ;   in Loop: Header=BB6_15906 Depth=3
	s_mov_b32 s13, -1
	s_mov_b32 s31, exec_lo
                                        ; implicit-def: $sgpr17
	v_cmpx_eq_u16_e32 0x80, v14
; %bb.16930:                            ;   in Loop: Header=BB6_15906 Depth=3
	s_mov_b32 s17, 0x7f800001
	s_xor_b32 s13, exec_lo, -1
; %bb.16931:                            ;   in Loop: Header=BB6_15906 Depth=3
	s_or_b32 exec_lo, exec_lo, s31
	s_delay_alu instid0(SALU_CYCLE_1)
	s_and_b32 s13, s13, exec_lo
	s_or_saveexec_b32 s30, s30
	v_mov_b32_e32 v20, s17
	s_xor_b32 exec_lo, exec_lo, s30
	s_cbranch_execz .LBB6_16266
.LBB6_16932:                            ;   in Loop: Header=BB6_15906 Depth=3
	v_cmp_ne_u16_e32 vcc_lo, 0, v14
	v_mov_b32_e32 v20, 0
	s_and_not1_b32 s13, s13, exec_lo
	s_and_b32 s17, vcc_lo, exec_lo
	s_delay_alu instid0(SALU_CYCLE_1)
	s_or_b32 s13, s13, s17
	s_or_b32 exec_lo, exec_lo, s30
	s_and_saveexec_b32 s17, s13
	s_cbranch_execnz .LBB6_16267
	s_branch .LBB6_16268
.LBB6_16933:                            ;   in Loop: Header=BB6_15906 Depth=3
	s_mov_b32 s13, -1
	s_mov_b32 s31, exec_lo
                                        ; implicit-def: $sgpr17
	v_cmpx_eq_u16_e32 0x80, v14
; %bb.16934:                            ;   in Loop: Header=BB6_15906 Depth=3
	s_mov_b32 s17, 0x7f800001
	s_xor_b32 s13, exec_lo, -1
; %bb.16935:                            ;   in Loop: Header=BB6_15906 Depth=3
	s_or_b32 exec_lo, exec_lo, s31
	s_delay_alu instid0(SALU_CYCLE_1)
	s_and_b32 s13, s13, exec_lo
	s_or_saveexec_b32 s30, s30
	v_mov_b32_e32 v20, s17
	s_xor_b32 exec_lo, exec_lo, s30
	s_cbranch_execz .LBB6_16278
.LBB6_16936:                            ;   in Loop: Header=BB6_15906 Depth=3
	v_cmp_ne_u16_e32 vcc_lo, 0, v14
	v_mov_b32_e32 v20, 0
	s_and_not1_b32 s13, s13, exec_lo
	s_and_b32 s17, vcc_lo, exec_lo
	s_delay_alu instid0(SALU_CYCLE_1)
	s_or_b32 s13, s13, s17
	s_or_b32 exec_lo, exec_lo, s30
	s_and_saveexec_b32 s17, s13
	s_cbranch_execnz .LBB6_16279
	s_branch .LBB6_16280
.LBB6_16937:                            ;   in Loop: Header=BB6_15906 Depth=3
	s_mov_b32 s13, -1
	s_mov_b32 s31, exec_lo
                                        ; implicit-def: $sgpr17
	v_cmpx_eq_u16_e32 0x80, v14
; %bb.16938:                            ;   in Loop: Header=BB6_15906 Depth=3
	s_mov_b32 s17, 0x7f800001
	s_xor_b32 s13, exec_lo, -1
; %bb.16939:                            ;   in Loop: Header=BB6_15906 Depth=3
	s_or_b32 exec_lo, exec_lo, s31
	s_delay_alu instid0(SALU_CYCLE_1)
	s_and_b32 s13, s13, exec_lo
	s_or_saveexec_b32 s30, s30
	v_mov_b32_e32 v23, s17
	s_xor_b32 exec_lo, exec_lo, s30
	s_cbranch_execz .LBB6_16290
.LBB6_16940:                            ;   in Loop: Header=BB6_15906 Depth=3
	v_cmp_ne_u16_e32 vcc_lo, 0, v14
	v_mov_b32_e32 v23, 0
	s_and_not1_b32 s13, s13, exec_lo
	s_and_b32 s17, vcc_lo, exec_lo
	s_delay_alu instid0(SALU_CYCLE_1)
	s_or_b32 s13, s13, s17
	s_or_b32 exec_lo, exec_lo, s30
	s_and_saveexec_b32 s17, s13
	s_cbranch_execnz .LBB6_16291
	s_branch .LBB6_16292
.LBB6_16941:                            ;   in Loop: Header=BB6_15906 Depth=3
	s_mov_b32 s13, -1
	s_mov_b32 s31, exec_lo
                                        ; implicit-def: $sgpr17
	v_cmpx_eq_u16_e32 0x80, v52
; %bb.16942:                            ;   in Loop: Header=BB6_15906 Depth=3
	s_mov_b32 s17, 0x7f800001
	s_xor_b32 s13, exec_lo, -1
; %bb.16943:                            ;   in Loop: Header=BB6_15906 Depth=3
	s_or_b32 exec_lo, exec_lo, s31
	s_delay_alu instid0(SALU_CYCLE_1)
	s_and_b32 s13, s13, exec_lo
                                        ; implicit-def: $vgpr52
	s_or_saveexec_b32 s30, s30
	v_mov_b32_e32 v49, s17
	s_xor_b32 exec_lo, exec_lo, s30
	s_cbranch_execz .LBB6_16302
.LBB6_16944:                            ;   in Loop: Header=BB6_15906 Depth=3
	v_cmp_ne_u16_e32 vcc_lo, 0, v52
	v_mov_b32_e32 v49, 0
	s_and_not1_b32 s13, s13, exec_lo
	s_and_b32 s17, vcc_lo, exec_lo
	s_delay_alu instid0(SALU_CYCLE_1)
	s_or_b32 s13, s13, s17
	s_or_b32 exec_lo, exec_lo, s30
	s_and_saveexec_b32 s17, s13
	s_cbranch_execnz .LBB6_16303
	s_branch .LBB6_16304
.LBB6_16945:                            ;   in Loop: Header=BB6_15906 Depth=3
	s_mov_b32 s13, -1
	s_mov_b32 s31, exec_lo
                                        ; implicit-def: $sgpr17
	v_cmpx_eq_u16_e32 0x80, v52
; %bb.16946:                            ;   in Loop: Header=BB6_15906 Depth=3
	s_mov_b32 s17, 0x7f800001
	s_xor_b32 s13, exec_lo, -1
; %bb.16947:                            ;   in Loop: Header=BB6_15906 Depth=3
	s_or_b32 exec_lo, exec_lo, s31
	s_delay_alu instid0(SALU_CYCLE_1)
	s_and_b32 s13, s13, exec_lo
                                        ; implicit-def: $vgpr52
	s_or_saveexec_b32 s30, s30
	v_mov_b32_e32 v21, s17
	s_xor_b32 exec_lo, exec_lo, s30
	s_cbranch_execz .LBB6_16306
.LBB6_16948:                            ;   in Loop: Header=BB6_15906 Depth=3
	v_cmp_ne_u16_e32 vcc_lo, 0, v52
	v_mov_b32_e32 v21, 0
	s_and_not1_b32 s13, s13, exec_lo
	s_and_b32 s17, vcc_lo, exec_lo
	s_delay_alu instid0(SALU_CYCLE_1)
	s_or_b32 s13, s13, s17
	s_or_b32 exec_lo, exec_lo, s30
	s_and_saveexec_b32 s17, s13
	s_cbranch_execnz .LBB6_16307
	s_branch .LBB6_16308
.LBB6_16949:                            ;   in Loop: Header=BB6_15906 Depth=3
	s_mov_b32 s13, -1
	s_mov_b32 s31, exec_lo
                                        ; implicit-def: $sgpr17
	v_cmpx_eq_u16_e32 0x80, v49
; %bb.16950:                            ;   in Loop: Header=BB6_15906 Depth=3
	s_mov_b32 s17, 0x7f800001
	s_xor_b32 s13, exec_lo, -1
; %bb.16951:                            ;   in Loop: Header=BB6_15906 Depth=3
	s_or_b32 exec_lo, exec_lo, s31
	s_delay_alu instid0(SALU_CYCLE_1)
	s_and_b32 s13, s13, exec_lo
                                        ; implicit-def: $vgpr49
	s_or_saveexec_b32 s30, s30
	v_mov_b32_e32 v48, s17
	s_xor_b32 exec_lo, exec_lo, s30
	s_cbranch_execz .LBB6_16318
.LBB6_16952:                            ;   in Loop: Header=BB6_15906 Depth=3
	v_cmp_ne_u16_e32 vcc_lo, 0, v49
	v_mov_b32_e32 v48, 0
	s_and_not1_b32 s13, s13, exec_lo
	s_and_b32 s17, vcc_lo, exec_lo
	s_delay_alu instid0(SALU_CYCLE_1)
	s_or_b32 s13, s13, s17
	s_or_b32 exec_lo, exec_lo, s30
	s_and_saveexec_b32 s17, s13
	s_cbranch_execnz .LBB6_16319
	s_branch .LBB6_16320
.LBB6_16953:                            ;   in Loop: Header=BB6_15906 Depth=3
	s_mov_b32 s13, -1
	s_mov_b32 s31, exec_lo
                                        ; implicit-def: $sgpr17
	v_cmpx_eq_u16_e32 0x80, v52
; %bb.16954:                            ;   in Loop: Header=BB6_15906 Depth=3
	s_mov_b32 s17, 0x7f800001
	s_xor_b32 s13, exec_lo, -1
; %bb.16955:                            ;   in Loop: Header=BB6_15906 Depth=3
	s_or_b32 exec_lo, exec_lo, s31
	s_delay_alu instid0(SALU_CYCLE_1)
	s_and_b32 s13, s13, exec_lo
                                        ; implicit-def: $vgpr52
	s_or_saveexec_b32 s30, s30
	v_mov_b32_e32 v49, s17
	s_xor_b32 exec_lo, exec_lo, s30
	s_cbranch_execz .LBB6_16322
.LBB6_16956:                            ;   in Loop: Header=BB6_15906 Depth=3
	v_cmp_ne_u16_e32 vcc_lo, 0, v52
	v_mov_b32_e32 v49, 0
	s_and_not1_b32 s13, s13, exec_lo
	s_and_b32 s17, vcc_lo, exec_lo
	s_delay_alu instid0(SALU_CYCLE_1)
	s_or_b32 s13, s13, s17
	s_or_b32 exec_lo, exec_lo, s30
	s_and_saveexec_b32 s17, s13
	s_cbranch_execnz .LBB6_16323
	s_branch .LBB6_16324
.LBB6_16957:                            ;   in Loop: Header=BB6_15906 Depth=3
	s_mov_b32 s13, -1
	s_mov_b32 s31, exec_lo
                                        ; implicit-def: $sgpr17
	v_cmpx_eq_u16_e32 0x80, v48
; %bb.16958:                            ;   in Loop: Header=BB6_15906 Depth=3
	s_mov_b32 s17, 0x7f800001
	s_xor_b32 s13, exec_lo, -1
; %bb.16959:                            ;   in Loop: Header=BB6_15906 Depth=3
	s_or_b32 exec_lo, exec_lo, s31
	s_delay_alu instid0(SALU_CYCLE_1)
	s_and_b32 s13, s13, exec_lo
                                        ; implicit-def: $vgpr48
	s_or_saveexec_b32 s30, s30
	v_mov_b32_e32 v39, s17
	s_xor_b32 exec_lo, exec_lo, s30
	s_cbranch_execz .LBB6_16334
.LBB6_16960:                            ;   in Loop: Header=BB6_15906 Depth=3
	v_cmp_ne_u16_e32 vcc_lo, 0, v48
	v_mov_b32_e32 v39, 0
	s_and_not1_b32 s13, s13, exec_lo
	s_and_b32 s17, vcc_lo, exec_lo
	s_delay_alu instid0(SALU_CYCLE_1)
	s_or_b32 s13, s13, s17
	s_or_b32 exec_lo, exec_lo, s30
	s_and_saveexec_b32 s17, s13
	s_cbranch_execnz .LBB6_16335
	s_branch .LBB6_16336
.LBB6_16961:                            ;   in Loop: Header=BB6_15906 Depth=3
	s_mov_b32 s13, -1
	s_mov_b32 s31, exec_lo
                                        ; implicit-def: $sgpr17
	v_cmpx_eq_u16_e32 0x80, v49
; %bb.16962:                            ;   in Loop: Header=BB6_15906 Depth=3
	s_mov_b32 s17, 0x7f800001
	s_xor_b32 s13, exec_lo, -1
; %bb.16963:                            ;   in Loop: Header=BB6_15906 Depth=3
	s_or_b32 exec_lo, exec_lo, s31
	s_delay_alu instid0(SALU_CYCLE_1)
	s_and_b32 s13, s13, exec_lo
                                        ; implicit-def: $vgpr49
	s_or_saveexec_b32 s30, s30
	v_mov_b32_e32 v48, s17
	s_xor_b32 exec_lo, exec_lo, s30
	s_cbranch_execz .LBB6_16338
.LBB6_16964:                            ;   in Loop: Header=BB6_15906 Depth=3
	v_cmp_ne_u16_e32 vcc_lo, 0, v49
	v_mov_b32_e32 v48, 0
	s_and_not1_b32 s13, s13, exec_lo
	s_and_b32 s17, vcc_lo, exec_lo
	s_delay_alu instid0(SALU_CYCLE_1)
	s_or_b32 s13, s13, s17
	s_or_b32 exec_lo, exec_lo, s30
	s_and_saveexec_b32 s17, s13
	s_cbranch_execnz .LBB6_16339
	s_branch .LBB6_16340
.LBB6_16965:                            ;   in Loop: Header=BB6_15906 Depth=3
	s_mov_b32 s13, -1
	s_mov_b32 s31, exec_lo
                                        ; implicit-def: $sgpr17
	v_cmpx_eq_u16_e32 0x80, v39
; %bb.16966:                            ;   in Loop: Header=BB6_15906 Depth=3
	s_mov_b32 s17, 0x7f800001
	s_xor_b32 s13, exec_lo, -1
; %bb.16967:                            ;   in Loop: Header=BB6_15906 Depth=3
	s_or_b32 exec_lo, exec_lo, s31
	s_delay_alu instid0(SALU_CYCLE_1)
	s_and_b32 s13, s13, exec_lo
                                        ; implicit-def: $vgpr39
	s_or_saveexec_b32 s30, s30
	v_mov_b32_e32 v38, s17
	s_xor_b32 exec_lo, exec_lo, s30
	s_cbranch_execz .LBB6_16350
.LBB6_16968:                            ;   in Loop: Header=BB6_15906 Depth=3
	v_cmp_ne_u16_e32 vcc_lo, 0, v39
	v_mov_b32_e32 v38, 0
	s_and_not1_b32 s13, s13, exec_lo
	s_and_b32 s17, vcc_lo, exec_lo
	s_delay_alu instid0(SALU_CYCLE_1)
	s_or_b32 s13, s13, s17
	s_or_b32 exec_lo, exec_lo, s30
	s_and_saveexec_b32 s17, s13
	s_cbranch_execnz .LBB6_16351
	s_branch .LBB6_16352
.LBB6_16969:                            ;   in Loop: Header=BB6_15906 Depth=3
	s_mov_b32 s13, -1
	s_mov_b32 s31, exec_lo
                                        ; implicit-def: $sgpr17
	v_cmpx_eq_u16_e32 0x80, v48
; %bb.16970:                            ;   in Loop: Header=BB6_15906 Depth=3
	s_mov_b32 s17, 0x7f800001
	s_xor_b32 s13, exec_lo, -1
; %bb.16971:                            ;   in Loop: Header=BB6_15906 Depth=3
	s_or_b32 exec_lo, exec_lo, s31
	s_delay_alu instid0(SALU_CYCLE_1)
	s_and_b32 s13, s13, exec_lo
                                        ; implicit-def: $vgpr48
	s_or_saveexec_b32 s30, s30
	v_mov_b32_e32 v39, s17
	s_xor_b32 exec_lo, exec_lo, s30
	s_cbranch_execz .LBB6_16354
.LBB6_16972:                            ;   in Loop: Header=BB6_15906 Depth=3
	v_cmp_ne_u16_e32 vcc_lo, 0, v48
	v_mov_b32_e32 v39, 0
	s_and_not1_b32 s13, s13, exec_lo
	s_and_b32 s17, vcc_lo, exec_lo
	s_delay_alu instid0(SALU_CYCLE_1)
	s_or_b32 s13, s13, s17
	s_or_b32 exec_lo, exec_lo, s30
	s_and_saveexec_b32 s17, s13
	s_cbranch_execnz .LBB6_16355
	s_branch .LBB6_16356
.LBB6_16973:                            ;   in Loop: Header=BB6_15906 Depth=3
	s_mov_b32 s13, -1
	s_mov_b32 s31, exec_lo
                                        ; implicit-def: $sgpr17
	v_cmpx_eq_u16_e32 0x80, v38
; %bb.16974:                            ;   in Loop: Header=BB6_15906 Depth=3
	s_mov_b32 s17, 0x7f800001
	s_xor_b32 s13, exec_lo, -1
; %bb.16975:                            ;   in Loop: Header=BB6_15906 Depth=3
	s_or_b32 exec_lo, exec_lo, s31
	s_delay_alu instid0(SALU_CYCLE_1)
	s_and_b32 s13, s13, exec_lo
                                        ; implicit-def: $vgpr38
	s_or_saveexec_b32 s30, s30
	v_mov_b32_e32 v37, s17
	s_xor_b32 exec_lo, exec_lo, s30
	s_cbranch_execz .LBB6_16366
.LBB6_16976:                            ;   in Loop: Header=BB6_15906 Depth=3
	v_cmp_ne_u16_e32 vcc_lo, 0, v38
	v_mov_b32_e32 v37, 0
	s_and_not1_b32 s13, s13, exec_lo
	s_and_b32 s17, vcc_lo, exec_lo
	s_delay_alu instid0(SALU_CYCLE_1)
	s_or_b32 s13, s13, s17
	s_or_b32 exec_lo, exec_lo, s30
	s_and_saveexec_b32 s17, s13
	s_cbranch_execnz .LBB6_16367
	s_branch .LBB6_16368
.LBB6_16977:                            ;   in Loop: Header=BB6_15906 Depth=3
	s_mov_b32 s13, -1
	s_mov_b32 s31, exec_lo
                                        ; implicit-def: $sgpr17
	v_cmpx_eq_u16_e32 0x80, v39
; %bb.16978:                            ;   in Loop: Header=BB6_15906 Depth=3
	s_mov_b32 s17, 0x7f800001
	s_xor_b32 s13, exec_lo, -1
; %bb.16979:                            ;   in Loop: Header=BB6_15906 Depth=3
	s_or_b32 exec_lo, exec_lo, s31
	s_delay_alu instid0(SALU_CYCLE_1)
	s_and_b32 s13, s13, exec_lo
                                        ; implicit-def: $vgpr39
	s_or_saveexec_b32 s30, s30
	v_mov_b32_e32 v38, s17
	s_xor_b32 exec_lo, exec_lo, s30
	s_cbranch_execz .LBB6_16370
.LBB6_16980:                            ;   in Loop: Header=BB6_15906 Depth=3
	v_cmp_ne_u16_e32 vcc_lo, 0, v39
	v_mov_b32_e32 v38, 0
	s_and_not1_b32 s13, s13, exec_lo
	s_and_b32 s17, vcc_lo, exec_lo
	s_delay_alu instid0(SALU_CYCLE_1)
	s_or_b32 s13, s13, s17
	s_or_b32 exec_lo, exec_lo, s30
	s_and_saveexec_b32 s17, s13
	s_cbranch_execnz .LBB6_16371
	s_branch .LBB6_16372
.LBB6_16981:                            ;   in Loop: Header=BB6_15906 Depth=3
	s_mov_b32 s13, -1
	s_mov_b32 s31, exec_lo
                                        ; implicit-def: $sgpr17
	v_cmpx_eq_u16_e32 0x80, v37
; %bb.16982:                            ;   in Loop: Header=BB6_15906 Depth=3
	s_mov_b32 s17, 0x7f800001
	s_xor_b32 s13, exec_lo, -1
; %bb.16983:                            ;   in Loop: Header=BB6_15906 Depth=3
	s_or_b32 exec_lo, exec_lo, s31
	s_delay_alu instid0(SALU_CYCLE_1)
	s_and_b32 s13, s13, exec_lo
                                        ; implicit-def: $vgpr37
	s_or_saveexec_b32 s30, s30
	v_mov_b32_e32 v36, s17
	s_xor_b32 exec_lo, exec_lo, s30
	s_cbranch_execz .LBB6_16382
.LBB6_16984:                            ;   in Loop: Header=BB6_15906 Depth=3
	v_cmp_ne_u16_e32 vcc_lo, 0, v37
	v_mov_b32_e32 v36, 0
	s_and_not1_b32 s13, s13, exec_lo
	s_and_b32 s17, vcc_lo, exec_lo
	s_delay_alu instid0(SALU_CYCLE_1)
	s_or_b32 s13, s13, s17
	s_or_b32 exec_lo, exec_lo, s30
	s_and_saveexec_b32 s17, s13
	s_cbranch_execnz .LBB6_16383
	s_branch .LBB6_16384
.LBB6_16985:                            ;   in Loop: Header=BB6_15906 Depth=3
	s_mov_b32 s13, -1
	s_mov_b32 s31, exec_lo
                                        ; implicit-def: $sgpr17
	v_cmpx_eq_u16_e32 0x80, v38
; %bb.16986:                            ;   in Loop: Header=BB6_15906 Depth=3
	s_mov_b32 s17, 0x7f800001
	s_xor_b32 s13, exec_lo, -1
; %bb.16987:                            ;   in Loop: Header=BB6_15906 Depth=3
	s_or_b32 exec_lo, exec_lo, s31
	s_delay_alu instid0(SALU_CYCLE_1)
	s_and_b32 s13, s13, exec_lo
                                        ; implicit-def: $vgpr38
	s_or_saveexec_b32 s30, s30
	v_mov_b32_e32 v37, s17
	s_xor_b32 exec_lo, exec_lo, s30
	s_cbranch_execz .LBB6_16386
.LBB6_16988:                            ;   in Loop: Header=BB6_15906 Depth=3
	v_cmp_ne_u16_e32 vcc_lo, 0, v38
	v_mov_b32_e32 v37, 0
	s_and_not1_b32 s13, s13, exec_lo
	s_and_b32 s17, vcc_lo, exec_lo
	s_delay_alu instid0(SALU_CYCLE_1)
	s_or_b32 s13, s13, s17
	s_or_b32 exec_lo, exec_lo, s30
	s_and_saveexec_b32 s17, s13
	s_cbranch_execnz .LBB6_16387
	s_branch .LBB6_16388
.LBB6_16989:                            ;   in Loop: Header=BB6_15906 Depth=3
	s_mov_b32 s13, -1
	s_mov_b32 s31, exec_lo
                                        ; implicit-def: $sgpr17
	v_cmpx_eq_u16_e32 0x80, v36
; %bb.16990:                            ;   in Loop: Header=BB6_15906 Depth=3
	s_mov_b32 s17, 0x7f800001
	s_xor_b32 s13, exec_lo, -1
; %bb.16991:                            ;   in Loop: Header=BB6_15906 Depth=3
	s_or_b32 exec_lo, exec_lo, s31
	s_delay_alu instid0(SALU_CYCLE_1)
	s_and_b32 s13, s13, exec_lo
                                        ; implicit-def: $vgpr36
	s_or_saveexec_b32 s30, s30
	v_mov_b32_e32 v27, s17
	s_xor_b32 exec_lo, exec_lo, s30
	s_cbranch_execz .LBB6_16398
.LBB6_16992:                            ;   in Loop: Header=BB6_15906 Depth=3
	v_cmp_ne_u16_e32 vcc_lo, 0, v36
	v_mov_b32_e32 v27, 0
	s_and_not1_b32 s13, s13, exec_lo
	s_and_b32 s17, vcc_lo, exec_lo
	s_delay_alu instid0(SALU_CYCLE_1)
	s_or_b32 s13, s13, s17
	s_or_b32 exec_lo, exec_lo, s30
	s_and_saveexec_b32 s17, s13
	s_cbranch_execnz .LBB6_16399
	s_branch .LBB6_16400
.LBB6_16993:                            ;   in Loop: Header=BB6_15906 Depth=3
	s_mov_b32 s13, -1
	s_mov_b32 s31, exec_lo
                                        ; implicit-def: $sgpr17
	v_cmpx_eq_u16_e32 0x80, v37
; %bb.16994:                            ;   in Loop: Header=BB6_15906 Depth=3
	s_mov_b32 s17, 0x7f800001
	s_xor_b32 s13, exec_lo, -1
; %bb.16995:                            ;   in Loop: Header=BB6_15906 Depth=3
	s_or_b32 exec_lo, exec_lo, s31
	s_delay_alu instid0(SALU_CYCLE_1)
	s_and_b32 s13, s13, exec_lo
                                        ; implicit-def: $vgpr37
	s_or_saveexec_b32 s30, s30
	v_mov_b32_e32 v36, s17
	s_xor_b32 exec_lo, exec_lo, s30
	s_cbranch_execz .LBB6_16402
.LBB6_16996:                            ;   in Loop: Header=BB6_15906 Depth=3
	v_cmp_ne_u16_e32 vcc_lo, 0, v37
	v_mov_b32_e32 v36, 0
	s_and_not1_b32 s13, s13, exec_lo
	s_and_b32 s17, vcc_lo, exec_lo
	s_delay_alu instid0(SALU_CYCLE_1)
	s_or_b32 s13, s13, s17
	s_or_b32 exec_lo, exec_lo, s30
	s_and_saveexec_b32 s17, s13
	s_cbranch_execnz .LBB6_16403
	s_branch .LBB6_16404
.LBB6_16997:                            ;   in Loop: Header=BB6_15906 Depth=3
	s_mov_b32 s13, -1
	s_mov_b32 s31, exec_lo
                                        ; implicit-def: $sgpr17
	v_cmpx_eq_u16_e32 0x80, v27
; %bb.16998:                            ;   in Loop: Header=BB6_15906 Depth=3
	s_mov_b32 s17, 0x7f800001
	s_xor_b32 s13, exec_lo, -1
; %bb.16999:                            ;   in Loop: Header=BB6_15906 Depth=3
	s_or_b32 exec_lo, exec_lo, s31
	s_delay_alu instid0(SALU_CYCLE_1)
	s_and_b32 s13, s13, exec_lo
                                        ; implicit-def: $vgpr27
	s_or_saveexec_b32 s30, s30
	v_mov_b32_e32 v26, s17
	s_xor_b32 exec_lo, exec_lo, s30
	s_cbranch_execz .LBB6_16414
.LBB6_17000:                            ;   in Loop: Header=BB6_15906 Depth=3
	v_cmp_ne_u16_e32 vcc_lo, 0, v27
	v_mov_b32_e32 v26, 0
	s_and_not1_b32 s13, s13, exec_lo
	s_and_b32 s17, vcc_lo, exec_lo
	s_delay_alu instid0(SALU_CYCLE_1)
	s_or_b32 s13, s13, s17
	s_or_b32 exec_lo, exec_lo, s30
	s_and_saveexec_b32 s17, s13
	s_cbranch_execnz .LBB6_16415
	s_branch .LBB6_16416
.LBB6_17001:                            ;   in Loop: Header=BB6_15906 Depth=3
	s_mov_b32 s13, -1
	s_mov_b32 s31, exec_lo
                                        ; implicit-def: $sgpr17
	v_cmpx_eq_u16_e32 0x80, v36
; %bb.17002:                            ;   in Loop: Header=BB6_15906 Depth=3
	s_mov_b32 s17, 0x7f800001
	s_xor_b32 s13, exec_lo, -1
; %bb.17003:                            ;   in Loop: Header=BB6_15906 Depth=3
	s_or_b32 exec_lo, exec_lo, s31
	s_delay_alu instid0(SALU_CYCLE_1)
	s_and_b32 s13, s13, exec_lo
                                        ; implicit-def: $vgpr36
	s_or_saveexec_b32 s30, s30
	v_mov_b32_e32 v27, s17
	s_xor_b32 exec_lo, exec_lo, s30
	s_cbranch_execz .LBB6_16418
.LBB6_17004:                            ;   in Loop: Header=BB6_15906 Depth=3
	v_cmp_ne_u16_e32 vcc_lo, 0, v36
	v_mov_b32_e32 v27, 0
	s_and_not1_b32 s13, s13, exec_lo
	s_and_b32 s17, vcc_lo, exec_lo
	s_delay_alu instid0(SALU_CYCLE_1)
	s_or_b32 s13, s13, s17
	s_or_b32 exec_lo, exec_lo, s30
	s_and_saveexec_b32 s17, s13
	s_cbranch_execnz .LBB6_16419
	s_branch .LBB6_16420
.LBB6_17005:                            ;   in Loop: Header=BB6_15906 Depth=3
	s_mov_b32 s13, -1
	s_mov_b32 s31, exec_lo
                                        ; implicit-def: $sgpr17
	v_cmpx_eq_u16_e32 0x80, v27
; %bb.17006:                            ;   in Loop: Header=BB6_15906 Depth=3
	s_mov_b32 s17, 0x7f800001
	s_xor_b32 s13, exec_lo, -1
; %bb.17007:                            ;   in Loop: Header=BB6_15906 Depth=3
	s_or_b32 exec_lo, exec_lo, s31
	s_delay_alu instid0(SALU_CYCLE_1)
	s_and_b32 s13, s13, exec_lo
                                        ; implicit-def: $vgpr27
	s_or_saveexec_b32 s30, s30
	v_mov_b32_e32 v26, s17
	s_xor_b32 exec_lo, exec_lo, s30
	s_cbranch_execz .LBB6_16430
.LBB6_17008:                            ;   in Loop: Header=BB6_15906 Depth=3
	v_cmp_ne_u16_e32 vcc_lo, 0, v27
	v_mov_b32_e32 v26, 0
	s_and_not1_b32 s13, s13, exec_lo
	s_and_b32 s17, vcc_lo, exec_lo
	s_delay_alu instid0(SALU_CYCLE_1)
	s_or_b32 s13, s13, s17
	s_or_b32 exec_lo, exec_lo, s30
	s_and_saveexec_b32 s17, s13
	s_cbranch_execnz .LBB6_16431
	s_branch .LBB6_16432
.LBB6_17009:                            ;   in Loop: Header=BB6_15906 Depth=3
	s_mov_b32 s13, -1
	s_mov_b32 s31, exec_lo
                                        ; implicit-def: $sgpr17
	v_cmpx_eq_u16_e32 0x80, v36
; %bb.17010:                            ;   in Loop: Header=BB6_15906 Depth=3
	s_mov_b32 s17, 0x7f800001
	s_xor_b32 s13, exec_lo, -1
; %bb.17011:                            ;   in Loop: Header=BB6_15906 Depth=3
	s_or_b32 exec_lo, exec_lo, s31
	s_delay_alu instid0(SALU_CYCLE_1)
	s_and_b32 s13, s13, exec_lo
                                        ; implicit-def: $vgpr36
	s_or_saveexec_b32 s30, s30
	v_mov_b32_e32 v27, s17
	s_xor_b32 exec_lo, exec_lo, s30
	s_cbranch_execz .LBB6_16434
.LBB6_17012:                            ;   in Loop: Header=BB6_15906 Depth=3
	v_cmp_ne_u16_e32 vcc_lo, 0, v36
	v_mov_b32_e32 v27, 0
	s_and_not1_b32 s13, s13, exec_lo
	s_and_b32 s17, vcc_lo, exec_lo
	s_delay_alu instid0(SALU_CYCLE_1)
	s_or_b32 s13, s13, s17
	s_or_b32 exec_lo, exec_lo, s30
	s_and_saveexec_b32 s17, s13
	s_cbranch_execnz .LBB6_16435
	s_branch .LBB6_16436
.LBB6_17013:                            ;   in Loop: Header=BB6_15906 Depth=3
	s_mov_b32 s13, -1
	s_mov_b32 s31, exec_lo
                                        ; implicit-def: $sgpr17
	v_cmpx_eq_u16_e32 0x80, v27
; %bb.17014:                            ;   in Loop: Header=BB6_15906 Depth=3
	s_mov_b32 s17, 0x7f800001
	s_xor_b32 s13, exec_lo, -1
; %bb.17015:                            ;   in Loop: Header=BB6_15906 Depth=3
	s_or_b32 exec_lo, exec_lo, s31
	s_delay_alu instid0(SALU_CYCLE_1)
	s_and_b32 s13, s13, exec_lo
                                        ; implicit-def: $vgpr27
	s_or_saveexec_b32 s30, s30
	v_mov_b32_e32 v26, s17
	s_xor_b32 exec_lo, exec_lo, s30
	s_cbranch_execz .LBB6_16446
.LBB6_17016:                            ;   in Loop: Header=BB6_15906 Depth=3
	v_cmp_ne_u16_e32 vcc_lo, 0, v27
	v_mov_b32_e32 v26, 0
	s_and_not1_b32 s13, s13, exec_lo
	s_and_b32 s17, vcc_lo, exec_lo
	s_delay_alu instid0(SALU_CYCLE_1)
	s_or_b32 s13, s13, s17
	s_or_b32 exec_lo, exec_lo, s30
	s_and_saveexec_b32 s17, s13
	s_cbranch_execnz .LBB6_16447
	s_branch .LBB6_16448
.LBB6_17017:                            ;   in Loop: Header=BB6_15906 Depth=3
	s_mov_b32 s13, -1
	s_mov_b32 s31, exec_lo
                                        ; implicit-def: $sgpr17
	v_cmpx_eq_u16_e32 0x80, v36
; %bb.17018:                            ;   in Loop: Header=BB6_15906 Depth=3
	s_mov_b32 s17, 0x7f800001
	s_xor_b32 s13, exec_lo, -1
; %bb.17019:                            ;   in Loop: Header=BB6_15906 Depth=3
	s_or_b32 exec_lo, exec_lo, s31
	s_delay_alu instid0(SALU_CYCLE_1)
	s_and_b32 s13, s13, exec_lo
                                        ; implicit-def: $vgpr36
	s_or_saveexec_b32 s30, s30
	v_mov_b32_e32 v27, s17
	s_xor_b32 exec_lo, exec_lo, s30
	s_cbranch_execz .LBB6_16450
.LBB6_17020:                            ;   in Loop: Header=BB6_15906 Depth=3
	v_cmp_ne_u16_e32 vcc_lo, 0, v36
	v_mov_b32_e32 v27, 0
	s_and_not1_b32 s13, s13, exec_lo
	s_and_b32 s17, vcc_lo, exec_lo
	s_delay_alu instid0(SALU_CYCLE_1)
	s_or_b32 s13, s13, s17
	s_or_b32 exec_lo, exec_lo, s30
	s_and_saveexec_b32 s17, s13
	s_cbranch_execnz .LBB6_16451
	s_branch .LBB6_16452
.LBB6_17021:                            ;   in Loop: Header=BB6_15906 Depth=3
	s_mov_b32 s13, -1
	s_mov_b32 s31, exec_lo
                                        ; implicit-def: $sgpr17
	v_cmpx_eq_u16_e32 0x80, v27
; %bb.17022:                            ;   in Loop: Header=BB6_15906 Depth=3
	s_mov_b32 s17, 0x7f800001
	s_xor_b32 s13, exec_lo, -1
; %bb.17023:                            ;   in Loop: Header=BB6_15906 Depth=3
	s_or_b32 exec_lo, exec_lo, s31
	s_delay_alu instid0(SALU_CYCLE_1)
	s_and_b32 s13, s13, exec_lo
                                        ; implicit-def: $vgpr27
	s_or_saveexec_b32 s30, s30
	v_mov_b32_e32 v26, s17
	s_xor_b32 exec_lo, exec_lo, s30
	s_cbranch_execz .LBB6_16462
.LBB6_17024:                            ;   in Loop: Header=BB6_15906 Depth=3
	v_cmp_ne_u16_e32 vcc_lo, 0, v27
	v_mov_b32_e32 v26, 0
	s_and_not1_b32 s13, s13, exec_lo
	s_and_b32 s17, vcc_lo, exec_lo
	s_delay_alu instid0(SALU_CYCLE_1)
	s_or_b32 s13, s13, s17
	s_or_b32 exec_lo, exec_lo, s30
	s_and_saveexec_b32 s17, s13
	s_cbranch_execnz .LBB6_16463
	s_branch .LBB6_16464
.LBB6_17025:                            ;   in Loop: Header=BB6_15906 Depth=3
	s_mov_b32 s13, -1
	s_mov_b32 s31, exec_lo
                                        ; implicit-def: $sgpr17
	v_cmpx_eq_u16_e32 0x80, v36
; %bb.17026:                            ;   in Loop: Header=BB6_15906 Depth=3
	s_mov_b32 s17, 0x7f800001
	s_xor_b32 s13, exec_lo, -1
; %bb.17027:                            ;   in Loop: Header=BB6_15906 Depth=3
	s_or_b32 exec_lo, exec_lo, s31
	s_delay_alu instid0(SALU_CYCLE_1)
	s_and_b32 s13, s13, exec_lo
                                        ; implicit-def: $vgpr36
	s_or_saveexec_b32 s30, s30
	v_mov_b32_e32 v27, s17
	s_xor_b32 exec_lo, exec_lo, s30
	s_cbranch_execz .LBB6_16466
.LBB6_17028:                            ;   in Loop: Header=BB6_15906 Depth=3
	v_cmp_ne_u16_e32 vcc_lo, 0, v36
	v_mov_b32_e32 v27, 0
	s_and_not1_b32 s13, s13, exec_lo
	s_and_b32 s17, vcc_lo, exec_lo
	s_delay_alu instid0(SALU_CYCLE_1)
	s_or_b32 s13, s13, s17
	s_or_b32 exec_lo, exec_lo, s30
	s_and_saveexec_b32 s17, s13
	s_cbranch_execnz .LBB6_16467
	s_branch .LBB6_16468
.LBB6_17029:                            ;   in Loop: Header=BB6_15906 Depth=3
	s_mov_b32 s13, -1
	s_mov_b32 s31, exec_lo
                                        ; implicit-def: $sgpr17
	v_cmpx_eq_u16_e32 0x80, v27
; %bb.17030:                            ;   in Loop: Header=BB6_15906 Depth=3
	s_mov_b32 s17, 0x7f800001
	s_xor_b32 s13, exec_lo, -1
; %bb.17031:                            ;   in Loop: Header=BB6_15906 Depth=3
	s_or_b32 exec_lo, exec_lo, s31
	s_delay_alu instid0(SALU_CYCLE_1)
	s_and_b32 s13, s13, exec_lo
                                        ; implicit-def: $vgpr27
	s_or_saveexec_b32 s30, s30
	v_mov_b32_e32 v26, s17
	s_xor_b32 exec_lo, exec_lo, s30
	s_cbranch_execz .LBB6_16478
.LBB6_17032:                            ;   in Loop: Header=BB6_15906 Depth=3
	v_cmp_ne_u16_e32 vcc_lo, 0, v27
	v_mov_b32_e32 v26, 0
	s_and_not1_b32 s13, s13, exec_lo
	s_and_b32 s17, vcc_lo, exec_lo
	s_delay_alu instid0(SALU_CYCLE_1)
	s_or_b32 s13, s13, s17
	s_or_b32 exec_lo, exec_lo, s30
	s_and_saveexec_b32 s17, s13
	s_cbranch_execnz .LBB6_16479
	s_branch .LBB6_16480
.LBB6_17033:                            ;   in Loop: Header=BB6_15906 Depth=3
	s_mov_b32 s13, -1
	s_mov_b32 s31, exec_lo
                                        ; implicit-def: $sgpr17
	v_cmpx_eq_u16_e32 0x80, v36
; %bb.17034:                            ;   in Loop: Header=BB6_15906 Depth=3
	s_mov_b32 s17, 0x7f800001
	s_xor_b32 s13, exec_lo, -1
; %bb.17035:                            ;   in Loop: Header=BB6_15906 Depth=3
	s_or_b32 exec_lo, exec_lo, s31
	s_delay_alu instid0(SALU_CYCLE_1)
	s_and_b32 s13, s13, exec_lo
                                        ; implicit-def: $vgpr36
	s_or_saveexec_b32 s30, s30
	v_mov_b32_e32 v27, s17
	s_xor_b32 exec_lo, exec_lo, s30
	s_cbranch_execz .LBB6_16482
.LBB6_17036:                            ;   in Loop: Header=BB6_15906 Depth=3
	v_cmp_ne_u16_e32 vcc_lo, 0, v36
	v_mov_b32_e32 v27, 0
	s_and_not1_b32 s13, s13, exec_lo
	s_and_b32 s17, vcc_lo, exec_lo
	s_delay_alu instid0(SALU_CYCLE_1)
	s_or_b32 s13, s13, s17
	s_or_b32 exec_lo, exec_lo, s30
	s_and_saveexec_b32 s17, s13
	s_cbranch_execnz .LBB6_16483
	s_branch .LBB6_16484
.LBB6_17037:                            ;   in Loop: Header=BB6_15906 Depth=3
	s_mov_b32 s13, -1
	s_mov_b32 s31, exec_lo
                                        ; implicit-def: $sgpr17
	v_cmpx_eq_u16_e32 0x80, v27
; %bb.17038:                            ;   in Loop: Header=BB6_15906 Depth=3
	s_mov_b32 s17, 0x7f800001
	s_xor_b32 s13, exec_lo, -1
; %bb.17039:                            ;   in Loop: Header=BB6_15906 Depth=3
	s_or_b32 exec_lo, exec_lo, s31
	s_delay_alu instid0(SALU_CYCLE_1)
	s_and_b32 s13, s13, exec_lo
                                        ; implicit-def: $vgpr27
	s_or_saveexec_b32 s30, s30
	v_mov_b32_e32 v26, s17
	s_xor_b32 exec_lo, exec_lo, s30
	s_cbranch_execz .LBB6_16494
.LBB6_17040:                            ;   in Loop: Header=BB6_15906 Depth=3
	v_cmp_ne_u16_e32 vcc_lo, 0, v27
	v_mov_b32_e32 v26, 0
	s_and_not1_b32 s13, s13, exec_lo
	s_and_b32 s17, vcc_lo, exec_lo
	s_delay_alu instid0(SALU_CYCLE_1)
	s_or_b32 s13, s13, s17
	s_or_b32 exec_lo, exec_lo, s30
	s_and_saveexec_b32 s17, s13
	s_cbranch_execnz .LBB6_16495
	s_branch .LBB6_16496
.LBB6_17041:                            ;   in Loop: Header=BB6_15906 Depth=3
	s_mov_b32 s13, -1
	s_mov_b32 s31, exec_lo
                                        ; implicit-def: $sgpr17
	v_cmpx_eq_u16_e32 0x80, v36
; %bb.17042:                            ;   in Loop: Header=BB6_15906 Depth=3
	s_mov_b32 s17, 0x7f800001
	s_xor_b32 s13, exec_lo, -1
; %bb.17043:                            ;   in Loop: Header=BB6_15906 Depth=3
	s_or_b32 exec_lo, exec_lo, s31
	s_delay_alu instid0(SALU_CYCLE_1)
	s_and_b32 s13, s13, exec_lo
                                        ; implicit-def: $vgpr36
	s_or_saveexec_b32 s30, s30
	v_mov_b32_e32 v27, s17
	s_xor_b32 exec_lo, exec_lo, s30
	s_cbranch_execz .LBB6_16498
.LBB6_17044:                            ;   in Loop: Header=BB6_15906 Depth=3
	v_cmp_ne_u16_e32 vcc_lo, 0, v36
	v_mov_b32_e32 v27, 0
	s_and_not1_b32 s13, s13, exec_lo
	s_and_b32 s17, vcc_lo, exec_lo
	s_delay_alu instid0(SALU_CYCLE_1)
	s_or_b32 s13, s13, s17
	s_or_b32 exec_lo, exec_lo, s30
	s_and_saveexec_b32 s17, s13
	s_cbranch_execnz .LBB6_16499
	s_branch .LBB6_16500
.LBB6_17045:                            ;   in Loop: Header=BB6_15906 Depth=3
	s_mov_b32 s13, -1
	s_mov_b32 s31, exec_lo
                                        ; implicit-def: $sgpr17
	v_cmpx_eq_u16_e32 0x80, v27
; %bb.17046:                            ;   in Loop: Header=BB6_15906 Depth=3
	s_mov_b32 s17, 0x7f800001
	s_xor_b32 s13, exec_lo, -1
; %bb.17047:                            ;   in Loop: Header=BB6_15906 Depth=3
	s_or_b32 exec_lo, exec_lo, s31
	s_delay_alu instid0(SALU_CYCLE_1)
	s_and_b32 s13, s13, exec_lo
                                        ; implicit-def: $vgpr27
	s_or_saveexec_b32 s30, s30
	v_mov_b32_e32 v26, s17
	s_xor_b32 exec_lo, exec_lo, s30
	s_cbranch_execz .LBB6_16510
.LBB6_17048:                            ;   in Loop: Header=BB6_15906 Depth=3
	v_cmp_ne_u16_e32 vcc_lo, 0, v27
	v_mov_b32_e32 v26, 0
	s_and_not1_b32 s13, s13, exec_lo
	s_and_b32 s17, vcc_lo, exec_lo
	s_delay_alu instid0(SALU_CYCLE_1)
	s_or_b32 s13, s13, s17
	s_or_b32 exec_lo, exec_lo, s30
	s_and_saveexec_b32 s17, s13
	s_cbranch_execnz .LBB6_16511
	s_branch .LBB6_16512
.LBB6_17049:                            ;   in Loop: Header=BB6_15906 Depth=3
	s_mov_b32 s13, -1
	s_mov_b32 s31, exec_lo
                                        ; implicit-def: $sgpr17
	v_cmpx_eq_u16_e32 0x80, v36
; %bb.17050:                            ;   in Loop: Header=BB6_15906 Depth=3
	s_mov_b32 s17, 0x7f800001
	s_xor_b32 s13, exec_lo, -1
; %bb.17051:                            ;   in Loop: Header=BB6_15906 Depth=3
	s_or_b32 exec_lo, exec_lo, s31
	s_delay_alu instid0(SALU_CYCLE_1)
	s_and_b32 s13, s13, exec_lo
                                        ; implicit-def: $vgpr36
	s_or_saveexec_b32 s30, s30
	v_mov_b32_e32 v27, s17
	s_xor_b32 exec_lo, exec_lo, s30
	s_cbranch_execz .LBB6_16514
.LBB6_17052:                            ;   in Loop: Header=BB6_15906 Depth=3
	v_cmp_ne_u16_e32 vcc_lo, 0, v36
	v_mov_b32_e32 v27, 0
	s_and_not1_b32 s13, s13, exec_lo
	s_and_b32 s17, vcc_lo, exec_lo
	s_delay_alu instid0(SALU_CYCLE_1)
	s_or_b32 s13, s13, s17
	s_or_b32 exec_lo, exec_lo, s30
	s_and_saveexec_b32 s17, s13
	s_cbranch_execnz .LBB6_16515
	s_branch .LBB6_16516
.LBB6_17053:                            ;   in Loop: Header=BB6_15906 Depth=3
	s_mov_b32 s13, -1
	s_mov_b32 s31, exec_lo
                                        ; implicit-def: $sgpr17
	v_cmpx_eq_u16_e32 0x80, v27
; %bb.17054:                            ;   in Loop: Header=BB6_15906 Depth=3
	s_mov_b32 s17, 0x7f800001
	s_xor_b32 s13, exec_lo, -1
; %bb.17055:                            ;   in Loop: Header=BB6_15906 Depth=3
	s_or_b32 exec_lo, exec_lo, s31
	s_delay_alu instid0(SALU_CYCLE_1)
	s_and_b32 s13, s13, exec_lo
                                        ; implicit-def: $vgpr27
	s_or_saveexec_b32 s30, s30
	v_mov_b32_e32 v26, s17
	s_xor_b32 exec_lo, exec_lo, s30
	s_cbranch_execz .LBB6_16526
.LBB6_17056:                            ;   in Loop: Header=BB6_15906 Depth=3
	v_cmp_ne_u16_e32 vcc_lo, 0, v27
	v_mov_b32_e32 v26, 0
	s_and_not1_b32 s13, s13, exec_lo
	s_and_b32 s17, vcc_lo, exec_lo
	s_delay_alu instid0(SALU_CYCLE_1)
	s_or_b32 s13, s13, s17
	s_or_b32 exec_lo, exec_lo, s30
	s_and_saveexec_b32 s17, s13
	s_cbranch_execnz .LBB6_16527
	s_branch .LBB6_16528
.LBB6_17057:                            ;   in Loop: Header=BB6_15906 Depth=3
	s_mov_b32 s13, -1
	s_mov_b32 s31, exec_lo
                                        ; implicit-def: $sgpr17
	v_cmpx_eq_u16_e32 0x80, v36
; %bb.17058:                            ;   in Loop: Header=BB6_15906 Depth=3
	s_mov_b32 s17, 0x7f800001
	s_xor_b32 s13, exec_lo, -1
; %bb.17059:                            ;   in Loop: Header=BB6_15906 Depth=3
	s_or_b32 exec_lo, exec_lo, s31
	s_delay_alu instid0(SALU_CYCLE_1)
	s_and_b32 s13, s13, exec_lo
                                        ; implicit-def: $vgpr36
	s_or_saveexec_b32 s30, s30
	v_mov_b32_e32 v27, s17
	s_xor_b32 exec_lo, exec_lo, s30
	s_cbranch_execz .LBB6_16530
.LBB6_17060:                            ;   in Loop: Header=BB6_15906 Depth=3
	v_cmp_ne_u16_e32 vcc_lo, 0, v36
	v_mov_b32_e32 v27, 0
	s_and_not1_b32 s13, s13, exec_lo
	s_and_b32 s17, vcc_lo, exec_lo
	s_delay_alu instid0(SALU_CYCLE_1)
	s_or_b32 s13, s13, s17
	s_or_b32 exec_lo, exec_lo, s30
	s_and_saveexec_b32 s17, s13
	s_cbranch_execnz .LBB6_16531
	s_branch .LBB6_16532
.LBB6_17061:                            ;   in Loop: Header=BB6_15906 Depth=3
	s_mov_b32 s13, -1
	s_mov_b32 s31, exec_lo
                                        ; implicit-def: $sgpr17
	v_cmpx_eq_u16_e32 0x80, v27
; %bb.17062:                            ;   in Loop: Header=BB6_15906 Depth=3
	s_mov_b32 s17, 0x7f800001
	s_xor_b32 s13, exec_lo, -1
; %bb.17063:                            ;   in Loop: Header=BB6_15906 Depth=3
	s_or_b32 exec_lo, exec_lo, s31
	s_delay_alu instid0(SALU_CYCLE_1)
	s_and_b32 s13, s13, exec_lo
                                        ; implicit-def: $vgpr27
	s_or_saveexec_b32 s30, s30
	v_mov_b32_e32 v26, s17
	s_xor_b32 exec_lo, exec_lo, s30
	s_cbranch_execz .LBB6_16542
.LBB6_17064:                            ;   in Loop: Header=BB6_15906 Depth=3
	v_cmp_ne_u16_e32 vcc_lo, 0, v27
	v_mov_b32_e32 v26, 0
	s_and_not1_b32 s13, s13, exec_lo
	s_and_b32 s17, vcc_lo, exec_lo
	s_delay_alu instid0(SALU_CYCLE_1)
	s_or_b32 s13, s13, s17
	s_or_b32 exec_lo, exec_lo, s30
	s_and_saveexec_b32 s17, s13
	s_cbranch_execnz .LBB6_16543
	s_branch .LBB6_16544
.LBB6_17065:                            ;   in Loop: Header=BB6_15906 Depth=3
	s_mov_b32 s13, -1
	s_mov_b32 s31, exec_lo
                                        ; implicit-def: $sgpr17
	v_cmpx_eq_u16_e32 0x80, v36
; %bb.17066:                            ;   in Loop: Header=BB6_15906 Depth=3
	s_mov_b32 s17, 0x7f800001
	s_xor_b32 s13, exec_lo, -1
; %bb.17067:                            ;   in Loop: Header=BB6_15906 Depth=3
	s_or_b32 exec_lo, exec_lo, s31
	s_delay_alu instid0(SALU_CYCLE_1)
	s_and_b32 s13, s13, exec_lo
                                        ; implicit-def: $vgpr36
	s_or_saveexec_b32 s30, s30
	v_mov_b32_e32 v27, s17
	s_xor_b32 exec_lo, exec_lo, s30
	s_cbranch_execz .LBB6_16546
.LBB6_17068:                            ;   in Loop: Header=BB6_15906 Depth=3
	v_cmp_ne_u16_e32 vcc_lo, 0, v36
	v_mov_b32_e32 v27, 0
	s_and_not1_b32 s13, s13, exec_lo
	s_and_b32 s17, vcc_lo, exec_lo
	s_delay_alu instid0(SALU_CYCLE_1)
	s_or_b32 s13, s13, s17
	s_or_b32 exec_lo, exec_lo, s30
	s_and_saveexec_b32 s17, s13
	s_cbranch_execnz .LBB6_16547
	s_branch .LBB6_16548
.LBB6_17069:                            ;   in Loop: Header=BB6_15906 Depth=3
	s_mov_b32 s13, -1
	s_mov_b32 s31, exec_lo
                                        ; implicit-def: $sgpr17
	v_cmpx_eq_u16_e32 0x80, v27
; %bb.17070:                            ;   in Loop: Header=BB6_15906 Depth=3
	s_mov_b32 s17, 0x7f800001
	s_xor_b32 s13, exec_lo, -1
; %bb.17071:                            ;   in Loop: Header=BB6_15906 Depth=3
	s_or_b32 exec_lo, exec_lo, s31
	s_delay_alu instid0(SALU_CYCLE_1)
	s_and_b32 s13, s13, exec_lo
                                        ; implicit-def: $vgpr27
	s_or_saveexec_b32 s30, s30
	v_mov_b32_e32 v26, s17
	s_xor_b32 exec_lo, exec_lo, s30
	s_cbranch_execz .LBB6_16558
.LBB6_17072:                            ;   in Loop: Header=BB6_15906 Depth=3
	v_cmp_ne_u16_e32 vcc_lo, 0, v27
	v_mov_b32_e32 v26, 0
	s_and_not1_b32 s13, s13, exec_lo
	s_and_b32 s17, vcc_lo, exec_lo
	s_delay_alu instid0(SALU_CYCLE_1)
	s_or_b32 s13, s13, s17
	s_or_b32 exec_lo, exec_lo, s30
	s_and_saveexec_b32 s17, s13
	s_cbranch_execnz .LBB6_16559
	s_branch .LBB6_16560
.LBB6_17073:                            ;   in Loop: Header=BB6_15906 Depth=3
	s_mov_b32 s13, -1
	s_mov_b32 s31, exec_lo
                                        ; implicit-def: $sgpr17
	v_cmpx_eq_u16_e32 0x80, v36
; %bb.17074:                            ;   in Loop: Header=BB6_15906 Depth=3
	s_mov_b32 s17, 0x7f800001
	s_xor_b32 s13, exec_lo, -1
; %bb.17075:                            ;   in Loop: Header=BB6_15906 Depth=3
	s_or_b32 exec_lo, exec_lo, s31
	s_delay_alu instid0(SALU_CYCLE_1)
	s_and_b32 s13, s13, exec_lo
                                        ; implicit-def: $vgpr36
	s_or_saveexec_b32 s30, s30
	v_mov_b32_e32 v27, s17
	s_xor_b32 exec_lo, exec_lo, s30
	s_cbranch_execz .LBB6_16562
.LBB6_17076:                            ;   in Loop: Header=BB6_15906 Depth=3
	v_cmp_ne_u16_e32 vcc_lo, 0, v36
	v_mov_b32_e32 v27, 0
	s_and_not1_b32 s13, s13, exec_lo
	s_and_b32 s17, vcc_lo, exec_lo
	s_delay_alu instid0(SALU_CYCLE_1)
	s_or_b32 s13, s13, s17
	s_or_b32 exec_lo, exec_lo, s30
	s_and_saveexec_b32 s17, s13
	s_cbranch_execnz .LBB6_16563
	s_branch .LBB6_16564
.LBB6_17077:                            ;   in Loop: Header=BB6_15906 Depth=3
	s_mov_b32 s13, -1
	s_mov_b32 s31, exec_lo
                                        ; implicit-def: $sgpr17
	v_cmpx_eq_u16_e32 0x80, v27
; %bb.17078:                            ;   in Loop: Header=BB6_15906 Depth=3
	s_mov_b32 s17, 0x7f800001
	s_xor_b32 s13, exec_lo, -1
; %bb.17079:                            ;   in Loop: Header=BB6_15906 Depth=3
	s_or_b32 exec_lo, exec_lo, s31
	s_delay_alu instid0(SALU_CYCLE_1)
	s_and_b32 s13, s13, exec_lo
                                        ; implicit-def: $vgpr27
	s_or_saveexec_b32 s30, s30
	v_mov_b32_e32 v26, s17
	s_xor_b32 exec_lo, exec_lo, s30
	s_cbranch_execz .LBB6_16574
.LBB6_17080:                            ;   in Loop: Header=BB6_15906 Depth=3
	v_cmp_ne_u16_e32 vcc_lo, 0, v27
	v_mov_b32_e32 v26, 0
	s_and_not1_b32 s13, s13, exec_lo
	s_and_b32 s17, vcc_lo, exec_lo
	s_delay_alu instid0(SALU_CYCLE_1)
	s_or_b32 s13, s13, s17
	s_or_b32 exec_lo, exec_lo, s30
	s_and_saveexec_b32 s17, s13
	s_cbranch_execnz .LBB6_16575
	s_branch .LBB6_16576
.LBB6_17081:                            ;   in Loop: Header=BB6_15906 Depth=3
	s_mov_b32 s13, -1
	s_mov_b32 s31, exec_lo
                                        ; implicit-def: $sgpr17
	v_cmpx_eq_u16_e32 0x80, v36
; %bb.17082:                            ;   in Loop: Header=BB6_15906 Depth=3
	s_mov_b32 s17, 0x7f800001
	s_xor_b32 s13, exec_lo, -1
; %bb.17083:                            ;   in Loop: Header=BB6_15906 Depth=3
	s_or_b32 exec_lo, exec_lo, s31
	s_delay_alu instid0(SALU_CYCLE_1)
	s_and_b32 s13, s13, exec_lo
                                        ; implicit-def: $vgpr36
	s_or_saveexec_b32 s30, s30
	v_mov_b32_e32 v27, s17
	s_xor_b32 exec_lo, exec_lo, s30
	s_cbranch_execz .LBB6_16578
.LBB6_17084:                            ;   in Loop: Header=BB6_15906 Depth=3
	v_cmp_ne_u16_e32 vcc_lo, 0, v36
	v_mov_b32_e32 v27, 0
	s_and_not1_b32 s13, s13, exec_lo
	s_and_b32 s17, vcc_lo, exec_lo
	s_delay_alu instid0(SALU_CYCLE_1)
	s_or_b32 s13, s13, s17
	s_or_b32 exec_lo, exec_lo, s30
	s_and_saveexec_b32 s17, s13
	s_cbranch_execnz .LBB6_16579
	s_branch .LBB6_16580
.LBB6_17085:                            ;   in Loop: Header=BB6_15906 Depth=3
	s_mov_b32 s13, -1
	s_mov_b32 s31, exec_lo
                                        ; implicit-def: $sgpr17
	v_cmpx_eq_u16_e32 0x80, v27
; %bb.17086:                            ;   in Loop: Header=BB6_15906 Depth=3
	s_mov_b32 s17, 0x7f800001
	s_xor_b32 s13, exec_lo, -1
; %bb.17087:                            ;   in Loop: Header=BB6_15906 Depth=3
	s_or_b32 exec_lo, exec_lo, s31
	s_delay_alu instid0(SALU_CYCLE_1)
	s_and_b32 s13, s13, exec_lo
                                        ; implicit-def: $vgpr27
	s_or_saveexec_b32 s30, s30
	v_mov_b32_e32 v26, s17
	s_xor_b32 exec_lo, exec_lo, s30
	s_cbranch_execz .LBB6_16590
.LBB6_17088:                            ;   in Loop: Header=BB6_15906 Depth=3
	v_cmp_ne_u16_e32 vcc_lo, 0, v27
	v_mov_b32_e32 v26, 0
	s_and_not1_b32 s13, s13, exec_lo
	s_and_b32 s17, vcc_lo, exec_lo
	s_delay_alu instid0(SALU_CYCLE_1)
	s_or_b32 s13, s13, s17
	s_or_b32 exec_lo, exec_lo, s30
	s_and_saveexec_b32 s17, s13
	s_cbranch_execnz .LBB6_16591
	s_branch .LBB6_16592
.LBB6_17089:                            ;   in Loop: Header=BB6_15906 Depth=3
	s_mov_b32 s13, -1
	s_mov_b32 s31, exec_lo
                                        ; implicit-def: $sgpr17
	v_cmpx_eq_u16_e32 0x80, v36
; %bb.17090:                            ;   in Loop: Header=BB6_15906 Depth=3
	s_mov_b32 s17, 0x7f800001
	s_xor_b32 s13, exec_lo, -1
; %bb.17091:                            ;   in Loop: Header=BB6_15906 Depth=3
	s_or_b32 exec_lo, exec_lo, s31
	s_delay_alu instid0(SALU_CYCLE_1)
	s_and_b32 s13, s13, exec_lo
                                        ; implicit-def: $vgpr36
	s_or_saveexec_b32 s30, s30
	v_mov_b32_e32 v27, s17
	s_xor_b32 exec_lo, exec_lo, s30
	s_cbranch_execz .LBB6_16594
.LBB6_17092:                            ;   in Loop: Header=BB6_15906 Depth=3
	v_cmp_ne_u16_e32 vcc_lo, 0, v36
	v_mov_b32_e32 v27, 0
	s_and_not1_b32 s13, s13, exec_lo
	s_and_b32 s17, vcc_lo, exec_lo
	s_delay_alu instid0(SALU_CYCLE_1)
	s_or_b32 s13, s13, s17
	s_or_b32 exec_lo, exec_lo, s30
	s_and_saveexec_b32 s17, s13
	s_cbranch_execnz .LBB6_16595
	s_branch .LBB6_16596
.LBB6_17093:                            ;   in Loop: Header=BB6_15906 Depth=3
	s_mov_b32 s13, -1
	s_mov_b32 s31, exec_lo
                                        ; implicit-def: $sgpr17
	v_cmpx_eq_u16_e32 0x80, v27
; %bb.17094:                            ;   in Loop: Header=BB6_15906 Depth=3
	s_mov_b32 s17, 0x7f800001
	s_xor_b32 s13, exec_lo, -1
; %bb.17095:                            ;   in Loop: Header=BB6_15906 Depth=3
	s_or_b32 exec_lo, exec_lo, s31
	s_delay_alu instid0(SALU_CYCLE_1)
	s_and_b32 s13, s13, exec_lo
                                        ; implicit-def: $vgpr27
	s_or_saveexec_b32 s30, s30
	v_mov_b32_e32 v26, s17
	s_xor_b32 exec_lo, exec_lo, s30
	s_cbranch_execz .LBB6_16606
.LBB6_17096:                            ;   in Loop: Header=BB6_15906 Depth=3
	v_cmp_ne_u16_e32 vcc_lo, 0, v27
	v_mov_b32_e32 v26, 0
	s_and_not1_b32 s13, s13, exec_lo
	s_and_b32 s17, vcc_lo, exec_lo
	s_delay_alu instid0(SALU_CYCLE_1)
	s_or_b32 s13, s13, s17
	s_or_b32 exec_lo, exec_lo, s30
	s_and_saveexec_b32 s17, s13
	s_cbranch_execnz .LBB6_16607
	s_branch .LBB6_16608
.LBB6_17097:                            ;   in Loop: Header=BB6_15906 Depth=3
	s_mov_b32 s13, -1
	s_mov_b32 s31, exec_lo
                                        ; implicit-def: $sgpr17
	v_cmpx_eq_u16_e32 0x80, v36
; %bb.17098:                            ;   in Loop: Header=BB6_15906 Depth=3
	s_mov_b32 s17, 0x7f800001
	s_xor_b32 s13, exec_lo, -1
; %bb.17099:                            ;   in Loop: Header=BB6_15906 Depth=3
	s_or_b32 exec_lo, exec_lo, s31
	s_delay_alu instid0(SALU_CYCLE_1)
	s_and_b32 s13, s13, exec_lo
                                        ; implicit-def: $vgpr36
	s_or_saveexec_b32 s30, s30
	v_mov_b32_e32 v27, s17
	s_xor_b32 exec_lo, exec_lo, s30
	s_cbranch_execz .LBB6_16610
.LBB6_17100:                            ;   in Loop: Header=BB6_15906 Depth=3
	v_cmp_ne_u16_e32 vcc_lo, 0, v36
	v_mov_b32_e32 v27, 0
	s_and_not1_b32 s13, s13, exec_lo
	s_and_b32 s17, vcc_lo, exec_lo
	s_delay_alu instid0(SALU_CYCLE_1)
	s_or_b32 s13, s13, s17
	s_or_b32 exec_lo, exec_lo, s30
	s_and_saveexec_b32 s17, s13
	s_cbranch_execnz .LBB6_16611
	s_branch .LBB6_16612
.LBB6_17101:                            ;   in Loop: Header=BB6_15906 Depth=3
	s_mov_b32 s13, -1
	s_mov_b32 s31, exec_lo
                                        ; implicit-def: $sgpr17
	v_cmpx_eq_u16_e32 0x80, v27
; %bb.17102:                            ;   in Loop: Header=BB6_15906 Depth=3
	s_mov_b32 s17, 0x7f800001
	s_xor_b32 s13, exec_lo, -1
; %bb.17103:                            ;   in Loop: Header=BB6_15906 Depth=3
	s_or_b32 exec_lo, exec_lo, s31
	s_delay_alu instid0(SALU_CYCLE_1)
	s_and_b32 s13, s13, exec_lo
                                        ; implicit-def: $vgpr27
	s_or_saveexec_b32 s30, s30
	v_mov_b32_e32 v26, s17
	s_xor_b32 exec_lo, exec_lo, s30
	s_cbranch_execz .LBB6_16622
.LBB6_17104:                            ;   in Loop: Header=BB6_15906 Depth=3
	v_cmp_ne_u16_e32 vcc_lo, 0, v27
	v_mov_b32_e32 v26, 0
	s_and_not1_b32 s13, s13, exec_lo
	s_and_b32 s17, vcc_lo, exec_lo
	s_delay_alu instid0(SALU_CYCLE_1)
	s_or_b32 s13, s13, s17
	s_or_b32 exec_lo, exec_lo, s30
	s_and_saveexec_b32 s17, s13
	s_cbranch_execnz .LBB6_16623
	s_branch .LBB6_16624
.LBB6_17105:                            ;   in Loop: Header=BB6_15906 Depth=3
	s_mov_b32 s13, -1
	s_mov_b32 s31, exec_lo
                                        ; implicit-def: $sgpr17
	v_cmpx_eq_u16_e32 0x80, v36
; %bb.17106:                            ;   in Loop: Header=BB6_15906 Depth=3
	s_mov_b32 s17, 0x7f800001
	s_xor_b32 s13, exec_lo, -1
; %bb.17107:                            ;   in Loop: Header=BB6_15906 Depth=3
	s_or_b32 exec_lo, exec_lo, s31
	s_delay_alu instid0(SALU_CYCLE_1)
	s_and_b32 s13, s13, exec_lo
                                        ; implicit-def: $vgpr36
	s_or_saveexec_b32 s30, s30
	v_mov_b32_e32 v27, s17
	s_xor_b32 exec_lo, exec_lo, s30
	s_cbranch_execz .LBB6_16626
.LBB6_17108:                            ;   in Loop: Header=BB6_15906 Depth=3
	v_cmp_ne_u16_e32 vcc_lo, 0, v36
	v_mov_b32_e32 v27, 0
	s_and_not1_b32 s13, s13, exec_lo
	s_and_b32 s17, vcc_lo, exec_lo
	s_delay_alu instid0(SALU_CYCLE_1)
	s_or_b32 s13, s13, s17
	s_or_b32 exec_lo, exec_lo, s30
	s_and_saveexec_b32 s17, s13
	s_cbranch_execnz .LBB6_16627
	s_branch .LBB6_16628
.LBB6_17109:                            ;   in Loop: Header=BB6_15906 Depth=3
	s_mov_b32 s13, -1
	s_mov_b32 s31, exec_lo
                                        ; implicit-def: $sgpr17
	v_cmpx_eq_u16_e32 0x80, v27
; %bb.17110:                            ;   in Loop: Header=BB6_15906 Depth=3
	s_mov_b32 s17, 0x7f800001
	s_xor_b32 s13, exec_lo, -1
; %bb.17111:                            ;   in Loop: Header=BB6_15906 Depth=3
	s_or_b32 exec_lo, exec_lo, s31
	s_delay_alu instid0(SALU_CYCLE_1)
	s_and_b32 s13, s13, exec_lo
                                        ; implicit-def: $vgpr27
	s_or_saveexec_b32 s30, s30
	v_mov_b32_e32 v26, s17
	s_xor_b32 exec_lo, exec_lo, s30
	s_cbranch_execz .LBB6_16638
.LBB6_17112:                            ;   in Loop: Header=BB6_15906 Depth=3
	v_cmp_ne_u16_e32 vcc_lo, 0, v27
	v_mov_b32_e32 v26, 0
	s_and_not1_b32 s13, s13, exec_lo
	s_and_b32 s17, vcc_lo, exec_lo
	s_delay_alu instid0(SALU_CYCLE_1)
	s_or_b32 s13, s13, s17
	s_or_b32 exec_lo, exec_lo, s30
	s_and_saveexec_b32 s17, s13
	s_cbranch_execnz .LBB6_16639
	s_branch .LBB6_16640
.LBB6_17113:                            ;   in Loop: Header=BB6_15906 Depth=3
	s_mov_b32 s13, -1
	s_mov_b32 s31, exec_lo
                                        ; implicit-def: $sgpr17
	v_cmpx_eq_u16_e32 0x80, v36
; %bb.17114:                            ;   in Loop: Header=BB6_15906 Depth=3
	s_mov_b32 s17, 0x7f800001
	s_xor_b32 s13, exec_lo, -1
; %bb.17115:                            ;   in Loop: Header=BB6_15906 Depth=3
	s_or_b32 exec_lo, exec_lo, s31
	s_delay_alu instid0(SALU_CYCLE_1)
	s_and_b32 s13, s13, exec_lo
                                        ; implicit-def: $vgpr36
	s_or_saveexec_b32 s30, s30
	v_mov_b32_e32 v27, s17
	s_xor_b32 exec_lo, exec_lo, s30
	s_cbranch_execz .LBB6_16642
.LBB6_17116:                            ;   in Loop: Header=BB6_15906 Depth=3
	v_cmp_ne_u16_e32 vcc_lo, 0, v36
	v_mov_b32_e32 v27, 0
	s_and_not1_b32 s13, s13, exec_lo
	s_and_b32 s17, vcc_lo, exec_lo
	s_delay_alu instid0(SALU_CYCLE_1)
	s_or_b32 s13, s13, s17
	s_or_b32 exec_lo, exec_lo, s30
	s_and_saveexec_b32 s17, s13
	s_cbranch_execnz .LBB6_16643
	s_branch .LBB6_16644
.LBB6_17117:                            ;   in Loop: Header=BB6_15906 Depth=3
	s_mov_b32 s13, -1
	s_mov_b32 s31, exec_lo
                                        ; implicit-def: $sgpr17
	v_cmpx_eq_u16_e32 0x80, v27
; %bb.17118:                            ;   in Loop: Header=BB6_15906 Depth=3
	s_mov_b32 s17, 0x7f800001
	s_xor_b32 s13, exec_lo, -1
; %bb.17119:                            ;   in Loop: Header=BB6_15906 Depth=3
	s_or_b32 exec_lo, exec_lo, s31
	s_delay_alu instid0(SALU_CYCLE_1)
	s_and_b32 s13, s13, exec_lo
                                        ; implicit-def: $vgpr27
	s_or_saveexec_b32 s30, s30
	v_mov_b32_e32 v26, s17
	s_xor_b32 exec_lo, exec_lo, s30
	s_cbranch_execz .LBB6_16654
.LBB6_17120:                            ;   in Loop: Header=BB6_15906 Depth=3
	v_cmp_ne_u16_e32 vcc_lo, 0, v27
	v_mov_b32_e32 v26, 0
	s_and_not1_b32 s13, s13, exec_lo
	s_and_b32 s17, vcc_lo, exec_lo
	s_delay_alu instid0(SALU_CYCLE_1)
	s_or_b32 s13, s13, s17
	s_or_b32 exec_lo, exec_lo, s30
	s_and_saveexec_b32 s17, s13
	s_cbranch_execnz .LBB6_16655
	s_branch .LBB6_16656
.LBB6_17121:                            ;   in Loop: Header=BB6_15906 Depth=3
	s_mov_b32 s13, -1
	s_mov_b32 s31, exec_lo
                                        ; implicit-def: $sgpr17
	v_cmpx_eq_u16_e32 0x80, v36
; %bb.17122:                            ;   in Loop: Header=BB6_15906 Depth=3
	s_mov_b32 s17, 0x7f800001
	s_xor_b32 s13, exec_lo, -1
; %bb.17123:                            ;   in Loop: Header=BB6_15906 Depth=3
	s_or_b32 exec_lo, exec_lo, s31
	s_delay_alu instid0(SALU_CYCLE_1)
	s_and_b32 s13, s13, exec_lo
                                        ; implicit-def: $vgpr36
	s_or_saveexec_b32 s30, s30
	v_mov_b32_e32 v27, s17
	s_xor_b32 exec_lo, exec_lo, s30
	s_cbranch_execz .LBB6_16658
.LBB6_17124:                            ;   in Loop: Header=BB6_15906 Depth=3
	v_cmp_ne_u16_e32 vcc_lo, 0, v36
	v_mov_b32_e32 v27, 0
	s_and_not1_b32 s13, s13, exec_lo
	s_and_b32 s17, vcc_lo, exec_lo
	s_delay_alu instid0(SALU_CYCLE_1)
	s_or_b32 s13, s13, s17
	s_or_b32 exec_lo, exec_lo, s30
	s_and_saveexec_b32 s17, s13
	s_cbranch_execnz .LBB6_16659
	s_branch .LBB6_16660
.LBB6_17125:                            ;   in Loop: Header=BB6_15906 Depth=3
	s_mov_b32 s13, -1
	s_mov_b32 s31, exec_lo
                                        ; implicit-def: $sgpr17
	v_cmpx_eq_u16_e32 0x80, v27
; %bb.17126:                            ;   in Loop: Header=BB6_15906 Depth=3
	s_mov_b32 s17, 0x7f800001
	s_xor_b32 s13, exec_lo, -1
; %bb.17127:                            ;   in Loop: Header=BB6_15906 Depth=3
	s_or_b32 exec_lo, exec_lo, s31
	s_delay_alu instid0(SALU_CYCLE_1)
	s_and_b32 s13, s13, exec_lo
                                        ; implicit-def: $vgpr27
	s_or_saveexec_b32 s30, s30
	v_mov_b32_e32 v26, s17
	s_xor_b32 exec_lo, exec_lo, s30
	s_cbranch_execz .LBB6_16670
.LBB6_17128:                            ;   in Loop: Header=BB6_15906 Depth=3
	v_cmp_ne_u16_e32 vcc_lo, 0, v27
	v_mov_b32_e32 v26, 0
	s_and_not1_b32 s13, s13, exec_lo
	s_and_b32 s17, vcc_lo, exec_lo
	s_delay_alu instid0(SALU_CYCLE_1)
	s_or_b32 s13, s13, s17
	s_or_b32 exec_lo, exec_lo, s30
	s_and_saveexec_b32 s17, s13
	s_cbranch_execnz .LBB6_16671
	s_branch .LBB6_16672
.LBB6_17129:                            ;   in Loop: Header=BB6_15906 Depth=3
	s_mov_b32 s13, -1
	s_mov_b32 s31, exec_lo
                                        ; implicit-def: $sgpr17
	v_cmpx_eq_u16_e32 0x80, v36
; %bb.17130:                            ;   in Loop: Header=BB6_15906 Depth=3
	s_mov_b32 s17, 0x7f800001
	s_xor_b32 s13, exec_lo, -1
; %bb.17131:                            ;   in Loop: Header=BB6_15906 Depth=3
	s_or_b32 exec_lo, exec_lo, s31
	s_delay_alu instid0(SALU_CYCLE_1)
	s_and_b32 s13, s13, exec_lo
                                        ; implicit-def: $vgpr36
	s_or_saveexec_b32 s30, s30
	v_mov_b32_e32 v27, s17
	s_xor_b32 exec_lo, exec_lo, s30
	s_cbranch_execz .LBB6_16674
.LBB6_17132:                            ;   in Loop: Header=BB6_15906 Depth=3
	v_cmp_ne_u16_e32 vcc_lo, 0, v36
	v_mov_b32_e32 v27, 0
	s_and_not1_b32 s13, s13, exec_lo
	s_and_b32 s17, vcc_lo, exec_lo
	s_delay_alu instid0(SALU_CYCLE_1)
	s_or_b32 s13, s13, s17
	s_or_b32 exec_lo, exec_lo, s30
	s_and_saveexec_b32 s17, s13
	s_cbranch_execnz .LBB6_16675
	s_branch .LBB6_16676
.LBB6_17133:                            ;   in Loop: Header=BB6_15906 Depth=3
	s_mov_b32 s13, -1
	s_mov_b32 s31, exec_lo
                                        ; implicit-def: $sgpr17
	v_cmpx_eq_u16_e32 0x80, v27
; %bb.17134:                            ;   in Loop: Header=BB6_15906 Depth=3
	s_mov_b32 s17, 0x7f800001
	s_xor_b32 s13, exec_lo, -1
; %bb.17135:                            ;   in Loop: Header=BB6_15906 Depth=3
	s_or_b32 exec_lo, exec_lo, s31
	s_delay_alu instid0(SALU_CYCLE_1)
	s_and_b32 s13, s13, exec_lo
                                        ; implicit-def: $vgpr27
	s_or_saveexec_b32 s30, s30
	v_mov_b32_e32 v26, s17
	s_xor_b32 exec_lo, exec_lo, s30
	s_cbranch_execz .LBB6_16686
.LBB6_17136:                            ;   in Loop: Header=BB6_15906 Depth=3
	v_cmp_ne_u16_e32 vcc_lo, 0, v27
	v_mov_b32_e32 v26, 0
	s_and_not1_b32 s13, s13, exec_lo
	s_and_b32 s17, vcc_lo, exec_lo
	s_delay_alu instid0(SALU_CYCLE_1)
	s_or_b32 s13, s13, s17
	s_or_b32 exec_lo, exec_lo, s30
	s_and_saveexec_b32 s17, s13
	s_cbranch_execnz .LBB6_16687
	s_branch .LBB6_16688
.LBB6_17137:                            ;   in Loop: Header=BB6_15906 Depth=3
	s_mov_b32 s13, -1
	s_mov_b32 s31, exec_lo
                                        ; implicit-def: $sgpr17
	v_cmpx_eq_u16_e32 0x80, v36
; %bb.17138:                            ;   in Loop: Header=BB6_15906 Depth=3
	s_mov_b32 s17, 0x7f800001
	s_xor_b32 s13, exec_lo, -1
; %bb.17139:                            ;   in Loop: Header=BB6_15906 Depth=3
	s_or_b32 exec_lo, exec_lo, s31
	s_delay_alu instid0(SALU_CYCLE_1)
	s_and_b32 s13, s13, exec_lo
                                        ; implicit-def: $vgpr36
	s_or_saveexec_b32 s30, s30
	v_mov_b32_e32 v27, s17
	s_xor_b32 exec_lo, exec_lo, s30
	s_cbranch_execz .LBB6_16690
.LBB6_17140:                            ;   in Loop: Header=BB6_15906 Depth=3
	v_cmp_ne_u16_e32 vcc_lo, 0, v36
	v_mov_b32_e32 v27, 0
	s_and_not1_b32 s13, s13, exec_lo
	s_and_b32 s17, vcc_lo, exec_lo
	s_delay_alu instid0(SALU_CYCLE_1)
	s_or_b32 s13, s13, s17
	s_or_b32 exec_lo, exec_lo, s30
	s_and_saveexec_b32 s17, s13
	s_cbranch_execnz .LBB6_16691
	s_branch .LBB6_16692
.LBB6_17141:                            ;   in Loop: Header=BB6_15906 Depth=3
	s_mov_b32 s13, -1
	s_mov_b32 s31, exec_lo
                                        ; implicit-def: $sgpr17
	v_cmpx_eq_u16_e32 0x80, v27
; %bb.17142:                            ;   in Loop: Header=BB6_15906 Depth=3
	s_mov_b32 s17, 0x7f800001
	s_xor_b32 s13, exec_lo, -1
; %bb.17143:                            ;   in Loop: Header=BB6_15906 Depth=3
	s_or_b32 exec_lo, exec_lo, s31
	s_delay_alu instid0(SALU_CYCLE_1)
	s_and_b32 s13, s13, exec_lo
                                        ; implicit-def: $vgpr27
	s_or_saveexec_b32 s30, s30
	v_mov_b32_e32 v26, s17
	s_xor_b32 exec_lo, exec_lo, s30
	s_cbranch_execz .LBB6_16702
.LBB6_17144:                            ;   in Loop: Header=BB6_15906 Depth=3
	v_cmp_ne_u16_e32 vcc_lo, 0, v27
	v_mov_b32_e32 v26, 0
	s_and_not1_b32 s13, s13, exec_lo
	s_and_b32 s17, vcc_lo, exec_lo
	s_delay_alu instid0(SALU_CYCLE_1)
	s_or_b32 s13, s13, s17
	s_or_b32 exec_lo, exec_lo, s30
	s_and_saveexec_b32 s17, s13
	s_cbranch_execnz .LBB6_16703
	s_branch .LBB6_16704
.LBB6_17145:                            ;   in Loop: Header=BB6_15906 Depth=3
	s_mov_b32 s13, -1
	s_mov_b32 s31, exec_lo
                                        ; implicit-def: $sgpr17
	v_cmpx_eq_u16_e32 0x80, v36
; %bb.17146:                            ;   in Loop: Header=BB6_15906 Depth=3
	s_mov_b32 s17, 0x7f800001
	s_xor_b32 s13, exec_lo, -1
; %bb.17147:                            ;   in Loop: Header=BB6_15906 Depth=3
	s_or_b32 exec_lo, exec_lo, s31
	s_delay_alu instid0(SALU_CYCLE_1)
	s_and_b32 s13, s13, exec_lo
                                        ; implicit-def: $vgpr36
	s_or_saveexec_b32 s30, s30
	v_mov_b32_e32 v27, s17
	s_xor_b32 exec_lo, exec_lo, s30
	s_cbranch_execz .LBB6_16706
.LBB6_17148:                            ;   in Loop: Header=BB6_15906 Depth=3
	v_cmp_ne_u16_e32 vcc_lo, 0, v36
	v_mov_b32_e32 v27, 0
	s_and_not1_b32 s13, s13, exec_lo
	s_and_b32 s17, vcc_lo, exec_lo
	s_delay_alu instid0(SALU_CYCLE_1)
	s_or_b32 s13, s13, s17
	s_or_b32 exec_lo, exec_lo, s30
	s_and_saveexec_b32 s17, s13
	s_cbranch_execnz .LBB6_16707
	s_branch .LBB6_16708
.LBB6_17149:                            ;   in Loop: Header=BB6_15906 Depth=3
	s_mov_b32 s13, -1
	s_mov_b32 s31, exec_lo
                                        ; implicit-def: $sgpr17
	v_cmpx_eq_u16_e32 0x80, v36
; %bb.17150:                            ;   in Loop: Header=BB6_15906 Depth=3
	s_mov_b32 s17, 0x7f800001
	s_xor_b32 s13, exec_lo, -1
; %bb.17151:                            ;   in Loop: Header=BB6_15906 Depth=3
	s_or_b32 exec_lo, exec_lo, s31
	s_delay_alu instid0(SALU_CYCLE_1)
	s_and_b32 s13, s13, exec_lo
                                        ; implicit-def: $vgpr36
	s_or_saveexec_b32 s30, s30
	v_mov_b32_e32 v27, s17
	s_xor_b32 exec_lo, exec_lo, s30
	s_cbranch_execz .LBB6_16718
.LBB6_17152:                            ;   in Loop: Header=BB6_15906 Depth=3
	v_cmp_ne_u16_e32 vcc_lo, 0, v36
	v_mov_b32_e32 v27, 0
	s_and_not1_b32 s13, s13, exec_lo
	s_and_b32 s17, vcc_lo, exec_lo
	s_delay_alu instid0(SALU_CYCLE_1)
	s_or_b32 s13, s13, s17
	s_or_b32 exec_lo, exec_lo, s30
	s_and_saveexec_b32 s17, s13
	s_cbranch_execnz .LBB6_16719
	s_branch .LBB6_16720
.LBB6_17153:                            ;   in Loop: Header=BB6_15906 Depth=3
	s_mov_b32 s13, -1
	s_mov_b32 s31, exec_lo
                                        ; implicit-def: $sgpr17
	v_cmpx_eq_u16_e32 0x80, v37
; %bb.17154:                            ;   in Loop: Header=BB6_15906 Depth=3
	s_mov_b32 s17, 0x7f800001
	s_xor_b32 s13, exec_lo, -1
; %bb.17155:                            ;   in Loop: Header=BB6_15906 Depth=3
	s_or_b32 exec_lo, exec_lo, s31
	s_delay_alu instid0(SALU_CYCLE_1)
	s_and_b32 s13, s13, exec_lo
                                        ; implicit-def: $vgpr37
	s_or_saveexec_b32 s30, s30
	v_mov_b32_e32 v36, s17
	s_xor_b32 exec_lo, exec_lo, s30
	s_cbranch_execz .LBB6_16722
.LBB6_17156:                            ;   in Loop: Header=BB6_15906 Depth=3
	v_cmp_ne_u16_e32 vcc_lo, 0, v37
	v_mov_b32_e32 v36, 0
	s_and_not1_b32 s13, s13, exec_lo
	s_and_b32 s17, vcc_lo, exec_lo
	s_delay_alu instid0(SALU_CYCLE_1)
	s_or_b32 s13, s13, s17
	s_or_b32 exec_lo, exec_lo, s30
	s_and_saveexec_b32 s17, s13
	s_cbranch_execnz .LBB6_16723
	s_branch .LBB6_16724
.LBB6_17157:                            ;   in Loop: Header=BB6_15906 Depth=3
	s_mov_b32 s13, -1
	s_mov_b32 s31, exec_lo
                                        ; implicit-def: $sgpr17
	v_cmpx_eq_u16_e32 0x80, v37
; %bb.17158:                            ;   in Loop: Header=BB6_15906 Depth=3
	s_mov_b32 s17, 0x7f800001
	s_xor_b32 s13, exec_lo, -1
; %bb.17159:                            ;   in Loop: Header=BB6_15906 Depth=3
	s_or_b32 exec_lo, exec_lo, s31
	s_delay_alu instid0(SALU_CYCLE_1)
	s_and_b32 s13, s13, exec_lo
                                        ; implicit-def: $vgpr37
	s_or_saveexec_b32 s30, s30
	v_mov_b32_e32 v36, s17
	s_xor_b32 exec_lo, exec_lo, s30
	s_cbranch_execz .LBB6_16734
.LBB6_17160:                            ;   in Loop: Header=BB6_15906 Depth=3
	v_cmp_ne_u16_e32 vcc_lo, 0, v37
	v_mov_b32_e32 v36, 0
	s_and_not1_b32 s13, s13, exec_lo
	s_and_b32 s17, vcc_lo, exec_lo
	s_delay_alu instid0(SALU_CYCLE_1)
	s_or_b32 s13, s13, s17
	s_or_b32 exec_lo, exec_lo, s30
	s_and_saveexec_b32 s17, s13
	s_cbranch_execnz .LBB6_16735
	s_branch .LBB6_16736
.LBB6_17161:                            ;   in Loop: Header=BB6_15906 Depth=3
	s_mov_b32 s13, -1
	s_mov_b32 s31, exec_lo
                                        ; implicit-def: $sgpr17
	v_cmpx_eq_u16_e32 0x80, v38
; %bb.17162:                            ;   in Loop: Header=BB6_15906 Depth=3
	s_mov_b32 s17, 0x7f800001
	s_xor_b32 s13, exec_lo, -1
; %bb.17163:                            ;   in Loop: Header=BB6_15906 Depth=3
	s_or_b32 exec_lo, exec_lo, s31
	s_delay_alu instid0(SALU_CYCLE_1)
	s_and_b32 s13, s13, exec_lo
                                        ; implicit-def: $vgpr38
	s_or_saveexec_b32 s30, s30
	v_mov_b32_e32 v37, s17
	s_xor_b32 exec_lo, exec_lo, s30
	s_cbranch_execz .LBB6_16738
.LBB6_17164:                            ;   in Loop: Header=BB6_15906 Depth=3
	v_cmp_ne_u16_e32 vcc_lo, 0, v38
	v_mov_b32_e32 v37, 0
	s_and_not1_b32 s13, s13, exec_lo
	s_and_b32 s17, vcc_lo, exec_lo
	s_delay_alu instid0(SALU_CYCLE_1)
	s_or_b32 s13, s13, s17
	s_or_b32 exec_lo, exec_lo, s30
	s_and_saveexec_b32 s17, s13
	s_cbranch_execnz .LBB6_16739
	s_branch .LBB6_16740
.LBB6_17165:                            ;   in Loop: Header=BB6_15906 Depth=3
	s_mov_b32 s13, -1
	s_mov_b32 s31, exec_lo
                                        ; implicit-def: $sgpr17
	v_cmpx_eq_u16_e32 0x80, v38
; %bb.17166:                            ;   in Loop: Header=BB6_15906 Depth=3
	s_mov_b32 s17, 0x7f800001
	s_xor_b32 s13, exec_lo, -1
; %bb.17167:                            ;   in Loop: Header=BB6_15906 Depth=3
	s_or_b32 exec_lo, exec_lo, s31
	s_delay_alu instid0(SALU_CYCLE_1)
	s_and_b32 s13, s13, exec_lo
                                        ; implicit-def: $vgpr38
	s_or_saveexec_b32 s30, s30
	v_mov_b32_e32 v37, s17
	s_xor_b32 exec_lo, exec_lo, s30
	s_cbranch_execz .LBB6_16750
.LBB6_17168:                            ;   in Loop: Header=BB6_15906 Depth=3
	v_cmp_ne_u16_e32 vcc_lo, 0, v38
	v_mov_b32_e32 v37, 0
	s_and_not1_b32 s13, s13, exec_lo
	s_and_b32 s17, vcc_lo, exec_lo
	s_delay_alu instid0(SALU_CYCLE_1)
	s_or_b32 s13, s13, s17
	s_or_b32 exec_lo, exec_lo, s30
	s_and_saveexec_b32 s17, s13
	s_cbranch_execnz .LBB6_16751
	s_branch .LBB6_16752
.LBB6_17169:                            ;   in Loop: Header=BB6_15906 Depth=3
	s_mov_b32 s13, -1
	s_mov_b32 s31, exec_lo
                                        ; implicit-def: $sgpr17
	v_cmpx_eq_u16_e32 0x80, v39
; %bb.17170:                            ;   in Loop: Header=BB6_15906 Depth=3
	s_mov_b32 s17, 0x7f800001
	s_xor_b32 s13, exec_lo, -1
; %bb.17171:                            ;   in Loop: Header=BB6_15906 Depth=3
	s_or_b32 exec_lo, exec_lo, s31
	s_delay_alu instid0(SALU_CYCLE_1)
	s_and_b32 s13, s13, exec_lo
                                        ; implicit-def: $vgpr39
	s_or_saveexec_b32 s30, s30
	v_mov_b32_e32 v38, s17
	s_xor_b32 exec_lo, exec_lo, s30
	s_cbranch_execz .LBB6_16754
.LBB6_17172:                            ;   in Loop: Header=BB6_15906 Depth=3
	v_cmp_ne_u16_e32 vcc_lo, 0, v39
	v_mov_b32_e32 v38, 0
	s_and_not1_b32 s13, s13, exec_lo
	s_and_b32 s17, vcc_lo, exec_lo
	s_delay_alu instid0(SALU_CYCLE_1)
	s_or_b32 s13, s13, s17
	s_or_b32 exec_lo, exec_lo, s30
	s_and_saveexec_b32 s17, s13
	s_cbranch_execnz .LBB6_16755
	s_branch .LBB6_16756
.LBB6_17173:                            ;   in Loop: Header=BB6_15906 Depth=3
	s_mov_b32 s13, -1
	s_mov_b32 s31, exec_lo
                                        ; implicit-def: $sgpr17
	v_cmpx_eq_u16_e32 0x80, v39
; %bb.17174:                            ;   in Loop: Header=BB6_15906 Depth=3
	s_mov_b32 s17, 0x7f800001
	s_xor_b32 s13, exec_lo, -1
; %bb.17175:                            ;   in Loop: Header=BB6_15906 Depth=3
	s_or_b32 exec_lo, exec_lo, s31
	s_delay_alu instid0(SALU_CYCLE_1)
	s_and_b32 s13, s13, exec_lo
                                        ; implicit-def: $vgpr39
	s_or_saveexec_b32 s30, s30
	v_mov_b32_e32 v38, s17
	s_xor_b32 exec_lo, exec_lo, s30
	s_cbranch_execz .LBB6_16766
.LBB6_17176:                            ;   in Loop: Header=BB6_15906 Depth=3
	v_cmp_ne_u16_e32 vcc_lo, 0, v39
	v_mov_b32_e32 v38, 0
	s_and_not1_b32 s13, s13, exec_lo
	s_and_b32 s17, vcc_lo, exec_lo
	s_delay_alu instid0(SALU_CYCLE_1)
	s_or_b32 s13, s13, s17
	s_or_b32 exec_lo, exec_lo, s30
	s_and_saveexec_b32 s17, s13
	s_cbranch_execnz .LBB6_16767
	s_branch .LBB6_16768
.LBB6_17177:                            ;   in Loop: Header=BB6_15906 Depth=3
	s_mov_b32 s13, -1
	s_mov_b32 s31, exec_lo
                                        ; implicit-def: $sgpr17
	v_cmpx_eq_u16_e32 0x80, v39
; %bb.17178:                            ;   in Loop: Header=BB6_15906 Depth=3
	s_mov_b32 s17, 0x7f800001
	s_xor_b32 s13, exec_lo, -1
; %bb.17179:                            ;   in Loop: Header=BB6_15906 Depth=3
	s_or_b32 exec_lo, exec_lo, s31
	s_delay_alu instid0(SALU_CYCLE_1)
	s_and_b32 s13, s13, exec_lo
                                        ; implicit-def: $vgpr39
	s_or_saveexec_b32 s30, s30
	v_mov_b32_e32 v22, s17
	s_xor_b32 exec_lo, exec_lo, s30
	s_cbranch_execz .LBB6_16770
.LBB6_17180:                            ;   in Loop: Header=BB6_15906 Depth=3
	v_cmp_ne_u16_e32 vcc_lo, 0, v39
	v_mov_b32_e32 v22, 0
	s_and_not1_b32 s13, s13, exec_lo
	s_and_b32 s17, vcc_lo, exec_lo
	s_delay_alu instid0(SALU_CYCLE_1)
	s_or_b32 s13, s13, s17
	s_or_b32 exec_lo, exec_lo, s30
	s_and_saveexec_b32 s17, s13
	s_cbranch_execnz .LBB6_16771
	s_branch .LBB6_16772
.LBB6_17181:                            ;   in Loop: Header=BB6_15906 Depth=3
	s_mov_b32 s13, -1
	s_mov_b32 s31, exec_lo
                                        ; implicit-def: $sgpr17
	v_cmpx_eq_u16_e32 0x80, v39
; %bb.17182:                            ;   in Loop: Header=BB6_15906 Depth=3
	s_mov_b32 s17, 0x7f800001
	s_xor_b32 s13, exec_lo, -1
; %bb.17183:                            ;   in Loop: Header=BB6_15906 Depth=3
	s_or_b32 exec_lo, exec_lo, s31
	s_delay_alu instid0(SALU_CYCLE_1)
	s_and_b32 s13, s13, exec_lo
                                        ; implicit-def: $vgpr39
	s_or_saveexec_b32 s30, s30
	v_mov_b32_e32 v38, s17
	s_xor_b32 exec_lo, exec_lo, s30
	s_cbranch_execz .LBB6_16782
.LBB6_17184:                            ;   in Loop: Header=BB6_15906 Depth=3
	v_cmp_ne_u16_e32 vcc_lo, 0, v39
	v_mov_b32_e32 v38, 0
	s_and_not1_b32 s13, s13, exec_lo
	s_and_b32 s17, vcc_lo, exec_lo
	s_delay_alu instid0(SALU_CYCLE_1)
	s_or_b32 s13, s13, s17
	s_or_b32 exec_lo, exec_lo, s30
	s_and_saveexec_b32 s17, s13
	s_cbranch_execnz .LBB6_16783
	s_branch .LBB6_16784
.LBB6_17185:                            ;   in Loop: Header=BB6_15906 Depth=3
	s_mov_b32 s13, -1
	s_mov_b32 s31, exec_lo
                                        ; implicit-def: $sgpr17
	v_cmpx_eq_u16_e32 0x80, v39
; %bb.17186:                            ;   in Loop: Header=BB6_15906 Depth=3
	s_mov_b32 s17, 0x7f800001
	s_xor_b32 s13, exec_lo, -1
; %bb.17187:                            ;   in Loop: Header=BB6_15906 Depth=3
	s_or_b32 exec_lo, exec_lo, s31
	s_delay_alu instid0(SALU_CYCLE_1)
	s_and_b32 s13, s13, exec_lo
                                        ; implicit-def: $vgpr39
	s_or_saveexec_b32 s30, s30
	v_mov_b32_e32 v20, s17
	s_xor_b32 exec_lo, exec_lo, s30
	s_cbranch_execz .LBB6_16786
.LBB6_17188:                            ;   in Loop: Header=BB6_15906 Depth=3
	v_cmp_ne_u16_e32 vcc_lo, 0, v39
	v_mov_b32_e32 v20, 0
	s_and_not1_b32 s13, s13, exec_lo
	s_and_b32 s17, vcc_lo, exec_lo
	s_delay_alu instid0(SALU_CYCLE_1)
	s_or_b32 s13, s13, s17
	s_or_b32 exec_lo, exec_lo, s30
	s_and_saveexec_b32 s17, s13
	s_cbranch_execnz .LBB6_16787
	s_branch .LBB6_16788
.LBB6_17189:                            ;   in Loop: Header=BB6_15906 Depth=3
	s_mov_b32 s13, -1
	s_mov_b32 s31, exec_lo
                                        ; implicit-def: $sgpr17
	v_cmpx_eq_u16_e32 0x80, v38
; %bb.17190:                            ;   in Loop: Header=BB6_15906 Depth=3
	s_mov_b32 s17, 0x7f800001
	s_xor_b32 s13, exec_lo, -1
; %bb.17191:                            ;   in Loop: Header=BB6_15906 Depth=3
	s_or_b32 exec_lo, exec_lo, s31
	s_delay_alu instid0(SALU_CYCLE_1)
	s_and_b32 s13, s13, exec_lo
                                        ; implicit-def: $vgpr38
	s_or_saveexec_b32 s30, s30
	v_mov_b32_e32 v23, s17
	s_xor_b32 exec_lo, exec_lo, s30
	s_cbranch_execz .LBB6_16798
.LBB6_17192:                            ;   in Loop: Header=BB6_15906 Depth=3
	v_cmp_ne_u16_e32 vcc_lo, 0, v38
	v_mov_b32_e32 v23, 0
	s_and_not1_b32 s13, s13, exec_lo
	s_and_b32 s17, vcc_lo, exec_lo
	s_delay_alu instid0(SALU_CYCLE_1)
	s_or_b32 s13, s13, s17
	s_or_b32 exec_lo, exec_lo, s30
	s_and_saveexec_b32 s17, s13
	s_cbranch_execnz .LBB6_16799
	s_branch .LBB6_16800
.LBB6_17193:                            ;   in Loop: Header=BB6_15906 Depth=3
	s_mov_b32 s13, -1
	s_mov_b32 s31, exec_lo
                                        ; implicit-def: $sgpr17
	v_cmpx_eq_u16_e32 0x80, v38
; %bb.17194:                            ;   in Loop: Header=BB6_15906 Depth=3
	s_mov_b32 s17, 0x7f800001
	s_xor_b32 s13, exec_lo, -1
; %bb.17195:                            ;   in Loop: Header=BB6_15906 Depth=3
	s_or_b32 exec_lo, exec_lo, s31
	s_delay_alu instid0(SALU_CYCLE_1)
	s_and_b32 s13, s13, exec_lo
                                        ; implicit-def: $vgpr38
	s_or_saveexec_b32 s30, s30
	v_mov_b32_e32 v15, s17
	s_xor_b32 exec_lo, exec_lo, s30
	s_cbranch_execz .LBB6_16802
.LBB6_17196:                            ;   in Loop: Header=BB6_15906 Depth=3
	v_cmp_ne_u16_e32 vcc_lo, 0, v38
	v_mov_b32_e32 v15, 0
	s_and_not1_b32 s13, s13, exec_lo
	s_and_b32 s17, vcc_lo, exec_lo
	s_delay_alu instid0(SALU_CYCLE_1)
	s_or_b32 s13, s13, s17
	s_or_b32 exec_lo, exec_lo, s30
	s_and_saveexec_b32 s17, s13
	s_cbranch_execnz .LBB6_16803
	s_branch .LBB6_16804
.LBB6_17197:                            ;   in Loop: Header=BB6_7988 Depth=2
	s_or_b32 exec_lo, exec_lo, s16
.LBB6_17198:                            ;   in Loop: Header=BB6_7988 Depth=2
	s_delay_alu instid0(SALU_CYCLE_1) | instskip(SKIP_2) | instid1(VALU_DEP_1)
	s_or_b32 exec_lo, exec_lo, s15
	v_lshlrev_b32_e32 v8, 10, v19
	s_mov_b32 s15, exec_lo
	v_cmpx_ne_u32_e64 v17, v8
	s_cbranch_execz .LBB6_17253
; %bb.17199:                            ;   in Loop: Header=BB6_7988 Depth=2
	v_ashrrev_i32_e32 v9, 31, v18
	v_lshlrev_b32_e32 v2, 5, v2
	s_delay_alu instid0(VALU_DEP_2) | instskip(NEXT) | instid1(VALU_DEP_1)
	v_lshrrev_b32_e32 v9, 27, v9
	v_add_nc_u32_e32 v9, v18, v9
	s_delay_alu instid0(VALU_DEP_1) | instskip(NEXT) | instid1(VALU_DEP_1)
	v_and_b32_e32 v9, 0xffffffe0, v9
	v_sub_nc_u32_e32 v9, v18, v9
	s_delay_alu instid0(VALU_DEP_1) | instskip(NEXT) | instid1(VALU_DEP_1)
	v_sub_nc_u32_e32 v2, v9, v2
	v_add_nc_u32_e32 v8, v8, v2
	s_delay_alu instid0(VALU_DEP_1) | instskip(NEXT) | instid1(VALU_DEP_1)
	v_sub_nc_u32_e32 v2, v17, v8
	v_cmp_lt_i32_e32 vcc_lo, 0, v2
	s_and_b32 exec_lo, exec_lo, vcc_lo
	s_cbranch_execz .LBB6_17253
; %bb.17200:                            ;   in Loop: Header=BB6_7988 Depth=2
	s_cbranch_execnz .LBB6_18407
; %bb.17201:                            ;   in Loop: Header=BB6_7988 Depth=2
	ds_load_b128 v[9:12], v0
	ds_load_b64 v[13:14], v0
	v_add_nc_u32_e32 v15, v8, v16
	s_mov_b32 s16, 0
	s_delay_alu instid0(VALU_DEP_1) | instskip(SKIP_2) | instid1(VALU_DEP_2)
	v_ashrrev_i32_e32 v16, 31, v15
	s_waitcnt lgkmcnt(1)
	v_add_co_u32 v8, vcc_lo, v9, v15
	v_add_co_ci_u32_e32 v9, vcc_lo, v10, v16, vcc_lo
	v_add_co_u32 v10, vcc_lo, v11, v15
	v_add_co_ci_u32_e32 v11, vcc_lo, v12, v16, vcc_lo
	s_waitcnt lgkmcnt(0)
	v_add_co_u32 v12, vcc_lo, v13, v15
	v_add_co_ci_u32_e32 v13, vcc_lo, v14, v16, vcc_lo
.LBB6_17202:                            ;   Parent Loop BB6_51 Depth=1
                                        ;     Parent Loop BB6_7988 Depth=2
                                        ; =>    This Inner Loop Header: Depth=3
	s_cbranch_execnz .LBB6_18409
; %bb.17203:                            ;   in Loop: Header=BB6_17202 Depth=3
	ds_load_b64 v[14:15], v0
	s_waitcnt lgkmcnt(0)
	v_and_b32_e32 v15, 0xff, v14
	v_readfirstlane_b32 s13, v14
	s_delay_alu instid0(VALU_DEP_2)
	v_cmp_gt_i16_e32 vcc_lo, 0x80, v15
	s_cbranch_vccnz .LBB6_17207
; %bb.17204:                            ;   in Loop: Header=BB6_17202 Depth=3
	v_cmp_eq_u16_e32 vcc_lo, 0x80, v15
	s_mov_b32 s17, -1
                                        ; implicit-def: $sgpr30
	s_cbranch_vccz .LBB6_17206
; %bb.17205:                            ;   in Loop: Header=BB6_17202 Depth=3
	s_mov_b32 s17, 0
	s_mov_b32 s30, 0x7f800001
.LBB6_17206:                            ;   in Loop: Header=BB6_17202 Depth=3
	s_mov_b32 vcc_lo, 0
	s_branch .LBB6_17208
.LBB6_17207:                            ;   in Loop: Header=BB6_17202 Depth=3
	s_mov_b32 vcc_lo, -1
	s_mov_b32 s17, 0
                                        ; implicit-def: $sgpr30
.LBB6_17208:                            ;   in Loop: Header=BB6_17202 Depth=3
	s_and_b32 vcc_lo, exec_lo, vcc_lo
	s_cbranch_vccz .LBB6_17210
; %bb.17209:                            ;   in Loop: Header=BB6_17202 Depth=3
	v_cmp_ne_u16_e64 s17, 0, v15
	s_mov_b32 s30, 0
.LBB6_17210:                            ;   in Loop: Header=BB6_17202 Depth=3
	s_delay_alu instid0(SALU_CYCLE_1) | instskip(NEXT) | instid1(VALU_DEP_2)
	v_mov_b32_e32 v15, s30
	s_and_not1_b32 vcc_lo, exec_lo, s17
	s_cbranch_vccnz .LBB6_17212
; %bb.17211:                            ;   in Loop: Header=BB6_17202 Depth=3
	s_and_b32 s17, s13, 3
	s_bfe_u32 s30, s13, 0x50002
	s_clz_i32_u32 vcc_lo, s17
	v_lshlrev_b32_e32 v14, 24, v14
	s_min_u32 vcc_lo, vcc_lo, 32
	s_delay_alu instid0(SALU_CYCLE_1)
	s_sub_i32 s31, vcc_lo, 29
	s_sub_i32 vcc_lo, 30, vcc_lo
	s_lshl_b32 s13, s13, s31
	v_and_b32_e32 v14, 0x80000000, v14
	s_and_b32 s13, s13, 3
	s_cmp_eq_u32 s30, 0
	s_cselect_b32 vcc_lo, vcc_lo, s30
	s_cselect_b32 s13, s13, s17
	s_lshl_b32 s17, vcc_lo, 23
	s_lshl_b32 s13, s13, 21
	s_add_i32 s17, s17, 0x37800000
	s_delay_alu instid0(SALU_CYCLE_1) | instskip(NEXT) | instid1(VALU_DEP_1)
	v_or_b32_e32 v14, s17, v14
	v_or_b32_e32 v15, s13, v14
.LBB6_17212:                            ;   in Loop: Header=BB6_17202 Depth=3
	flat_load_u8 v14, v[8:9] slc dlc
	s_mov_b32 s13, 0
	s_mov_b32 s30, exec_lo
                                        ; implicit-def: $sgpr17
	s_waitcnt vmcnt(0) lgkmcnt(0)
	v_cmpx_lt_i16_e32 0x7f, v14
	s_xor_b32 s30, exec_lo, s30
	s_cbranch_execnz .LBB6_17241
; %bb.17213:                            ;   in Loop: Header=BB6_17202 Depth=3
	s_or_saveexec_b32 s30, s30
	v_mov_b32_e32 v16, s17
	s_xor_b32 exec_lo, exec_lo, s30
	s_cbranch_execnz .LBB6_17244
.LBB6_17214:                            ;   in Loop: Header=BB6_17202 Depth=3
	s_or_b32 exec_lo, exec_lo, s30
	s_and_saveexec_b32 s17, s13
	s_cbranch_execz .LBB6_17216
.LBB6_17215:                            ;   in Loop: Header=BB6_17202 Depth=3
	v_and_b32_e32 v16, 0xffff, v14
	v_lshlrev_b32_e32 v14, 24, v14
	s_delay_alu instid0(VALU_DEP_2) | instskip(NEXT) | instid1(VALU_DEP_2)
	v_and_b32_e32 v17, 3, v16
	v_and_b32_e32 v14, 0x80000000, v14
	s_delay_alu instid0(VALU_DEP_2) | instskip(NEXT) | instid1(VALU_DEP_1)
	v_clz_i32_u32_e32 v18, v17
	v_min_u32_e32 v18, 32, v18
	s_delay_alu instid0(VALU_DEP_1) | instskip(SKIP_1) | instid1(VALU_DEP_2)
	v_subrev_nc_u32_e32 v19, 29, v18
	v_sub_nc_u32_e32 v18, 30, v18
	v_lshlrev_b32_e32 v19, v19, v16
	v_bfe_u32 v16, v16, 2, 5
	s_delay_alu instid0(VALU_DEP_2) | instskip(NEXT) | instid1(VALU_DEP_2)
	v_and_b32_e32 v19, 3, v19
	v_cmp_eq_u32_e32 vcc_lo, 0, v16
	s_delay_alu instid0(VALU_DEP_2) | instskip(NEXT) | instid1(VALU_DEP_1)
	v_dual_cndmask_b32 v16, v16, v18 :: v_dual_cndmask_b32 v17, v17, v19
	v_lshl_add_u32 v16, v16, 23, 0x37800000
	s_delay_alu instid0(VALU_DEP_2) | instskip(NEXT) | instid1(VALU_DEP_1)
	v_lshlrev_b32_e32 v17, 21, v17
	v_or3_b32 v16, v14, v16, v17
.LBB6_17216:                            ;   in Loop: Header=BB6_17202 Depth=3
	s_or_b32 exec_lo, exec_lo, s17
	s_delay_alu instid0(VALU_DEP_1) | instskip(SKIP_2) | instid1(VALU_DEP_2)
	v_mul_f32_e32 v14, v15, v16
	v_mov_b32_e32 v16, 0x80
	s_mov_b32 s17, exec_lo
	v_and_b32_e32 v15, 0x7f800000, v14
	s_delay_alu instid0(VALU_DEP_1)
	v_cmpx_ne_u32_e32 0x7f800000, v15
	s_cbranch_execz .LBB6_17224
; %bb.17217:                            ;   in Loop: Header=BB6_17202 Depth=3
	v_mov_b32_e32 v16, 0
	s_mov_b32 s30, exec_lo
	v_cmpx_ne_u32_e32 0, v14
	s_cbranch_execz .LBB6_17223
; %bb.17218:                            ;   in Loop: Header=BB6_17202 Depth=3
	v_bfe_u32 v15, v14, 23, 8
	s_delay_alu instid0(VALU_DEP_1) | instskip(SKIP_1) | instid1(VALU_DEP_2)
	v_sub_nc_u32_e32 v17, 0x70, v15
	v_cmp_gt_u32_e32 vcc_lo, 0x71, v15
	v_dual_cndmask_b32 v17, 0, v17 :: v_dual_and_b32 v16, 0x7fffff, v14
	s_delay_alu instid0(VALU_DEP_1) | instskip(SKIP_2) | instid1(VALU_DEP_4)
	v_or_b32_e32 v18, 0x800000, v16
	v_cmp_eq_u32_e32 vcc_lo, 0, v15
	v_add_nc_u32_e32 v15, 0xffffff91, v15
	v_cndmask_b32_e64 v17, v17, 0x6f, vcc_lo
	s_delay_alu instid0(VALU_DEP_4) | instskip(NEXT) | instid1(VALU_DEP_3)
	v_cndmask_b32_e32 v16, v18, v16, vcc_lo
	v_cndmask_b32_e64 v15, v15, 0xffffff92, vcc_lo
	s_delay_alu instid0(VALU_DEP_3) | instskip(NEXT) | instid1(VALU_DEP_3)
	v_lshl_add_u32 v18, 0x200000, v17, -1
	v_lshrrev_b32_e32 v19, v17, v16
	v_lshlrev_b32_e64 v21, v17, 0x100000
	s_delay_alu instid0(VALU_DEP_4) | instskip(NEXT) | instid1(VALU_DEP_4)
	v_add_nc_u32_e32 v17, v17, v15
	v_and_b32_e32 v16, v18, v16
	s_delay_alu instid0(VALU_DEP_4) | instskip(NEXT) | instid1(VALU_DEP_2)
	v_bfe_u32 v20, v19, 21, 1
	v_cmp_eq_u32_e64 s13, v16, v21
	s_delay_alu instid0(VALU_DEP_2) | instskip(NEXT) | instid1(VALU_DEP_1)
	v_add_nc_u32_e32 v18, -1, v20
	v_cndmask_b32_e64 v16, 0, v18, s13
	v_lshrrev_b32_e32 v18, 23, v19
	s_mov_b32 s13, exec_lo
	s_delay_alu instid0(VALU_DEP_2) | instskip(NEXT) | instid1(VALU_DEP_2)
	v_add_nc_u32_e32 v16, v16, v19
	v_xor_b32_e32 v18, 1, v18
	s_delay_alu instid0(VALU_DEP_2) | instskip(NEXT) | instid1(VALU_DEP_1)
	v_and_b32_e32 v15, 0x1fffff, v16
	v_add_nc_u32_e32 v16, v15, v19
                                        ; implicit-def: $vgpr15
	s_delay_alu instid0(VALU_DEP_3)
	v_cmpx_ne_u32_e64 v17, v18
	s_xor_b32 s13, exec_lo, s13
; %bb.17219:                            ;   in Loop: Header=BB6_17202 Depth=3
	s_delay_alu instid0(VALU_DEP_2) | instskip(SKIP_2) | instid1(VALU_DEP_2)
	v_cmp_lt_u32_e32 vcc_lo, 0xffffff, v16
	v_sub_nc_u32_e32 v15, v17, v18
	v_cndmask_b32_e64 v17, 0, 1, vcc_lo
	v_add_co_ci_u32_e32 v15, vcc_lo, 0, v15, vcc_lo
	s_delay_alu instid0(VALU_DEP_2)
	v_lshrrev_b32_e32 v16, v17, v16
; %bb.17220:                            ;   in Loop: Header=BB6_17202 Depth=3
	s_and_not1_saveexec_b32 s13, s13
; %bb.17221:                            ;   in Loop: Header=BB6_17202 Depth=3
	s_delay_alu instid0(VALU_DEP_1)
	v_bfe_u32 v15, v16, 23, 1
; %bb.17222:                            ;   in Loop: Header=BB6_17202 Depth=3
	s_or_b32 exec_lo, exec_lo, s13
	v_lshrrev_b32_e32 v16, 21, v16
	s_delay_alu instid0(VALU_DEP_2) | instskip(SKIP_2) | instid1(VALU_DEP_4)
	v_cmp_gt_i32_e32 vcc_lo, 32, v15
	v_lshrrev_b32_e32 v14, 24, v14
	v_min_i32_e32 v17, 31, v15
	v_cndmask_b32_e32 v16, 3, v16, vcc_lo
	s_delay_alu instid0(VALU_DEP_3) | instskip(NEXT) | instid1(VALU_DEP_3)
	v_and_b32_e32 v14, 0x80, v14
	v_lshlrev_b32_e32 v17, 2, v17
	s_delay_alu instid0(VALU_DEP_3) | instskip(SKIP_1) | instid1(VALU_DEP_2)
	v_and_b32_e32 v18, 3, v16
	v_or_b32_e32 v15, v15, v16
	v_or3_b32 v14, v17, v14, v18
	s_delay_alu instid0(VALU_DEP_2) | instskip(NEXT) | instid1(VALU_DEP_2)
	v_cmp_ne_u32_e32 vcc_lo, 0, v15
	v_cndmask_b32_e32 v16, 0, v14, vcc_lo
.LBB6_17223:                            ;   in Loop: Header=BB6_17202 Depth=3
	s_or_b32 exec_lo, exec_lo, s30
.LBB6_17224:                            ;   in Loop: Header=BB6_17202 Depth=3
	s_delay_alu instid0(SALU_CYCLE_1) | instskip(SKIP_4) | instid1(VALU_DEP_1)
	s_or_b32 exec_lo, exec_lo, s17
	flat_load_u8 v14, v[10:11] slc dlc
	v_and_b32_e32 v17, 0xff, v16
	s_mov_b32 s13, 0
	s_mov_b32 s30, exec_lo
                                        ; implicit-def: $sgpr17
	v_cmpx_lt_i16_e32 0x7f, v17
	s_xor_b32 s30, exec_lo, s30
	s_cbranch_execnz .LBB6_17245
; %bb.17225:                            ;   in Loop: Header=BB6_17202 Depth=3
	s_or_saveexec_b32 s30, s30
	v_mov_b32_e32 v15, s17
	s_xor_b32 exec_lo, exec_lo, s30
	s_cbranch_execnz .LBB6_17248
.LBB6_17226:                            ;   in Loop: Header=BB6_17202 Depth=3
	s_or_b32 exec_lo, exec_lo, s30
	s_and_saveexec_b32 s17, s13
	s_cbranch_execz .LBB6_17228
.LBB6_17227:                            ;   in Loop: Header=BB6_17202 Depth=3
	v_and_b32_e32 v15, 3, v16
	v_lshrrev_b16 v19, 2, v16
	s_delay_alu instid0(VALU_DEP_2) | instskip(NEXT) | instid1(VALU_DEP_2)
	v_clz_i32_u32_e32 v17, v15
	v_and_b32_e32 v19, 31, v19
	s_delay_alu instid0(VALU_DEP_2) | instskip(NEXT) | instid1(VALU_DEP_2)
	v_min_u32_e32 v17, 32, v17
	v_cmp_eq_u32_e32 vcc_lo, 0, v19
	s_delay_alu instid0(VALU_DEP_2) | instskip(SKIP_1) | instid1(VALU_DEP_1)
	v_subrev_nc_u32_e32 v18, 29, v17
	v_sub_nc_u32_e32 v17, 30, v17
	v_dual_cndmask_b32 v17, v19, v17 :: v_dual_lshlrev_b32 v18, v18, v16
	s_delay_alu instid0(VALU_DEP_1) | instskip(SKIP_1) | instid1(VALU_DEP_3)
	v_and_b32_e32 v18, 3, v18
	v_lshlrev_b32_e32 v16, 24, v16
	v_lshl_add_u32 v17, v17, 23, 0x37800000
	s_delay_alu instid0(VALU_DEP_2) | instskip(NEXT) | instid1(VALU_DEP_1)
	v_dual_cndmask_b32 v15, v15, v18 :: v_dual_and_b32 v16, 0x80000000, v16
	v_lshlrev_b32_e32 v15, 21, v15
	s_delay_alu instid0(VALU_DEP_1)
	v_or3_b32 v15, v16, v17, v15
.LBB6_17228:                            ;   in Loop: Header=BB6_17202 Depth=3
	s_or_b32 exec_lo, exec_lo, s17
	s_waitcnt vmcnt(0) lgkmcnt(0)
	v_and_b32_e32 v17, 0xff, v14
	s_mov_b32 s13, 0
	s_mov_b32 s30, exec_lo
                                        ; implicit-def: $sgpr17
	s_delay_alu instid0(VALU_DEP_1)
	v_cmpx_lt_i16_e32 0x7f, v17
	s_xor_b32 s30, exec_lo, s30
	s_cbranch_execnz .LBB6_17249
; %bb.17229:                            ;   in Loop: Header=BB6_17202 Depth=3
	s_or_saveexec_b32 s30, s30
	v_mov_b32_e32 v16, s17
	s_xor_b32 exec_lo, exec_lo, s30
	s_cbranch_execnz .LBB6_17252
.LBB6_17230:                            ;   in Loop: Header=BB6_17202 Depth=3
	s_or_b32 exec_lo, exec_lo, s30
	s_and_saveexec_b32 s17, s13
	s_cbranch_execz .LBB6_17232
.LBB6_17231:                            ;   in Loop: Header=BB6_17202 Depth=3
	v_lshrrev_b16 v19, 2, v14
	s_delay_alu instid0(VALU_DEP_1) | instskip(NEXT) | instid1(VALU_DEP_1)
	v_and_b32_e32 v19, 31, v19
	v_cmp_eq_u32_e32 vcc_lo, 0, v19
	v_and_b32_e32 v16, 3, v14
	s_delay_alu instid0(VALU_DEP_1) | instskip(NEXT) | instid1(VALU_DEP_1)
	v_clz_i32_u32_e32 v17, v16
	v_min_u32_e32 v17, 32, v17
	s_delay_alu instid0(VALU_DEP_1) | instskip(SKIP_1) | instid1(VALU_DEP_1)
	v_subrev_nc_u32_e32 v18, 29, v17
	v_sub_nc_u32_e32 v17, 30, v17
	v_dual_cndmask_b32 v17, v19, v17 :: v_dual_lshlrev_b32 v18, v18, v14
	v_lshlrev_b32_e32 v14, 24, v14
	s_delay_alu instid0(VALU_DEP_2) | instskip(NEXT) | instid1(VALU_DEP_3)
	v_and_b32_e32 v18, 3, v18
	v_lshl_add_u32 v17, v17, 23, 0x37800000
	s_delay_alu instid0(VALU_DEP_3) | instskip(NEXT) | instid1(VALU_DEP_3)
	v_and_b32_e32 v14, 0x80000000, v14
	v_cndmask_b32_e32 v16, v16, v18, vcc_lo
	s_delay_alu instid0(VALU_DEP_1) | instskip(NEXT) | instid1(VALU_DEP_1)
	v_lshlrev_b32_e32 v16, 21, v16
	v_or3_b32 v16, v14, v17, v16
.LBB6_17232:                            ;   in Loop: Header=BB6_17202 Depth=3
	s_or_b32 exec_lo, exec_lo, s17
	s_delay_alu instid0(VALU_DEP_1) | instskip(NEXT) | instid1(VALU_DEP_1)
	v_add_f32_e32 v14, v15, v16
	v_and_b32_e32 v15, 0x7f800000, v14
	s_delay_alu instid0(VALU_DEP_1)
	v_cmp_ne_u32_e32 vcc_lo, 0x7f800000, v15
	v_mov_b32_e32 v15, 0x80
	s_and_saveexec_b32 s17, vcc_lo
	s_cbranch_execz .LBB6_17240
; %bb.17233:                            ;   in Loop: Header=BB6_17202 Depth=3
	v_mov_b32_e32 v15, 0
	s_mov_b32 s30, exec_lo
	v_cmpx_ne_u32_e32 0, v14
	s_cbranch_execz .LBB6_17239
; %bb.17234:                            ;   in Loop: Header=BB6_17202 Depth=3
	v_bfe_u32 v15, v14, 23, 8
	s_delay_alu instid0(VALU_DEP_1) | instskip(SKIP_1) | instid1(VALU_DEP_2)
	v_sub_nc_u32_e32 v17, 0x70, v15
	v_cmp_gt_u32_e32 vcc_lo, 0x71, v15
	v_dual_cndmask_b32 v17, 0, v17 :: v_dual_and_b32 v16, 0x7fffff, v14
	s_delay_alu instid0(VALU_DEP_1) | instskip(SKIP_2) | instid1(VALU_DEP_4)
	v_or_b32_e32 v18, 0x800000, v16
	v_cmp_eq_u32_e32 vcc_lo, 0, v15
	v_add_nc_u32_e32 v15, 0xffffff91, v15
	v_cndmask_b32_e64 v17, v17, 0x6f, vcc_lo
	s_delay_alu instid0(VALU_DEP_4) | instskip(NEXT) | instid1(VALU_DEP_3)
	v_cndmask_b32_e32 v16, v18, v16, vcc_lo
	v_cndmask_b32_e64 v15, v15, 0xffffff92, vcc_lo
	s_delay_alu instid0(VALU_DEP_3) | instskip(NEXT) | instid1(VALU_DEP_3)
	v_lshl_add_u32 v18, 0x200000, v17, -1
	v_lshrrev_b32_e32 v19, v17, v16
	v_lshlrev_b32_e64 v21, v17, 0x100000
	s_delay_alu instid0(VALU_DEP_4) | instskip(NEXT) | instid1(VALU_DEP_4)
	v_add_nc_u32_e32 v17, v17, v15
	v_and_b32_e32 v16, v18, v16
	s_delay_alu instid0(VALU_DEP_4) | instskip(NEXT) | instid1(VALU_DEP_2)
	v_bfe_u32 v20, v19, 21, 1
	v_cmp_eq_u32_e64 s13, v16, v21
	s_delay_alu instid0(VALU_DEP_2) | instskip(NEXT) | instid1(VALU_DEP_1)
	v_add_nc_u32_e32 v18, -1, v20
	v_cndmask_b32_e64 v16, 0, v18, s13
	v_lshrrev_b32_e32 v18, 23, v19
	s_mov_b32 s13, exec_lo
	s_delay_alu instid0(VALU_DEP_2) | instskip(NEXT) | instid1(VALU_DEP_2)
	v_add_nc_u32_e32 v16, v16, v19
	v_xor_b32_e32 v18, 1, v18
	s_delay_alu instid0(VALU_DEP_2) | instskip(NEXT) | instid1(VALU_DEP_1)
	v_and_b32_e32 v15, 0x1fffff, v16
	v_add_nc_u32_e32 v16, v15, v19
                                        ; implicit-def: $vgpr15
	s_delay_alu instid0(VALU_DEP_3)
	v_cmpx_ne_u32_e64 v17, v18
	s_xor_b32 s13, exec_lo, s13
; %bb.17235:                            ;   in Loop: Header=BB6_17202 Depth=3
	s_delay_alu instid0(VALU_DEP_2) | instskip(SKIP_2) | instid1(VALU_DEP_2)
	v_cmp_lt_u32_e32 vcc_lo, 0xffffff, v16
	v_sub_nc_u32_e32 v15, v17, v18
	v_cndmask_b32_e64 v17, 0, 1, vcc_lo
	v_add_co_ci_u32_e32 v15, vcc_lo, 0, v15, vcc_lo
	s_delay_alu instid0(VALU_DEP_2)
	v_lshrrev_b32_e32 v16, v17, v16
; %bb.17236:                            ;   in Loop: Header=BB6_17202 Depth=3
	s_and_not1_saveexec_b32 s13, s13
; %bb.17237:                            ;   in Loop: Header=BB6_17202 Depth=3
	s_delay_alu instid0(VALU_DEP_1)
	v_bfe_u32 v15, v16, 23, 1
; %bb.17238:                            ;   in Loop: Header=BB6_17202 Depth=3
	s_or_b32 exec_lo, exec_lo, s13
	v_lshrrev_b32_e32 v16, 21, v16
	s_delay_alu instid0(VALU_DEP_2) | instskip(SKIP_2) | instid1(VALU_DEP_2)
	v_cmp_gt_i32_e32 vcc_lo, 32, v15
	v_min_i32_e32 v17, 31, v15
	v_lshrrev_b32_e32 v14, 24, v14
	v_dual_cndmask_b32 v16, 3, v16 :: v_dual_lshlrev_b32 v17, 2, v17
	s_delay_alu instid0(VALU_DEP_2) | instskip(NEXT) | instid1(VALU_DEP_2)
	v_and_b32_e32 v14, 0x80, v14
	v_or_b32_e32 v15, v15, v16
	s_delay_alu instid0(VALU_DEP_1) | instskip(SKIP_1) | instid1(VALU_DEP_1)
	v_cmp_ne_u32_e32 vcc_lo, 0, v15
	v_and_b32_e32 v18, 3, v16
	v_or3_b32 v14, v17, v14, v18
	s_delay_alu instid0(VALU_DEP_1)
	v_cndmask_b32_e32 v15, 0, v14, vcc_lo
.LBB6_17239:                            ;   in Loop: Header=BB6_17202 Depth=3
	s_or_b32 exec_lo, exec_lo, s30
.LBB6_17240:                            ;   in Loop: Header=BB6_17202 Depth=3
	s_delay_alu instid0(SALU_CYCLE_1)
	s_or_b32 exec_lo, exec_lo, s17
	v_mov_b32_e32 v14, v186
	flat_store_b8 v[12:13], v15 glc slc dlc
	v_mov_b32_e32 v15, v187
	v_sub_nc_u32_e32 v2, v2, v171
	v_add_co_u32 v8, vcc_lo, v8, v14
	s_delay_alu instid0(VALU_DEP_3) | instskip(SKIP_4) | instid1(VALU_DEP_1)
	v_add_co_ci_u32_e32 v9, vcc_lo, v9, v15, vcc_lo
	v_add_co_u32 v10, vcc_lo, v10, v14
	v_add_co_ci_u32_e32 v11, vcc_lo, v11, v15, vcc_lo
	v_cmp_gt_i32_e32 vcc_lo, 1, v2
	v_add_co_u32 v12, s13, v12, v14
	v_add_co_ci_u32_e64 v13, s13, v13, v15, s13
	s_or_b32 s16, vcc_lo, s16
	s_delay_alu instid0(SALU_CYCLE_1)
	s_and_not1_b32 exec_lo, exec_lo, s16
	s_cbranch_execnz .LBB6_17202
	s_branch .LBB6_17253
.LBB6_17241:                            ;   in Loop: Header=BB6_17202 Depth=3
	s_mov_b32 s13, -1
	s_mov_b32 s31, exec_lo
                                        ; implicit-def: $sgpr17
	v_cmpx_eq_u16_e32 0x80, v14
; %bb.17242:                            ;   in Loop: Header=BB6_17202 Depth=3
	s_mov_b32 s17, 0x7f800001
	s_xor_b32 s13, exec_lo, -1
; %bb.17243:                            ;   in Loop: Header=BB6_17202 Depth=3
	s_or_b32 exec_lo, exec_lo, s31
	s_delay_alu instid0(SALU_CYCLE_1)
	s_and_b32 s13, s13, exec_lo
	s_or_saveexec_b32 s30, s30
	v_mov_b32_e32 v16, s17
	s_xor_b32 exec_lo, exec_lo, s30
	s_cbranch_execz .LBB6_17214
.LBB6_17244:                            ;   in Loop: Header=BB6_17202 Depth=3
	v_cmp_ne_u16_e32 vcc_lo, 0, v14
	v_mov_b32_e32 v16, 0
	s_and_not1_b32 s13, s13, exec_lo
	s_and_b32 s17, vcc_lo, exec_lo
	s_delay_alu instid0(SALU_CYCLE_1)
	s_or_b32 s13, s13, s17
	s_or_b32 exec_lo, exec_lo, s30
	s_and_saveexec_b32 s17, s13
	s_cbranch_execnz .LBB6_17215
	s_branch .LBB6_17216
.LBB6_17245:                            ;   in Loop: Header=BB6_17202 Depth=3
	s_mov_b32 s13, -1
	s_mov_b32 s31, exec_lo
                                        ; implicit-def: $sgpr17
	v_cmpx_eq_u16_e32 0x80, v17
; %bb.17246:                            ;   in Loop: Header=BB6_17202 Depth=3
	s_mov_b32 s17, 0x7f800001
	s_xor_b32 s13, exec_lo, -1
; %bb.17247:                            ;   in Loop: Header=BB6_17202 Depth=3
	s_or_b32 exec_lo, exec_lo, s31
	s_delay_alu instid0(SALU_CYCLE_1)
	s_and_b32 s13, s13, exec_lo
                                        ; implicit-def: $vgpr17
	s_or_saveexec_b32 s30, s30
	v_mov_b32_e32 v15, s17
	s_xor_b32 exec_lo, exec_lo, s30
	s_cbranch_execz .LBB6_17226
.LBB6_17248:                            ;   in Loop: Header=BB6_17202 Depth=3
	v_cmp_ne_u16_e32 vcc_lo, 0, v17
	v_mov_b32_e32 v15, 0
	s_and_not1_b32 s13, s13, exec_lo
	s_and_b32 s17, vcc_lo, exec_lo
	s_delay_alu instid0(SALU_CYCLE_1)
	s_or_b32 s13, s13, s17
	s_or_b32 exec_lo, exec_lo, s30
	s_and_saveexec_b32 s17, s13
	s_cbranch_execnz .LBB6_17227
	s_branch .LBB6_17228
.LBB6_17249:                            ;   in Loop: Header=BB6_17202 Depth=3
	s_mov_b32 s13, -1
	s_mov_b32 s31, exec_lo
                                        ; implicit-def: $sgpr17
	v_cmpx_eq_u16_e32 0x80, v17
; %bb.17250:                            ;   in Loop: Header=BB6_17202 Depth=3
	s_mov_b32 s17, 0x7f800001
	s_xor_b32 s13, exec_lo, -1
; %bb.17251:                            ;   in Loop: Header=BB6_17202 Depth=3
	s_or_b32 exec_lo, exec_lo, s31
	s_delay_alu instid0(SALU_CYCLE_1)
	s_and_b32 s13, s13, exec_lo
                                        ; implicit-def: $vgpr17
	s_or_saveexec_b32 s30, s30
	v_mov_b32_e32 v16, s17
	s_xor_b32 exec_lo, exec_lo, s30
	s_cbranch_execz .LBB6_17230
.LBB6_17252:                            ;   in Loop: Header=BB6_17202 Depth=3
	v_cmp_ne_u16_e32 vcc_lo, 0, v17
	v_mov_b32_e32 v16, 0
	s_and_not1_b32 s13, s13, exec_lo
	s_and_b32 s17, vcc_lo, exec_lo
	s_delay_alu instid0(SALU_CYCLE_1)
	s_or_b32 s13, s13, s17
	s_or_b32 exec_lo, exec_lo, s30
	s_and_saveexec_b32 s17, s13
	s_cbranch_execnz .LBB6_17231
	s_branch .LBB6_17232
.LBB6_17253:                            ;   in Loop: Header=BB6_7988 Depth=2
	s_or_b32 exec_lo, exec_lo, s15
.LBB6_17254:                            ;   in Loop: Header=BB6_7988 Depth=2
	s_delay_alu instid0(SALU_CYCLE_1)
	s_or_b32 exec_lo, exec_lo, s14
.LBB6_17255:                            ;   in Loop: Header=BB6_7988 Depth=2
	s_and_saveexec_b32 s13, s3
	s_cbranch_execz .LBB6_17277
; %bb.17256:                            ;   in Loop: Header=BB6_7988 Depth=2
	s_and_saveexec_b32 s14, s4
	s_delay_alu instid0(SALU_CYCLE_1)
	s_xor_b32 s14, exec_lo, s14
	s_cbranch_execz .LBB6_17274
; %bb.17257:                            ;   in Loop: Header=BB6_7988 Depth=2
	s_and_saveexec_b32 s15, s1
	s_cbranch_execz .LBB6_17273
; %bb.17258:                            ;   in Loop: Header=BB6_7988 Depth=2
	s_mov_b32 s17, exec_lo
	s_mov_b32 s16, exec_lo
	v_mbcnt_lo_u32_b32 v2, s17, 0
	s_waitcnt lgkmcnt(0)
	s_waitcnt_vscnt null, 0x0
	buffer_gl1_inv
	buffer_gl0_inv
	v_cmpx_eq_u32_e32 0, v2
	s_cbranch_execz .LBB6_17260
; %bb.17259:                            ;   in Loop: Header=BB6_7988 Depth=2
	s_bcnt1_i32_b32 s17, s17
	s_delay_alu instid0(SALU_CYCLE_1)
	v_mov_b32_e32 v2, s17
	ds_add_u64 v0, v[2:3]
	s_cbranch_execnz .LBB6_18287
.LBB6_17260:                            ;   in Loop: Header=BB6_7988 Depth=2
	s_or_b32 exec_lo, exec_lo, s16
	s_cbranch_execnz .LBB6_18261
; %bb.17261:                            ;   in Loop: Header=BB6_7988 Depth=2
	ds_load_b64 v[8:9], v0
	v_dual_mov_b32 v10, v154 :: v_dual_mov_b32 v11, v155
	s_mov_b32 s16, exec_lo
	s_delay_alu instid0(VALU_DEP_1) | instskip(NEXT) | instid1(VALU_DEP_2)
	v_add_co_u32 v10, vcc_lo, v10, v97
	v_add_co_ci_u32_e32 v11, vcc_lo, 0, v11, vcc_lo
	s_delay_alu instid0(VALU_DEP_1)
	v_dual_mov_b32 v155, v11 :: v_dual_mov_b32 v154, v10
	s_waitcnt lgkmcnt(0)
	v_cmpx_lt_u64_e64 v[8:9], v[10:11]
	s_cbranch_execz .LBB6_17272
; %bb.17262:                            ;   in Loop: Header=BB6_7988 Depth=2
	s_mov_b32 s17, 0
	s_mov_b32 s34, 0
                                        ; implicit-def: $sgpr30
                                        ; implicit-def: $sgpr31
	s_branch .LBB6_17264
.LBB6_17263:                            ;   in Loop: Header=BB6_17264 Depth=3
	s_or_b32 exec_lo, exec_lo, s36
	s_delay_alu instid0(SALU_CYCLE_1) | instskip(NEXT) | instid1(SALU_CYCLE_1)
	s_and_b32 vcc_lo, exec_lo, vcc_lo
	s_or_b32 s17, vcc_lo, s17
	s_and_not1_b32 vcc_lo, s30, exec_lo
	s_and_b32 s30, s31, exec_lo
	s_delay_alu instid0(SALU_CYCLE_1)
	s_or_b32 s30, vcc_lo, s30
	s_and_not1_b32 exec_lo, exec_lo, s17
	s_cbranch_execz .LBB6_17270
.LBB6_17264:                            ;   Parent Loop BB6_51 Depth=1
                                        ;     Parent Loop BB6_7988 Depth=2
                                        ; =>    This Inner Loop Header: Depth=3
	s_add_i32 s34, s34, 1
                                        ; implicit-def: $sgpr36
	s_delay_alu instid0(SALU_CYCLE_1) | instskip(SKIP_1) | instid1(SALU_CYCLE_1)
	s_cmpk_lg_i32 s34, 0x2710
	s_cselect_b32 s35, -1, 0
	s_and_b32 vcc_lo, exec_lo, s35
	s_cbranch_vccz .LBB6_17268
.LBB6_17265:                            ;   in Loop: Header=BB6_17264 Depth=3
	s_and_not1_b32 s31, s31, exec_lo
	s_and_b32 s36, s36, exec_lo
	s_mov_b32 vcc_lo, -1
	s_or_b32 s31, s31, s36
	s_and_saveexec_b32 s36, s35
	s_cbranch_execz .LBB6_17263
; %bb.17266:                            ;   in Loop: Header=BB6_17264 Depth=3
	s_sleep 1
	s_cbranch_execnz .LBB6_18353
; %bb.17267:                            ;   in Loop: Header=BB6_17264 Depth=3
	ds_load_b64 v[8:9], v0
	s_and_not1_b32 s31, s31, exec_lo
	s_waitcnt lgkmcnt(0)
	v_cmp_ge_u64_e32 vcc_lo, v[8:9], v[154:155]
	s_or_not1_b32 vcc_lo, vcc_lo, exec_lo
	s_branch .LBB6_17263
.LBB6_17268:                            ;   in Loop: Header=BB6_17264 Depth=3
	s_cbranch_execnz .LBB6_18367
; %bb.17269:                            ;   in Loop: Header=BB6_17264 Depth=3
	ds_load_b64 v[8:9], v0
	s_and_not1_b32 s35, s35, exec_lo
	s_mov_b32 s34, 0
	s_mov_b32 s36, -1
	s_waitcnt lgkmcnt(0)
	flat_load_b32 v2, v[8:9] glc
	s_waitcnt vmcnt(0) lgkmcnt(0)
	buffer_gl1_inv
	buffer_gl0_inv
	v_cmp_eq_u32_e32 vcc_lo, 0, v2
	s_and_b32 vcc_lo, vcc_lo, exec_lo
	s_delay_alu instid0(SALU_CYCLE_1)
	s_or_b32 s35, s35, vcc_lo
	s_branch .LBB6_17265
.LBB6_17270:                            ;   in Loop: Header=BB6_7988 Depth=2
	s_or_b32 exec_lo, exec_lo, s17
	s_and_saveexec_b32 s17, s30
	s_delay_alu instid0(SALU_CYCLE_1)
	s_xor_b32 s17, exec_lo, s17
	s_cbranch_execz .LBB6_17272
; %bb.17271:                            ;   in Loop: Header=BB6_7988 Depth=2
	ds_store_b32 v0, v46
	s_cbranch_execnz .LBB6_18475
.LBB6_17272:                            ;   in Loop: Header=BB6_7988 Depth=2
	s_or_b32 exec_lo, exec_lo, s16
	;;#ASMSTART
	s_wakeup
	;;#ASMEND
.LBB6_17273:                            ;   in Loop: Header=BB6_7988 Depth=2
	s_or_b32 exec_lo, exec_lo, s15
.LBB6_17274:                            ;   in Loop: Header=BB6_7988 Depth=2
	s_and_not1_saveexec_b32 s14, s14
	s_cbranch_execz .LBB6_17276
; %bb.17275:                            ;   in Loop: Header=BB6_7988 Depth=2
	s_waitcnt lgkmcnt(0)
	s_waitcnt_vscnt null, 0x0
	buffer_gl1_inv
	buffer_gl0_inv
	s_barrier
.LBB6_17276:                            ;   in Loop: Header=BB6_7988 Depth=2
	s_or_b32 exec_lo, exec_lo, s14
.LBB6_17277:                            ;   in Loop: Header=BB6_7988 Depth=2
	s_delay_alu instid0(SALU_CYCLE_1) | instskip(SKIP_1) | instid1(SALU_CYCLE_1)
	s_or_b32 exec_lo, exec_lo, s13
                                        ; implicit-def: $vgpr2
	s_and_saveexec_b32 s13, s7
	s_xor_b32 s14, exec_lo, s13
	s_cbranch_execz .LBB6_17281
; %bb.17278:                            ;   in Loop: Header=BB6_7988 Depth=2
	v_and_b32_e32 v2, 16, v30
	v_cmp_lt_i32_e32 vcc_lo, 0, v150
	s_delay_alu instid0(VALU_DEP_2) | instskip(SKIP_1) | instid1(VALU_DEP_2)
	v_cmp_ne_u32_e64 s13, 0, v2
	v_and_b32_e32 v2, 16, v30
	s_and_b32 s15, s13, vcc_lo
	s_delay_alu instid0(SALU_CYCLE_1)
	s_and_saveexec_b32 s13, s15
	s_cbranch_execz .LBB6_17280
; %bb.17279:                            ;   in Loop: Header=BB6_7988 Depth=2
	v_mov_b32_e32 v2, 1
	s_waitcnt lgkmcnt(0)
	s_waitcnt_vscnt null, 0x0
	buffer_gl1_inv
	buffer_gl0_inv
.LBB6_17280:                            ;   in Loop: Header=BB6_7988 Depth=2
	s_or_b32 exec_lo, exec_lo, s13
.LBB6_17281:                            ;   in Loop: Header=BB6_7988 Depth=2
	s_and_not1_saveexec_b32 s13, s14
	s_cbranch_execz .LBB6_17303
; %bb.17282:                            ;   in Loop: Header=BB6_7988 Depth=2
	s_and_saveexec_b32 s14, s4
	s_delay_alu instid0(SALU_CYCLE_1)
	s_xor_b32 s14, exec_lo, s14
	s_cbranch_execz .LBB6_17300
; %bb.17283:                            ;   in Loop: Header=BB6_7988 Depth=2
	s_and_saveexec_b32 s15, s1
	s_cbranch_execz .LBB6_17299
; %bb.17284:                            ;   in Loop: Header=BB6_7988 Depth=2
	s_mov_b32 s17, exec_lo
	s_mov_b32 s16, exec_lo
	v_mbcnt_lo_u32_b32 v2, s17, 0
	;;#ASMSTART
	s_waitcnt lgkmcnt(0) vmcnt(0)
	;;#ASMEND
	s_delay_alu instid0(VALU_DEP_1)
	v_cmpx_eq_u32_e32 0, v2
	s_cbranch_execz .LBB6_17286
; %bb.17285:                            ;   in Loop: Header=BB6_7988 Depth=2
	s_bcnt1_i32_b32 s17, s17
	s_delay_alu instid0(SALU_CYCLE_1)
	v_mov_b32_e32 v2, s17
	ds_add_u64 v0, v[2:3]
	s_cbranch_execnz .LBB6_18293
.LBB6_17286:                            ;   in Loop: Header=BB6_7988 Depth=2
	s_or_b32 exec_lo, exec_lo, s16
	s_cbranch_execnz .LBB6_18271
; %bb.17287:                            ;   in Loop: Header=BB6_7988 Depth=2
	ds_load_b64 v[8:9], v0
	v_dual_mov_b32 v10, v154 :: v_dual_mov_b32 v11, v155
	s_mov_b32 s16, exec_lo
	s_delay_alu instid0(VALU_DEP_1) | instskip(NEXT) | instid1(VALU_DEP_2)
	v_add_co_u32 v10, vcc_lo, v10, v97
	v_add_co_ci_u32_e32 v11, vcc_lo, 0, v11, vcc_lo
	s_delay_alu instid0(VALU_DEP_1)
	v_dual_mov_b32 v155, v11 :: v_dual_mov_b32 v154, v10
	s_waitcnt lgkmcnt(0)
	v_cmpx_lt_u64_e64 v[8:9], v[10:11]
	s_cbranch_execz .LBB6_17298
; %bb.17288:                            ;   in Loop: Header=BB6_7988 Depth=2
	s_mov_b32 s17, 0
	s_mov_b32 s34, 0
                                        ; implicit-def: $sgpr30
                                        ; implicit-def: $sgpr31
	s_branch .LBB6_17290
.LBB6_17289:                            ;   in Loop: Header=BB6_17290 Depth=3
	s_or_b32 exec_lo, exec_lo, s36
	s_delay_alu instid0(SALU_CYCLE_1) | instskip(NEXT) | instid1(SALU_CYCLE_1)
	s_and_b32 vcc_lo, exec_lo, vcc_lo
	s_or_b32 s17, vcc_lo, s17
	s_and_not1_b32 vcc_lo, s30, exec_lo
	s_and_b32 s30, s31, exec_lo
	s_delay_alu instid0(SALU_CYCLE_1)
	s_or_b32 s30, vcc_lo, s30
	s_and_not1_b32 exec_lo, exec_lo, s17
	s_cbranch_execz .LBB6_17296
.LBB6_17290:                            ;   Parent Loop BB6_51 Depth=1
                                        ;     Parent Loop BB6_7988 Depth=2
                                        ; =>    This Inner Loop Header: Depth=3
	s_add_i32 s34, s34, 1
                                        ; implicit-def: $sgpr36
	s_delay_alu instid0(SALU_CYCLE_1) | instskip(SKIP_1) | instid1(SALU_CYCLE_1)
	s_cmpk_lg_i32 s34, 0x2710
	s_cselect_b32 s35, -1, 0
	s_and_b32 vcc_lo, exec_lo, s35
	s_cbranch_vccz .LBB6_17294
.LBB6_17291:                            ;   in Loop: Header=BB6_17290 Depth=3
	s_and_not1_b32 s31, s31, exec_lo
	s_and_b32 s36, s36, exec_lo
	s_mov_b32 vcc_lo, -1
	s_or_b32 s31, s31, s36
	s_and_saveexec_b32 s36, s35
	s_cbranch_execz .LBB6_17289
; %bb.17292:                            ;   in Loop: Header=BB6_17290 Depth=3
	s_sleep 1
	s_cbranch_execnz .LBB6_18355
; %bb.17293:                            ;   in Loop: Header=BB6_17290 Depth=3
	ds_load_b64 v[8:9], v0
	s_and_not1_b32 s31, s31, exec_lo
	s_waitcnt lgkmcnt(0)
	v_cmp_ge_u64_e32 vcc_lo, v[8:9], v[154:155]
	s_or_not1_b32 vcc_lo, vcc_lo, exec_lo
	s_branch .LBB6_17289
.LBB6_17294:                            ;   in Loop: Header=BB6_17290 Depth=3
	s_cbranch_execnz .LBB6_18369
; %bb.17295:                            ;   in Loop: Header=BB6_17290 Depth=3
	ds_load_b64 v[8:9], v0
	s_and_not1_b32 s35, s35, exec_lo
	s_mov_b32 s34, 0
	s_mov_b32 s36, -1
	s_waitcnt lgkmcnt(0)
	s_waitcnt_vscnt null, 0x0
	flat_load_b32 v2, v[8:9] glc
	s_waitcnt vmcnt(0) lgkmcnt(0)
	buffer_gl1_inv
	buffer_gl0_inv
	v_cmp_eq_u32_e32 vcc_lo, 0, v2
	s_and_b32 vcc_lo, vcc_lo, exec_lo
	s_delay_alu instid0(SALU_CYCLE_1)
	s_or_b32 s35, s35, vcc_lo
	s_branch .LBB6_17291
.LBB6_17296:                            ;   in Loop: Header=BB6_7988 Depth=2
	s_or_b32 exec_lo, exec_lo, s17
	s_and_saveexec_b32 s17, s30
	s_delay_alu instid0(SALU_CYCLE_1)
	s_xor_b32 s17, exec_lo, s17
	s_cbranch_execz .LBB6_17298
; %bb.17297:                            ;   in Loop: Header=BB6_7988 Depth=2
	ds_store_b32 v0, v46
	s_cbranch_execnz .LBB6_18477
.LBB6_17298:                            ;   in Loop: Header=BB6_7988 Depth=2
	s_or_b32 exec_lo, exec_lo, s16
	;;#ASMSTART
	s_wakeup
	;;#ASMEND
.LBB6_17299:                            ;   in Loop: Header=BB6_7988 Depth=2
	s_or_b32 exec_lo, exec_lo, s15
.LBB6_17300:                            ;   in Loop: Header=BB6_7988 Depth=2
	s_and_not1_saveexec_b32 s14, s14
	s_cbranch_execz .LBB6_17302
; %bb.17301:                            ;   in Loop: Header=BB6_7988 Depth=2
	;;#ASMSTART
	s_waitcnt lgkmcnt(0) vmcnt(0)
	;;#ASMEND
	s_waitcnt lgkmcnt(0)
	s_waitcnt_vscnt null, 0x0
	s_barrier
.LBB6_17302:                            ;   in Loop: Header=BB6_7988 Depth=2
	s_or_b32 exec_lo, exec_lo, s14
	v_and_b32_e32 v2, 16, v30
.LBB6_17303:                            ;   in Loop: Header=BB6_7988 Depth=2
	s_or_b32 exec_lo, exec_lo, s13
	s_delay_alu instid0(VALU_DEP_1) | instskip(SKIP_1) | instid1(SALU_CYCLE_1)
	v_cmp_ne_u32_e32 vcc_lo, 0, v2
	s_xor_b32 s13, s10, -1
	s_and_b32 s14, vcc_lo, s13
	s_delay_alu instid0(SALU_CYCLE_1)
	s_and_saveexec_b32 s13, s14
	s_cbranch_execz .LBB6_17305
; %bb.17304:                            ;   in Loop: Header=BB6_7988 Depth=2
	s_waitcnt lgkmcnt(0)
	s_waitcnt_vscnt null, 0x0
	flat_store_b32 v[152:153], v46
.LBB6_17305:                            ;   in Loop: Header=BB6_7988 Depth=2
	s_or_b32 exec_lo, exec_lo, s13
	v_and_b32_e32 v2, 48, v30
	s_mov_b32 s13, exec_lo
	s_delay_alu instid0(VALU_DEP_1)
	v_cmpx_ne_u32_e32 0, v2
	s_cbranch_execz .LBB6_17307
; %bb.17306:                            ;   in Loop: Header=BB6_7988 Depth=2
	v_add_co_u32 v34, vcc_lo, v34, 2
	v_add_co_ci_u32_e32 v35, vcc_lo, 0, v35, vcc_lo
	s_waitcnt lgkmcnt(0)
	s_waitcnt_vscnt null, 0x0
	flat_store_b64 v[32:33], v[34:35]
.LBB6_17307:                            ;   in Loop: Header=BB6_7988 Depth=2
	s_or_b32 exec_lo, exec_lo, s13
	v_add_nc_u32_e32 v147, v68, v147
	v_readlane_b32 s13, v190, 7
	v_readlane_b32 s16, v190, 9
	;; [unrolled: 1-line block ×4, first 2 shown]
	v_cmp_ge_i32_e32 vcc_lo, v147, v71
	s_xor_b32 s13, s13, -1
	v_readlane_b32 s38, v190, 2
	v_readlane_b32 s39, v190, 1
	v_dual_mov_b32 v119, v87 :: v_dual_mov_b32 v118, v86
	s_or_b32 s13, s13, vcc_lo
	v_dual_mov_b32 v114, v97 :: v_dual_mov_b32 v127, v100
	s_and_b32 s14, exec_lo, s13
	v_readlane_b32 s13, v190, 8
	s_or_b32 s16, s14, s16
	v_readlane_b32 s14, v190, 5
	v_dual_mov_b32 v146, v99 :: v_dual_mov_b32 v167, v117
	s_delay_alu instid0(VALU_DEP_3)
	v_mov_b32_e32 v2, s13
	s_mov_b32 s17, 0
	s_mov_b32 s40, 2
	;; [unrolled: 1-line block ×6, first 2 shown]
	s_and_not1_b32 exec_lo, exec_lo, s16
	s_cbranch_execz .LBB6_17308
; %bb.18787:                            ;   in Loop: Header=BB6_7988 Depth=2
	s_getpc_b64 s[48:49]
.Lpost_getpc420:
	s_add_u32 s48, s48, (.LBB6_7988-.Lpost_getpc420)&4294967295
	s_addc_u32 s49, s49, (.LBB6_7988-.Lpost_getpc420)>>32
	s_setpc_b64 s[48:49]
.LBB6_17308:                            ;   in Loop: Header=BB6_51 Depth=1
	s_or_b32 exec_lo, exec_lo, s16
	v_readlane_b32 s5, v190, 6
	v_mov_b32_e32 v164, v116
.LBB6_17309:                            ;   in Loop: Header=BB6_51 Depth=1
	s_delay_alu instid0(VALU_DEP_2)
	s_or_b32 exec_lo, exec_lo, s5
	s_mov_b32 s29, s30
	s_mov_b32 s2, s11
	s_mov_b32 s11, s10
	s_mov_b32 s10, s31
	s_mov_b32 s6, vcc_hi
	s_mov_b32 vcc_hi, s34
	s_mov_b32 s5, s12
	s_mov_b32 s15, exec_lo
	v_cmpx_gt_i32_e32 2, v2
	s_cbranch_execz .LBB6_17395
; %bb.17310:                            ;   in Loop: Header=BB6_51 Depth=1
	v_cmp_eq_u32_e64 s13, 0, v2
	s_mov_b32 s12, 0
.LBB6_17311:                            ;   Parent Loop BB6_51 Depth=1
                                        ; =>  This Loop Header: Depth=2
                                        ;       Child Loop BB6_17317 Depth 3
                                        ;       Child Loop BB6_17349 Depth 3
	;; [unrolled: 1-line block ×3, first 2 shown]
	v_and_b32_e32 v2, 12, v30
	s_mov_b32 s17, -1
	s_mov_b32 s16, exec_lo
	s_delay_alu instid0(VALU_DEP_1)
	v_cmpx_ne_u32_e32 0, v2
	s_cbranch_execz .LBB6_17325
; %bb.17312:                            ;   in Loop: Header=BB6_17311 Depth=2
	v_and_b32_e32 v2, 8, v30
	v_dual_mov_b32 v8, v118 :: v_dual_mov_b32 v9, v119
	s_delay_alu instid0(VALU_DEP_1) | instskip(NEXT) | instid1(VALU_DEP_2)
	v_add_co_u32 v10, vcc_lo, v8, v2
	v_add_co_ci_u32_e32 v11, vcc_lo, 0, v9, vcc_lo
	v_add_co_u32 v8, vcc_lo, v34, 2
	v_add_co_ci_u32_e32 v9, vcc_lo, 0, v35, vcc_lo
	s_delay_alu instid0(VALU_DEP_1)
	v_cmp_lt_u64_e32 vcc_lo, v[10:11], v[8:9]
	v_mov_b32_e32 v10, 1
	s_and_saveexec_b32 s17, vcc_lo
	s_cbranch_execz .LBB6_17324
; %bb.17313:                            ;   in Loop: Header=BB6_17311 Depth=2
	v_mov_b32_e32 v10, 0
	s_mov_b32 s30, 0
                                        ; implicit-def: $sgpr31
	s_branch .LBB6_17317
.LBB6_17314:                            ;   in Loop: Header=BB6_17317 Depth=3
	s_or_b32 exec_lo, exec_lo, s42
	v_mov_b32_e32 v11, 0
	s_or_not1_b32 s41, s41, exec_lo
.LBB6_17315:                            ;   in Loop: Header=BB6_17317 Depth=3
	s_or_b32 exec_lo, exec_lo, s40
	s_delay_alu instid0(VALU_DEP_1) | instskip(SKIP_2) | instid1(SALU_CYCLE_1)
	v_mov_b32_e32 v10, v11
	s_and_not1_b32 vcc_lo, s31, exec_lo
	s_and_b32 s31, s41, exec_lo
	s_or_b32 s31, vcc_lo, s31
.LBB6_17316:                            ;   in Loop: Header=BB6_17317 Depth=3
	s_or_b32 exec_lo, exec_lo, s34
	s_waitcnt vmcnt(0) lgkmcnt(0)
	v_add_co_u32 v11, vcc_lo, v118, v2
	v_add_co_ci_u32_e32 v12, vcc_lo, 0, v119, vcc_lo
	s_xor_b32 s34, s31, -1
	s_delay_alu instid0(VALU_DEP_1) | instskip(SKIP_1) | instid1(SALU_CYCLE_1)
	v_cmp_ge_u64_e32 vcc_lo, v[11:12], v[8:9]
	s_or_b32 vcc_lo, s34, vcc_lo
	s_and_b32 vcc_lo, exec_lo, vcc_lo
	s_delay_alu instid0(SALU_CYCLE_1) | instskip(NEXT) | instid1(SALU_CYCLE_1)
	s_or_b32 s30, vcc_lo, s30
	s_and_not1_b32 exec_lo, exec_lo, s30
	s_cbranch_execz .LBB6_17323
.LBB6_17317:                            ;   Parent Loop BB6_51 Depth=1
                                        ;     Parent Loop BB6_17311 Depth=2
                                        ; =>    This Inner Loop Header: Depth=3
	s_sleep 1
	flat_load_b64 v[118:119], v[32:33] glc
	v_and_b32_e32 v11, 64, v30
	s_and_not1_b32 s31, s31, exec_lo
	s_mov_b32 s34, exec_lo
	s_delay_alu instid0(VALU_DEP_1)
	v_cmpx_eq_u32_e32 0, v11
	s_cbranch_execz .LBB6_17316
; %bb.17318:                            ;   in Loop: Header=BB6_17317 Depth=3
	v_add_nc_u32_e32 v11, 1, v10
	s_mov_b32 s41, -1
	s_mov_b32 s40, exec_lo
	v_cmpx_lt_i32_e32 0x270e, v10
	s_cbranch_execz .LBB6_17315
; %bb.17319:                            ;   in Loop: Header=BB6_17317 Depth=3
	s_cbranch_execnz .LBB6_18057
; %bb.17320:                            ;   in Loop: Header=BB6_17317 Depth=3
	ds_load_b64 v[10:11], v0
	s_mov_b32 s42, exec_lo
	s_waitcnt vmcnt(0) lgkmcnt(0)
	s_waitcnt_vscnt null, 0x0
	flat_load_b32 v10, v[10:11] glc
	s_waitcnt vmcnt(0) lgkmcnt(0)
	buffer_gl1_inv
	buffer_gl0_inv
	v_cmpx_ne_u32_e32 0, v10
	s_cbranch_execz .LBB6_17314
; %bb.17321:                            ;   in Loop: Header=BB6_17317 Depth=3
	ds_store_b32 v0, v10
	s_cbranch_execnz .LBB6_18113
; %bb.17322:                            ;   in Loop: Header=BB6_17317 Depth=3
	v_or_b32_e32 v30, 64, v30
	s_xor_b32 s41, exec_lo, -1
	s_branch .LBB6_17314
.LBB6_17323:                            ;   in Loop: Header=BB6_17311 Depth=2
	s_or_b32 exec_lo, exec_lo, s30
	v_and_b32_e32 v10, 12, v30
.LBB6_17324:                            ;   in Loop: Header=BB6_17311 Depth=2
	s_or_b32 exec_lo, exec_lo, s17
	s_delay_alu instid0(VALU_DEP_1)
	v_cmp_eq_u32_e32 vcc_lo, 0, v10
	;;#ASMSTART
	s_wakeup
	;;#ASMEND
	s_or_not1_b32 s17, vcc_lo, exec_lo
.LBB6_17325:                            ;   in Loop: Header=BB6_17311 Depth=2
	s_or_b32 exec_lo, exec_lo, s16
	v_sub_nc_u32_e32 v2, v71, v147
	s_xor_b32 s13, s13, -1
	s_delay_alu instid0(SALU_CYCLE_1) | instskip(NEXT) | instid1(SALU_CYCLE_1)
	s_and_b32 s13, exec_lo, s13
	s_or_b32 s12, s13, s12
	s_delay_alu instid0(VALU_DEP_1) | instskip(SKIP_1) | instid1(SALU_CYCLE_1)
	v_min_i32_e32 v68, v68, v2
	s_xor_b32 s13, s17, -1
	s_and_saveexec_b32 s16, s13
	s_cbranch_execz .LBB6_17340
; %bb.17326:                            ;   in Loop: Header=BB6_17311 Depth=2
	v_and_b32_e32 v2, 0x108, v30
	s_mov_b32 s13, exec_lo
	s_delay_alu instid0(VALU_DEP_1)
	v_cmpx_ne_u32_e32 0x108, v2
	s_xor_b32 s13, exec_lo, s13
                                        ; implicit-def: $vgpr8_vgpr9
; %bb.17327:                            ;   in Loop: Header=BB6_17311 Depth=2
	v_and_b32_e32 v8, 7, v34
; %bb.17328:                            ;   in Loop: Header=BB6_17311 Depth=2
	s_and_not1_saveexec_b32 s13, s13
	s_cbranch_execz .LBB6_17330
; %bb.17329:                            ;   in Loop: Header=BB6_17311 Depth=2
	v_and_b32_e32 v8, 7, v34
	v_ashrrev_i32_e32 v69, 31, v68
	s_delay_alu instid0(VALU_DEP_2)
	v_mad_u64_u32 v[9:10], null, v8, 24, v[6:7]
	flat_store_b64 v[9:10], v[68:69] offset:8
.LBB6_17330:                            ;   in Loop: Header=BB6_17311 Depth=2
	s_or_b32 exec_lo, exec_lo, s13
	v_and_b32_e32 v2, 0x100, v30
	s_mov_b32 s13, -1
	s_mov_b32 s17, exec_lo
                                        ; implicit-def: $vgpr9_vgpr10
	s_delay_alu instid0(VALU_DEP_1)
	v_cmpx_ne_u32_e32 0, v2
	s_cbranch_execnz .LBB6_17333
; %bb.17331:                            ;   in Loop: Header=BB6_17311 Depth=2
	s_or_b32 exec_lo, exec_lo, s17
	s_and_saveexec_b32 s17, s13
	s_cbranch_execnz .LBB6_17336
.LBB6_17332:                            ;   in Loop: Header=BB6_17311 Depth=2
	s_or_b32 exec_lo, exec_lo, s17
	s_cbranch_execnz .LBB6_18053
	s_branch .LBB6_17337
.LBB6_17333:                            ;   in Loop: Header=BB6_17311 Depth=2
	v_mad_u64_u32 v[11:12], null, v8, 24, v[6:7]
	s_mov_b32 s30, exec_lo
	s_delay_alu instid0(VALU_DEP_1) | instskip(NEXT) | instid1(VALU_DEP_1)
	v_mov_b32_e32 v2, v12
	v_mad_u64_u32 v[9:10], null, v3, 24, v[2:3]
	s_delay_alu instid0(VALU_DEP_1)
	v_mov_b32_e32 v12, v9
                                        ; implicit-def: $vgpr9_vgpr10
	flat_load_b32 v2, v[11:12]
	s_waitcnt vmcnt(0) lgkmcnt(0)
	v_cmp_ne_u32_e32 vcc_lo, 1, v2
	v_cmpx_eq_u32_e32 1, v2
	s_cbranch_execz .LBB6_17335
; %bb.17334:                            ;   in Loop: Header=BB6_17311 Depth=2
	flat_load_b32 v9, v[11:12] offset:4 glc
	s_waitcnt vmcnt(0) lgkmcnt(0)
	v_ashrrev_i32_e32 v10, 31, v9
.LBB6_17335:                            ;   in Loop: Header=BB6_17311 Depth=2
	s_or_b32 exec_lo, exec_lo, s30
	s_delay_alu instid0(SALU_CYCLE_1)
	s_or_not1_b32 s13, vcc_lo, exec_lo
	s_or_b32 exec_lo, exec_lo, s17
	s_and_saveexec_b32 s17, s13
	s_cbranch_execz .LBB6_17332
.LBB6_17336:                            ;   in Loop: Header=BB6_17311 Depth=2
	v_mov_b32_e32 v12, v139
	v_mul_lo_u32 v11, v8, v143
	s_delay_alu instid0(VALU_DEP_2) | instskip(SKIP_1) | instid1(VALU_DEP_1)
	v_mul_lo_u32 v2, v3, v12
	v_mad_u64_u32 v[9:10], null, v8, v12, 0
	v_add3_u32 v10, v10, v11, v2
	s_or_b32 exec_lo, exec_lo, s17
	s_cbranch_execnz .LBB6_18053
.LBB6_17337:                            ;   in Loop: Header=BB6_17311 Depth=2
	v_dual_mov_b32 v11, v141 :: v_dual_and_b32 v2, 0x2000, v30
	v_mov_b32_e32 v12, v142
	s_mov_b32 s13, exec_lo
	s_delay_alu instid0(VALU_DEP_2) | instskip(NEXT) | instid1(VALU_DEP_2)
	v_add_co_u32 v8, vcc_lo, v11, v9
	v_add_co_ci_u32_e32 v9, vcc_lo, v12, v10, vcc_lo
	ds_store_b64 v0, v[8:9]
	v_cmpx_ne_u32_e32 0, v2
	s_cbranch_execz .LBB6_17339
; %bb.17338:                            ;   in Loop: Header=BB6_17311 Depth=2
	ds_load_b64 v[8:9], v0 offset:584
	s_waitcnt lgkmcnt(0)
	v_add_co_u32 v8, vcc_lo, v8, 1
	v_add_co_ci_u32_e32 v9, vcc_lo, 0, v9, vcc_lo
	ds_store_b64 v0, v[8:9] offset:584
.LBB6_17339:                            ;   in Loop: Header=BB6_17311 Depth=2
	s_or_b32 exec_lo, exec_lo, s13
	v_add_co_u32 v34, vcc_lo, v34, 2
	v_add_co_ci_u32_e32 v35, vcc_lo, 0, v35, vcc_lo
.LBB6_17340:                            ;   in Loop: Header=BB6_17311 Depth=2
	s_or_b32 exec_lo, exec_lo, s16
	s_and_saveexec_b32 s13, s3
	s_cbranch_execz .LBB6_17362
; %bb.17341:                            ;   in Loop: Header=BB6_17311 Depth=2
	s_and_saveexec_b32 s16, s4
	s_delay_alu instid0(SALU_CYCLE_1)
	s_xor_b32 s16, exec_lo, s16
	s_cbranch_execz .LBB6_17359
; %bb.17342:                            ;   in Loop: Header=BB6_17311 Depth=2
	s_and_saveexec_b32 s17, s1
	s_cbranch_execz .LBB6_17358
; %bb.17343:                            ;   in Loop: Header=BB6_17311 Depth=2
	s_mov_b32 s31, exec_lo
	s_mov_b32 s30, exec_lo
	v_mbcnt_lo_u32_b32 v2, s31, 0
	s_waitcnt vmcnt(0) lgkmcnt(0)
	s_waitcnt_vscnt null, 0x0
	buffer_gl1_inv
	buffer_gl0_inv
	v_cmpx_eq_u32_e32 0, v2
	s_cbranch_execz .LBB6_17345
; %bb.17344:                            ;   in Loop: Header=BB6_17311 Depth=2
	s_bcnt1_i32_b32 vcc_lo, s31
	s_delay_alu instid0(SALU_CYCLE_1)
	v_mov_b32_e32 v2, vcc_lo
	ds_add_u64 v0, v[2:3]
	s_cbranch_execnz .LBB6_18167
.LBB6_17345:                            ;   in Loop: Header=BB6_17311 Depth=2
	s_or_b32 exec_lo, exec_lo, s30
	s_cbranch_execnz .LBB6_18143
; %bb.17346:                            ;   in Loop: Header=BB6_17311 Depth=2
	ds_load_b64 v[8:9], v0
	v_dual_mov_b32 v10, v154 :: v_dual_mov_b32 v11, v155
	s_mov_b32 s30, exec_lo
	s_delay_alu instid0(VALU_DEP_1) | instskip(NEXT) | instid1(VALU_DEP_2)
	v_add_co_u32 v10, vcc_lo, v10, v114
	v_add_co_ci_u32_e32 v11, vcc_lo, 0, v11, vcc_lo
	s_delay_alu instid0(VALU_DEP_1)
	v_dual_mov_b32 v155, v11 :: v_dual_mov_b32 v154, v10
	s_waitcnt lgkmcnt(0)
	v_cmpx_lt_u64_e64 v[8:9], v[10:11]
	s_cbranch_execz .LBB6_17357
; %bb.17347:                            ;   in Loop: Header=BB6_17311 Depth=2
	s_mov_b32 s31, 0
	s_mov_b32 s41, 0
                                        ; implicit-def: $sgpr34
                                        ; implicit-def: $sgpr40
	s_branch .LBB6_17349
.LBB6_17348:                            ;   in Loop: Header=BB6_17349 Depth=3
	s_or_b32 exec_lo, exec_lo, s43
	s_delay_alu instid0(SALU_CYCLE_1) | instskip(NEXT) | instid1(SALU_CYCLE_1)
	s_and_b32 vcc_lo, exec_lo, vcc_lo
	s_or_b32 s31, vcc_lo, s31
	s_and_not1_b32 vcc_lo, s34, exec_lo
	s_and_b32 s34, s40, exec_lo
	s_delay_alu instid0(SALU_CYCLE_1)
	s_or_b32 s34, vcc_lo, s34
	s_and_not1_b32 exec_lo, exec_lo, s31
	s_cbranch_execz .LBB6_17355
.LBB6_17349:                            ;   Parent Loop BB6_51 Depth=1
                                        ;     Parent Loop BB6_17311 Depth=2
                                        ; =>    This Inner Loop Header: Depth=3
	s_add_i32 s41, s41, 1
                                        ; implicit-def: $sgpr43
	s_delay_alu instid0(SALU_CYCLE_1) | instskip(SKIP_1) | instid1(SALU_CYCLE_1)
	s_cmpk_lg_i32 s41, 0x2710
	s_cselect_b32 s42, -1, 0
	s_and_b32 vcc_lo, exec_lo, s42
	s_cbranch_vccz .LBB6_17353
.LBB6_17350:                            ;   in Loop: Header=BB6_17349 Depth=3
	s_and_not1_b32 s40, s40, exec_lo
	s_and_b32 s43, s43, exec_lo
	s_mov_b32 vcc_lo, -1
	s_or_b32 s40, s40, s43
	s_and_saveexec_b32 s43, s42
	s_cbranch_execz .LBB6_17348
; %bb.17351:                            ;   in Loop: Header=BB6_17349 Depth=3
	s_sleep 1
	s_cbranch_execnz .LBB6_18221
; %bb.17352:                            ;   in Loop: Header=BB6_17349 Depth=3
	ds_load_b64 v[8:9], v0
	s_and_not1_b32 s40, s40, exec_lo
	s_waitcnt lgkmcnt(0)
	v_cmp_ge_u64_e32 vcc_lo, v[8:9], v[154:155]
	s_or_not1_b32 vcc_lo, vcc_lo, exec_lo
	s_branch .LBB6_17348
.LBB6_17353:                            ;   in Loop: Header=BB6_17349 Depth=3
	s_cbranch_execnz .LBB6_18235
; %bb.17354:                            ;   in Loop: Header=BB6_17349 Depth=3
	ds_load_b64 v[8:9], v0
	s_and_not1_b32 s42, s42, exec_lo
	s_mov_b32 s41, 0
	s_mov_b32 s43, -1
	s_waitcnt lgkmcnt(0)
	flat_load_b32 v2, v[8:9] glc
	s_waitcnt vmcnt(0) lgkmcnt(0)
	buffer_gl1_inv
	buffer_gl0_inv
	v_cmp_eq_u32_e32 vcc_lo, 0, v2
	s_and_b32 vcc_lo, vcc_lo, exec_lo
	s_delay_alu instid0(SALU_CYCLE_1)
	s_or_b32 s42, s42, vcc_lo
	s_branch .LBB6_17350
.LBB6_17355:                            ;   in Loop: Header=BB6_17311 Depth=2
	s_or_b32 exec_lo, exec_lo, s31
	s_and_saveexec_b32 vcc_lo, s34
	s_delay_alu instid0(SALU_CYCLE_1)
	s_xor_b32 vcc_lo, exec_lo, vcc_lo
	s_cbranch_execz .LBB6_17357
; %bb.17356:                            ;   in Loop: Header=BB6_17311 Depth=2
	ds_store_b32 v0, v46
	s_cbranch_execnz .LBB6_18437
.LBB6_17357:                            ;   in Loop: Header=BB6_17311 Depth=2
	s_or_b32 exec_lo, exec_lo, s30
	;;#ASMSTART
	s_wakeup
	;;#ASMEND
.LBB6_17358:                            ;   in Loop: Header=BB6_17311 Depth=2
	s_or_b32 exec_lo, exec_lo, s17
.LBB6_17359:                            ;   in Loop: Header=BB6_17311 Depth=2
	s_and_not1_saveexec_b32 s16, s16
	s_cbranch_execz .LBB6_17361
; %bb.17360:                            ;   in Loop: Header=BB6_17311 Depth=2
	s_waitcnt vmcnt(0) lgkmcnt(0)
	s_waitcnt_vscnt null, 0x0
	buffer_gl1_inv
	buffer_gl0_inv
	s_barrier
.LBB6_17361:                            ;   in Loop: Header=BB6_17311 Depth=2
	s_or_b32 exec_lo, exec_lo, s16
.LBB6_17362:                            ;   in Loop: Header=BB6_17311 Depth=2
	s_delay_alu instid0(SALU_CYCLE_1) | instskip(SKIP_1) | instid1(SALU_CYCLE_1)
	s_or_b32 exec_lo, exec_lo, s13
                                        ; implicit-def: $vgpr2
	s_and_saveexec_b32 s13, s7
	s_xor_b32 s16, exec_lo, s13
	s_cbranch_execz .LBB6_17367
; %bb.17363:                            ;   in Loop: Header=BB6_17311 Depth=2
	s_cbranch_execnz .LBB6_18067
; %bb.17364:                            ;   in Loop: Header=BB6_17311 Depth=2
	ds_load_b32 v2, v0
	v_cmp_lt_i32_e32 vcc_lo, 0, v68
	s_waitcnt lgkmcnt(0)
	v_readfirstlane_b32 s13, v2
	v_and_b32_e32 v2, 16, v30
	s_delay_alu instid0(VALU_DEP_2) | instskip(NEXT) | instid1(VALU_DEP_1)
	s_cmp_eq_u32 s13, 0
	v_cmp_ne_u32_e64 s13, 0, v2
	s_cselect_b32 s17, -1, 0
	v_and_b32_e32 v2, 16, v30
	s_and_b32 s17, vcc_lo, s17
	s_delay_alu instid0(VALU_DEP_2) | instid1(SALU_CYCLE_1)
	s_and_b32 s17, s13, s17
	s_delay_alu instid0(SALU_CYCLE_1)
	s_and_saveexec_b32 s13, s17
	s_cbranch_execz .LBB6_17366
; %bb.17365:                            ;   in Loop: Header=BB6_17311 Depth=2
	v_mov_b32_e32 v2, 1
	s_waitcnt vmcnt(0)
	s_waitcnt_vscnt null, 0x0
	buffer_gl1_inv
	buffer_gl0_inv
.LBB6_17366:                            ;   in Loop: Header=BB6_17311 Depth=2
	s_or_b32 exec_lo, exec_lo, s13
.LBB6_17367:                            ;   in Loop: Header=BB6_17311 Depth=2
	s_and_not1_saveexec_b32 s13, s16
	s_cbranch_execz .LBB6_17389
; %bb.17368:                            ;   in Loop: Header=BB6_17311 Depth=2
	s_and_saveexec_b32 s16, s4
	s_delay_alu instid0(SALU_CYCLE_1)
	s_xor_b32 s16, exec_lo, s16
	s_cbranch_execz .LBB6_17386
; %bb.17369:                            ;   in Loop: Header=BB6_17311 Depth=2
	s_and_saveexec_b32 s17, s1
	s_cbranch_execz .LBB6_17385
; %bb.17370:                            ;   in Loop: Header=BB6_17311 Depth=2
	s_mov_b32 s31, exec_lo
	s_mov_b32 s30, exec_lo
	v_mbcnt_lo_u32_b32 v2, s31, 0
	;;#ASMSTART
	s_waitcnt lgkmcnt(0) vmcnt(0)
	;;#ASMEND
	s_delay_alu instid0(VALU_DEP_1)
	v_cmpx_eq_u32_e32 0, v2
	s_cbranch_execz .LBB6_17372
; %bb.17371:                            ;   in Loop: Header=BB6_17311 Depth=2
	s_bcnt1_i32_b32 vcc_lo, s31
	s_delay_alu instid0(SALU_CYCLE_1)
	v_mov_b32_e32 v2, vcc_lo
	ds_add_u64 v0, v[2:3]
	s_cbranch_execnz .LBB6_18179
.LBB6_17372:                            ;   in Loop: Header=BB6_17311 Depth=2
	s_or_b32 exec_lo, exec_lo, s30
	s_cbranch_execnz .LBB6_18165
; %bb.17373:                            ;   in Loop: Header=BB6_17311 Depth=2
	ds_load_b64 v[8:9], v0
	v_dual_mov_b32 v10, v154 :: v_dual_mov_b32 v11, v155
	s_mov_b32 s30, exec_lo
	s_delay_alu instid0(VALU_DEP_1) | instskip(NEXT) | instid1(VALU_DEP_2)
	v_add_co_u32 v10, vcc_lo, v10, v114
	v_add_co_ci_u32_e32 v11, vcc_lo, 0, v11, vcc_lo
	s_delay_alu instid0(VALU_DEP_1)
	v_dual_mov_b32 v155, v11 :: v_dual_mov_b32 v154, v10
	s_waitcnt lgkmcnt(0)
	v_cmpx_lt_u64_e64 v[8:9], v[10:11]
	s_cbranch_execz .LBB6_17384
; %bb.17374:                            ;   in Loop: Header=BB6_17311 Depth=2
	s_mov_b32 s31, 0
	s_mov_b32 s41, 0
                                        ; implicit-def: $sgpr34
                                        ; implicit-def: $sgpr40
	s_branch .LBB6_17376
.LBB6_17375:                            ;   in Loop: Header=BB6_17376 Depth=3
	s_or_b32 exec_lo, exec_lo, s43
	s_delay_alu instid0(SALU_CYCLE_1) | instskip(NEXT) | instid1(SALU_CYCLE_1)
	s_and_b32 vcc_lo, exec_lo, vcc_lo
	s_or_b32 s31, vcc_lo, s31
	s_and_not1_b32 vcc_lo, s34, exec_lo
	s_and_b32 s34, s40, exec_lo
	s_delay_alu instid0(SALU_CYCLE_1)
	s_or_b32 s34, vcc_lo, s34
	s_and_not1_b32 exec_lo, exec_lo, s31
	s_cbranch_execz .LBB6_17382
.LBB6_17376:                            ;   Parent Loop BB6_51 Depth=1
                                        ;     Parent Loop BB6_17311 Depth=2
                                        ; =>    This Inner Loop Header: Depth=3
	s_add_i32 s41, s41, 1
                                        ; implicit-def: $sgpr43
	s_delay_alu instid0(SALU_CYCLE_1) | instskip(SKIP_1) | instid1(SALU_CYCLE_1)
	s_cmpk_lg_i32 s41, 0x2710
	s_cselect_b32 s42, -1, 0
	s_and_b32 vcc_lo, exec_lo, s42
	s_cbranch_vccz .LBB6_17380
.LBB6_17377:                            ;   in Loop: Header=BB6_17376 Depth=3
	s_and_not1_b32 s40, s40, exec_lo
	s_and_b32 s43, s43, exec_lo
	s_mov_b32 vcc_lo, -1
	s_or_b32 s40, s40, s43
	s_and_saveexec_b32 s43, s42
	s_cbranch_execz .LBB6_17375
; %bb.17378:                            ;   in Loop: Header=BB6_17376 Depth=3
	s_sleep 1
	s_cbranch_execnz .LBB6_18245
; %bb.17379:                            ;   in Loop: Header=BB6_17376 Depth=3
	ds_load_b64 v[8:9], v0
	s_and_not1_b32 s40, s40, exec_lo
	s_waitcnt lgkmcnt(0)
	v_cmp_ge_u64_e32 vcc_lo, v[8:9], v[154:155]
	s_or_not1_b32 vcc_lo, vcc_lo, exec_lo
	s_branch .LBB6_17375
.LBB6_17380:                            ;   in Loop: Header=BB6_17376 Depth=3
	s_cbranch_execnz .LBB6_18255
; %bb.17381:                            ;   in Loop: Header=BB6_17376 Depth=3
	ds_load_b64 v[8:9], v0
	s_and_not1_b32 s42, s42, exec_lo
	s_mov_b32 s41, 0
	s_mov_b32 s43, -1
	s_waitcnt vmcnt(0) lgkmcnt(0)
	s_waitcnt_vscnt null, 0x0
	flat_load_b32 v2, v[8:9] glc
	s_waitcnt vmcnt(0) lgkmcnt(0)
	buffer_gl1_inv
	buffer_gl0_inv
	v_cmp_eq_u32_e32 vcc_lo, 0, v2
	s_and_b32 vcc_lo, vcc_lo, exec_lo
	s_delay_alu instid0(SALU_CYCLE_1)
	s_or_b32 s42, s42, vcc_lo
	s_branch .LBB6_17377
.LBB6_17382:                            ;   in Loop: Header=BB6_17311 Depth=2
	s_or_b32 exec_lo, exec_lo, s31
	s_and_saveexec_b32 vcc_lo, s34
	s_delay_alu instid0(SALU_CYCLE_1)
	s_xor_b32 vcc_lo, exec_lo, vcc_lo
	s_cbranch_execz .LBB6_17384
; %bb.17383:                            ;   in Loop: Header=BB6_17311 Depth=2
	ds_store_b32 v0, v46
	s_cbranch_execnz .LBB6_18449
.LBB6_17384:                            ;   in Loop: Header=BB6_17311 Depth=2
	s_or_b32 exec_lo, exec_lo, s30
	;;#ASMSTART
	s_wakeup
	;;#ASMEND
.LBB6_17385:                            ;   in Loop: Header=BB6_17311 Depth=2
	s_or_b32 exec_lo, exec_lo, s17
.LBB6_17386:                            ;   in Loop: Header=BB6_17311 Depth=2
	s_and_not1_saveexec_b32 s16, s16
	s_cbranch_execz .LBB6_17388
; %bb.17387:                            ;   in Loop: Header=BB6_17311 Depth=2
	;;#ASMSTART
	s_waitcnt lgkmcnt(0) vmcnt(0)
	;;#ASMEND
	s_waitcnt vmcnt(0) lgkmcnt(0)
	s_waitcnt_vscnt null, 0x0
	s_barrier
.LBB6_17388:                            ;   in Loop: Header=BB6_17311 Depth=2
	s_or_b32 exec_lo, exec_lo, s16
	v_and_b32_e32 v2, 16, v30
.LBB6_17389:                            ;   in Loop: Header=BB6_17311 Depth=2
	s_or_b32 exec_lo, exec_lo, s13
	s_delay_alu instid0(VALU_DEP_1) | instskip(SKIP_1) | instid1(SALU_CYCLE_1)
	v_cmp_ne_u32_e32 vcc_lo, 0, v2
	s_xor_b32 s13, s11, -1
	s_and_b32 s16, vcc_lo, s13
	s_delay_alu instid0(SALU_CYCLE_1)
	s_and_saveexec_b32 s13, s16
	s_cbranch_execz .LBB6_17391
; %bb.17390:                            ;   in Loop: Header=BB6_17311 Depth=2
	s_waitcnt vmcnt(0) lgkmcnt(0)
	s_waitcnt_vscnt null, 0x0
	flat_store_b32 v[152:153], v46
.LBB6_17391:                            ;   in Loop: Header=BB6_17311 Depth=2
	s_or_b32 exec_lo, exec_lo, s13
	v_and_b32_e32 v2, 48, v30
	s_mov_b32 s13, exec_lo
	s_delay_alu instid0(VALU_DEP_1)
	v_cmpx_ne_u32_e32 0, v2
	s_cbranch_execz .LBB6_17393
; %bb.17392:                            ;   in Loop: Header=BB6_17311 Depth=2
	v_add_co_u32 v34, vcc_lo, v34, 2
	v_add_co_ci_u32_e32 v35, vcc_lo, 0, v35, vcc_lo
	s_waitcnt vmcnt(0) lgkmcnt(0)
	s_waitcnt_vscnt null, 0x0
	flat_store_b64 v[32:33], v[34:35]
.LBB6_17393:                            ;   in Loop: Header=BB6_17311 Depth=2
	s_or_b32 exec_lo, exec_lo, s13
	v_add_nc_u32_e32 v147, v68, v147
	s_mov_b32 s13, 0
	s_and_not1_b32 exec_lo, exec_lo, s12
	s_cbranch_execnz .LBB6_17311
; %bb.17394:                            ;   in Loop: Header=BB6_51 Depth=1
	s_or_b32 exec_lo, exec_lo, s12
.LBB6_17395:                            ;   in Loop: Header=BB6_51 Depth=1
	v_writelane_b32 v190, s37, 3
	s_waitcnt vmcnt(0)
	v_dual_mov_b32 v182, v167 :: v_dual_mov_b32 v179, v164
	v_dual_mov_b32 v176, v114 :: v_dual_mov_b32 v167, v119
	v_writelane_b32 v190, s39, 1
	v_dual_mov_b32 v178, v127 :: v_dual_mov_b32 v177, v146
	v_mov_b32_e32 v166, v118
	s_or_b32 exec_lo, exec_lo, s15
	s_mov_b32 s30, s38
	s_mov_b32 s34, s36
	;; [unrolled: 1-line block ×3, first 2 shown]
	s_and_not1_b32 vcc_lo, exec_lo, s35
	s_cbranch_vccnz .LBB6_17691
; %bb.17396:                            ;   in Loop: Header=BB6_51 Depth=1
	s_mov_b32 s13, 1
.LBB6_17397:                            ;   Parent Loop BB6_51 Depth=1
                                        ; =>  This Loop Header: Depth=2
                                        ;       Child Loop BB6_17399 Depth 3
                                        ;         Child Loop BB6_17408 Depth 4
                                        ;         Child Loop BB6_17440 Depth 4
	;; [unrolled: 1-line block ×5, first 2 shown]
                                        ;           Child Loop BB6_17495 Depth 5
                                        ;         Child Loop BB6_17506 Depth 4
                                        ;         Child Loop BB6_17512 Depth 4
                                        ;           Child Loop BB6_17513 Depth 5
                                        ;         Child Loop BB6_17527 Depth 4
                                        ;         Child Loop BB6_17533 Depth 4
	;; [unrolled: 1-line block ×6, first 2 shown]
                                        ;       Child Loop BB6_17608 Depth 3
                                        ;         Child Loop BB6_17614 Depth 4
                                        ;         Child Loop BB6_17644 Depth 4
	;; [unrolled: 1-line block ×3, first 2 shown]
	s_delay_alu instid0(SALU_CYCLE_1)
	s_mov_b32 s31, s13
	s_sub_i32 s13, s25, s13
	v_mov_b32_e32 v16, 0
	s_cmp_le_i32 s19, s13
	s_mov_b32 s37, 0
	s_cselect_b32 s14, s19, 0
	s_delay_alu instid0(SALU_CYCLE_1) | instskip(NEXT) | instid1(SALU_CYCLE_1)
	s_sub_i32 s13, s13, s14
	s_ashr_i32 s14, s13, 31
	v_mul_lo_u32 v2, v65, s13
	v_mad_u64_u32 v[8:9], null, v64, s13, 0
	v_mul_lo_u32 v10, v64, s14
	s_delay_alu instid0(VALU_DEP_1) | instskip(NEXT) | instid1(VALU_DEP_3)
	v_add3_u32 v9, v9, v10, v2
	v_sub_co_u32 v10, vcc_lo, v66, v8
	s_delay_alu instid0(VALU_DEP_2) | instskip(NEXT) | instid1(VALU_DEP_1)
	v_sub_co_ci_u32_e32 v11, vcc_lo, v67, v9, vcc_lo
	v_cmp_lt_i64_e32 vcc_lo, v[64:65], v[10:11]
	v_cndmask_b32_e32 v10, v10, v64, vcc_lo
	s_delay_alu instid0(VALU_DEP_1) | instskip(NEXT) | instid1(VALU_DEP_1)
	v_max_i32_e32 v15, 0, v10
	v_add_nc_u32_e32 v2, 31, v15
	s_delay_alu instid0(VALU_DEP_1) | instskip(NEXT) | instid1(VALU_DEP_1)
	v_lshrrev_b32_e32 v2, 1, v2
	v_and_b32_e32 v11, 0x3ffffff0, v2
	v_cmp_lt_i32_e32 vcc_lo, 0, v10
	v_mov_b32_e32 v2, 0
	s_delay_alu instid0(VALU_DEP_3) | instskip(SKIP_1) | instid1(SALU_CYCLE_1)
	v_max_i32_e32 v12, s28, v11
	s_and_b32 s13, s30, vcc_lo
	s_and_saveexec_b32 s36, s13
	s_cbranch_execz .LBB6_17606
; %bb.17398:                            ;   in Loop: Header=BB6_17397 Depth=2
	v_add_co_u32 v17, vcc_lo, v8, v179
	v_add_co_ci_u32_e32 v18, vcc_lo, v9, v182, vcc_lo
	v_mov_b32_e32 v16, 0
	s_mov_b32 s39, 1
	s_mov_b32 s38, -1
.LBB6_17399:                            ;   Parent Loop BB6_51 Depth=1
                                        ;     Parent Loop BB6_17397 Depth=2
                                        ; =>    This Loop Header: Depth=3
                                        ;         Child Loop BB6_17408 Depth 4
                                        ;         Child Loop BB6_17440 Depth 4
                                        ;         Child Loop BB6_17463 Depth 4
                                        ;         Child Loop BB6_17488 Depth 4
                                        ;         Child Loop BB6_17494 Depth 4
                                        ;           Child Loop BB6_17495 Depth 5
                                        ;         Child Loop BB6_17506 Depth 4
                                        ;         Child Loop BB6_17512 Depth 4
                                        ;           Child Loop BB6_17513 Depth 5
                                        ;         Child Loop BB6_17527 Depth 4
                                        ;         Child Loop BB6_17533 Depth 4
	;; [unrolled: 1-line block ×6, first 2 shown]
	s_and_saveexec_b32 s14, s0
	s_cbranch_execz .LBB6_17402
; %bb.17400:                            ;   in Loop: Header=BB6_17399 Depth=3
	s_cbranch_execnz .LBB6_18095
; %bb.17401:                            ;   in Loop: Header=BB6_17399 Depth=3
	ds_load_b128 v[8:11], v0
	v_ashrrev_i32_e32 v2, 31, v16
	s_waitcnt lgkmcnt(0)
	v_add_co_u32 v13, vcc_lo, v10, v17
	v_add_co_ci_u32_e32 v14, vcc_lo, v11, v18, vcc_lo
	v_add_co_u32 v8, vcc_lo, v8, v17
	v_add_co_ci_u32_e32 v9, vcc_lo, v9, v18, vcc_lo
	s_delay_alu instid0(VALU_DEP_4) | instskip(NEXT) | instid1(VALU_DEP_4)
	v_add_co_u32 v13, vcc_lo, v13, v16
	v_add_co_ci_u32_e32 v14, vcc_lo, v14, v2, vcc_lo
	v_cmp_ne_u64_e32 vcc_lo, 0, v[10:11]
	v_add_co_u32 v8, s13, v8, v16
	s_delay_alu instid0(VALU_DEP_1) | instskip(NEXT) | instid1(VALU_DEP_4)
	v_add_co_ci_u32_e64 v9, s13, v9, v2, s13
	v_dual_cndmask_b32 v11, 0, v14 :: v_dual_cndmask_b32 v10, 0, v13
	ds_store_b64 v0, v[8:9]
	ds_store_b64 v0, v[10:11]
.LBB6_17402:                            ;   in Loop: Header=BB6_17399 Depth=3
	s_or_b32 exec_lo, exec_lo, s14
	v_and_b32_e32 v2, 12, v30
	s_mov_b32 s14, -1
	s_mov_b32 s13, exec_lo
	s_delay_alu instid0(VALU_DEP_1)
	v_cmpx_ne_u32_e32 0, v2
	s_cbranch_execz .LBB6_17416
; %bb.17403:                            ;   in Loop: Header=BB6_17399 Depth=3
	v_and_b32_e32 v2, 8, v30
	v_dual_mov_b32 v8, v166 :: v_dual_mov_b32 v9, v167
	s_delay_alu instid0(VALU_DEP_1) | instskip(NEXT) | instid1(VALU_DEP_2)
	v_add_co_u32 v10, vcc_lo, v8, v2
	v_add_co_ci_u32_e32 v11, vcc_lo, 0, v9, vcc_lo
	v_add_co_u32 v8, vcc_lo, v34, 2
	v_add_co_ci_u32_e32 v9, vcc_lo, 0, v35, vcc_lo
	s_delay_alu instid0(VALU_DEP_1)
	v_cmp_lt_u64_e32 vcc_lo, v[10:11], v[8:9]
	v_mov_b32_e32 v10, 1
	s_and_saveexec_b32 s14, vcc_lo
	s_cbranch_execz .LBB6_17415
; %bb.17404:                            ;   in Loop: Header=BB6_17399 Depth=3
	v_mov_b32_e32 v10, 0
	s_mov_b32 s15, 0
                                        ; implicit-def: $sgpr16
	s_branch .LBB6_17408
.LBB6_17405:                            ;   in Loop: Header=BB6_17408 Depth=4
	s_or_b32 exec_lo, exec_lo, s42
	v_mov_b32_e32 v11, 0
	s_or_not1_b32 s41, s41, exec_lo
.LBB6_17406:                            ;   in Loop: Header=BB6_17408 Depth=4
	s_or_b32 exec_lo, exec_lo, s40
	s_delay_alu instid0(VALU_DEP_1) | instskip(SKIP_2) | instid1(SALU_CYCLE_1)
	v_mov_b32_e32 v10, v11
	s_and_not1_b32 s16, s16, exec_lo
	s_and_b32 vcc_lo, s41, exec_lo
	s_or_b32 s16, s16, vcc_lo
.LBB6_17407:                            ;   in Loop: Header=BB6_17408 Depth=4
	s_or_b32 exec_lo, exec_lo, s17
	s_waitcnt vmcnt(0) lgkmcnt(0)
	v_dual_mov_b32 v13, v166 :: v_dual_mov_b32 v14, v167
	s_xor_b32 s17, s16, -1
	s_delay_alu instid0(VALU_DEP_1) | instskip(NEXT) | instid1(VALU_DEP_2)
	v_add_co_u32 v13, vcc_lo, v13, v2
	v_add_co_ci_u32_e32 v14, vcc_lo, 0, v14, vcc_lo
	s_delay_alu instid0(VALU_DEP_1) | instskip(SKIP_1) | instid1(SALU_CYCLE_1)
	v_cmp_ge_u64_e32 vcc_lo, v[13:14], v[8:9]
	s_or_b32 s17, s17, vcc_lo
	s_and_b32 s17, exec_lo, s17
	s_delay_alu instid0(SALU_CYCLE_1) | instskip(NEXT) | instid1(SALU_CYCLE_1)
	s_or_b32 s15, s17, s15
	s_and_not1_b32 exec_lo, exec_lo, s15
	s_cbranch_execz .LBB6_17414
.LBB6_17408:                            ;   Parent Loop BB6_51 Depth=1
                                        ;     Parent Loop BB6_17397 Depth=2
                                        ;       Parent Loop BB6_17399 Depth=3
                                        ; =>      This Inner Loop Header: Depth=4
	s_sleep 1
	flat_load_b64 v[166:167], v[32:33] glc
	v_and_b32_e32 v11, 64, v30
	s_and_not1_b32 s16, s16, exec_lo
	s_mov_b32 s17, exec_lo
	s_delay_alu instid0(VALU_DEP_1)
	v_cmpx_eq_u32_e32 0, v11
	s_cbranch_execz .LBB6_17407
; %bb.17409:                            ;   in Loop: Header=BB6_17408 Depth=4
	v_add_nc_u32_e32 v11, 1, v10
	s_mov_b32 s41, -1
	s_mov_b32 s40, exec_lo
	v_cmpx_lt_i32_e32 0x270e, v10
	s_cbranch_execz .LBB6_17406
; %bb.17410:                            ;   in Loop: Header=BB6_17408 Depth=4
	s_cbranch_execnz .LBB6_18131
; %bb.17411:                            ;   in Loop: Header=BB6_17408 Depth=4
	ds_load_b64 v[10:11], v0
	s_mov_b32 s42, exec_lo
	s_waitcnt vmcnt(0) lgkmcnt(0)
	s_waitcnt_vscnt null, 0x0
	flat_load_b32 v10, v[10:11] glc
	s_waitcnt vmcnt(0) lgkmcnt(0)
	buffer_gl1_inv
	buffer_gl0_inv
	v_cmpx_ne_u32_e32 0, v10
	s_cbranch_execz .LBB6_17405
; %bb.17412:                            ;   in Loop: Header=BB6_17408 Depth=4
	ds_store_b32 v0, v10
	s_cbranch_execnz .LBB6_18219
; %bb.17413:                            ;   in Loop: Header=BB6_17408 Depth=4
	v_or_b32_e32 v30, 64, v30
	s_xor_b32 s41, exec_lo, -1
	s_branch .LBB6_17405
.LBB6_17414:                            ;   in Loop: Header=BB6_17399 Depth=3
	s_or_b32 exec_lo, exec_lo, s15
	v_and_b32_e32 v10, 12, v30
.LBB6_17415:                            ;   in Loop: Header=BB6_17399 Depth=3
	s_or_b32 exec_lo, exec_lo, s14
	s_delay_alu instid0(VALU_DEP_1)
	v_cmp_eq_u32_e32 vcc_lo, 0, v10
	;;#ASMSTART
	s_wakeup
	;;#ASMEND
	s_or_not1_b32 s14, vcc_lo, exec_lo
.LBB6_17416:                            ;   in Loop: Header=BB6_17399 Depth=3
	s_or_b32 exec_lo, exec_lo, s13
	v_sub_nc_u32_e32 v2, v15, v16
	s_xor_b32 s13, s14, -1
	s_delay_alu instid0(VALU_DEP_1)
	v_min_i32_e32 v12, v12, v2
	s_and_saveexec_b32 s14, s13
	s_cbranch_execz .LBB6_17431
; %bb.17417:                            ;   in Loop: Header=BB6_17399 Depth=3
	v_and_b32_e32 v2, 0x108, v30
	s_mov_b32 s13, exec_lo
	s_delay_alu instid0(VALU_DEP_1)
	v_cmpx_ne_u32_e32 0x108, v2
	s_xor_b32 s13, exec_lo, s13
                                        ; implicit-def: $vgpr8_vgpr9
; %bb.17418:                            ;   in Loop: Header=BB6_17399 Depth=3
	v_and_b32_e32 v8, 7, v34
; %bb.17419:                            ;   in Loop: Header=BB6_17399 Depth=3
	s_and_not1_saveexec_b32 s13, s13
	s_cbranch_execz .LBB6_17421
; %bb.17420:                            ;   in Loop: Header=BB6_17399 Depth=3
	v_and_b32_e32 v8, 7, v34
	v_ashrrev_i32_e32 v13, 31, v12
	s_delay_alu instid0(VALU_DEP_2)
	v_mad_u64_u32 v[9:10], null, v8, 24, v[6:7]
	flat_store_b64 v[9:10], v[12:13] offset:8
.LBB6_17421:                            ;   in Loop: Header=BB6_17399 Depth=3
	s_or_b32 exec_lo, exec_lo, s13
	v_and_b32_e32 v2, 0x100, v30
	s_mov_b32 s13, -1
	s_mov_b32 s15, exec_lo
                                        ; implicit-def: $vgpr9_vgpr10
	s_delay_alu instid0(VALU_DEP_1)
	v_cmpx_ne_u32_e32 0, v2
	s_cbranch_execnz .LBB6_17424
; %bb.17422:                            ;   in Loop: Header=BB6_17399 Depth=3
	s_or_b32 exec_lo, exec_lo, s15
	s_and_saveexec_b32 s15, s13
	s_cbranch_execnz .LBB6_17427
.LBB6_17423:                            ;   in Loop: Header=BB6_17399 Depth=3
	s_or_b32 exec_lo, exec_lo, s15
	s_cbranch_execnz .LBB6_18121
	s_branch .LBB6_17428
.LBB6_17424:                            ;   in Loop: Header=BB6_17399 Depth=3
	v_mad_u64_u32 v[13:14], null, v8, 24, v[6:7]
	s_mov_b32 s16, exec_lo
	s_delay_alu instid0(VALU_DEP_1) | instskip(NEXT) | instid1(VALU_DEP_1)
	v_mov_b32_e32 v2, v14
	v_mad_u64_u32 v[9:10], null, v3, 24, v[2:3]
	s_delay_alu instid0(VALU_DEP_1)
	v_mov_b32_e32 v14, v9
                                        ; implicit-def: $vgpr9_vgpr10
	flat_load_b32 v2, v[13:14]
	s_waitcnt vmcnt(0) lgkmcnt(0)
	v_cmp_ne_u32_e32 vcc_lo, 1, v2
	v_cmpx_eq_u32_e32 1, v2
	s_cbranch_execz .LBB6_17426
; %bb.17425:                            ;   in Loop: Header=BB6_17399 Depth=3
	flat_load_b32 v9, v[13:14] offset:4 glc
	s_waitcnt vmcnt(0) lgkmcnt(0)
	v_ashrrev_i32_e32 v10, 31, v9
.LBB6_17426:                            ;   in Loop: Header=BB6_17399 Depth=3
	s_or_b32 exec_lo, exec_lo, s16
	s_delay_alu instid0(SALU_CYCLE_1)
	s_or_not1_b32 s13, vcc_lo, exec_lo
	s_or_b32 exec_lo, exec_lo, s15
	s_and_saveexec_b32 s15, s13
	s_cbranch_execz .LBB6_17423
.LBB6_17427:                            ;   in Loop: Header=BB6_17399 Depth=3
	v_mov_b32_e32 v13, v139
	v_mul_lo_u32 v11, v8, v143
	s_delay_alu instid0(VALU_DEP_2) | instskip(SKIP_1) | instid1(VALU_DEP_1)
	v_mul_lo_u32 v2, v3, v13
	v_mad_u64_u32 v[9:10], null, v8, v13, 0
	v_add3_u32 v10, v10, v11, v2
	s_or_b32 exec_lo, exec_lo, s15
	s_cbranch_execnz .LBB6_18121
.LBB6_17428:                            ;   in Loop: Header=BB6_17399 Depth=3
	v_dual_mov_b32 v13, v141 :: v_dual_and_b32 v2, 0x2000, v30
	v_mov_b32_e32 v14, v142
	s_mov_b32 s13, exec_lo
	s_delay_alu instid0(VALU_DEP_2) | instskip(NEXT) | instid1(VALU_DEP_2)
	v_add_co_u32 v8, vcc_lo, v13, v9
	v_add_co_ci_u32_e32 v9, vcc_lo, v14, v10, vcc_lo
	ds_store_b64 v0, v[8:9]
	v_cmpx_ne_u32_e32 0, v2
	s_cbranch_execz .LBB6_17430
; %bb.17429:                            ;   in Loop: Header=BB6_17399 Depth=3
	ds_load_b64 v[8:9], v0 offset:584
	s_waitcnt lgkmcnt(0)
	v_add_co_u32 v8, vcc_lo, v8, 1
	v_add_co_ci_u32_e32 v9, vcc_lo, 0, v9, vcc_lo
	ds_store_b64 v0, v[8:9] offset:584
.LBB6_17430:                            ;   in Loop: Header=BB6_17399 Depth=3
	s_or_b32 exec_lo, exec_lo, s13
	v_add_co_u32 v34, vcc_lo, v34, 2
	v_add_co_ci_u32_e32 v35, vcc_lo, 0, v35, vcc_lo
.LBB6_17431:                            ;   in Loop: Header=BB6_17399 Depth=3
	s_or_b32 exec_lo, exec_lo, s14
	s_and_saveexec_b32 s13, s3
	s_cbranch_execz .LBB6_17453
; %bb.17432:                            ;   in Loop: Header=BB6_17399 Depth=3
	s_and_saveexec_b32 s14, s4
	s_delay_alu instid0(SALU_CYCLE_1)
	s_xor_b32 s14, exec_lo, s14
	s_cbranch_execz .LBB6_17450
; %bb.17433:                            ;   in Loop: Header=BB6_17399 Depth=3
	s_and_saveexec_b32 s15, s1
	s_cbranch_execz .LBB6_17449
; %bb.17434:                            ;   in Loop: Header=BB6_17399 Depth=3
	s_mov_b32 s17, exec_lo
	s_mov_b32 s16, exec_lo
	v_mbcnt_lo_u32_b32 v2, s17, 0
	s_waitcnt lgkmcnt(0)
	s_waitcnt_vscnt null, 0x0
	buffer_gl1_inv
	buffer_gl0_inv
	v_cmpx_eq_u32_e32 0, v2
	s_cbranch_execz .LBB6_17436
; %bb.17435:                            ;   in Loop: Header=BB6_17399 Depth=3
	s_bcnt1_i32_b32 s17, s17
	s_delay_alu instid0(SALU_CYCLE_1)
	v_mov_b32_e32 v2, s17
	ds_add_u64 v0, v[2:3]
	s_cbranch_execnz .LBB6_18273
.LBB6_17436:                            ;   in Loop: Header=BB6_17399 Depth=3
	s_or_b32 exec_lo, exec_lo, s16
	s_cbranch_execnz .LBB6_18247
; %bb.17437:                            ;   in Loop: Header=BB6_17399 Depth=3
	ds_load_b64 v[8:9], v0
	v_dual_mov_b32 v10, v154 :: v_dual_mov_b32 v11, v155
	s_mov_b32 s16, exec_lo
	s_delay_alu instid0(VALU_DEP_1) | instskip(NEXT) | instid1(VALU_DEP_2)
	v_add_co_u32 v10, vcc_lo, v10, v176
	v_add_co_ci_u32_e32 v11, vcc_lo, 0, v11, vcc_lo
	s_delay_alu instid0(VALU_DEP_1)
	v_dual_mov_b32 v155, v11 :: v_dual_mov_b32 v154, v10
	s_waitcnt lgkmcnt(0)
	v_cmpx_lt_u64_e64 v[8:9], v[10:11]
	s_cbranch_execz .LBB6_17448
; %bb.17438:                            ;   in Loop: Header=BB6_17399 Depth=3
	s_mov_b32 s17, 0
	s_mov_b32 s42, 0
                                        ; implicit-def: $sgpr40
                                        ; implicit-def: $sgpr41
	s_branch .LBB6_17440
.LBB6_17439:                            ;   in Loop: Header=BB6_17440 Depth=4
	s_or_b32 exec_lo, exec_lo, s44
	s_delay_alu instid0(SALU_CYCLE_1) | instskip(NEXT) | instid1(SALU_CYCLE_1)
	s_and_b32 vcc_lo, exec_lo, vcc_lo
	s_or_b32 s17, vcc_lo, s17
	s_and_not1_b32 vcc_lo, s40, exec_lo
	s_and_b32 s40, s41, exec_lo
	s_delay_alu instid0(SALU_CYCLE_1)
	s_or_b32 s40, vcc_lo, s40
	s_and_not1_b32 exec_lo, exec_lo, s17
	s_cbranch_execz .LBB6_17446
.LBB6_17440:                            ;   Parent Loop BB6_51 Depth=1
                                        ;     Parent Loop BB6_17397 Depth=2
                                        ;       Parent Loop BB6_17399 Depth=3
                                        ; =>      This Inner Loop Header: Depth=4
	s_add_i32 s42, s42, 1
                                        ; implicit-def: $sgpr44
	s_delay_alu instid0(SALU_CYCLE_1) | instskip(SKIP_1) | instid1(SALU_CYCLE_1)
	s_cmpk_lg_i32 s42, 0x2710
	s_cselect_b32 s43, -1, 0
	s_and_b32 vcc_lo, exec_lo, s43
	s_cbranch_vccz .LBB6_17444
.LBB6_17441:                            ;   in Loop: Header=BB6_17440 Depth=4
	s_and_not1_b32 s41, s41, exec_lo
	s_and_b32 s44, s44, exec_lo
	s_mov_b32 vcc_lo, -1
	s_or_b32 s41, s41, s44
	s_and_saveexec_b32 s44, s43
	s_cbranch_execz .LBB6_17439
; %bb.17442:                            ;   in Loop: Header=BB6_17440 Depth=4
	s_sleep 1
	s_cbranch_execnz .LBB6_18327
; %bb.17443:                            ;   in Loop: Header=BB6_17440 Depth=4
	ds_load_b64 v[8:9], v0
	s_and_not1_b32 s41, s41, exec_lo
	s_waitcnt lgkmcnt(0)
	v_cmp_ge_u64_e32 vcc_lo, v[8:9], v[154:155]
	s_or_not1_b32 vcc_lo, vcc_lo, exec_lo
	s_branch .LBB6_17439
.LBB6_17444:                            ;   in Loop: Header=BB6_17440 Depth=4
	s_cbranch_execnz .LBB6_18349
; %bb.17445:                            ;   in Loop: Header=BB6_17440 Depth=4
	ds_load_b64 v[8:9], v0
	s_and_not1_b32 s43, s43, exec_lo
	s_mov_b32 s42, 0
	s_mov_b32 s44, -1
	s_waitcnt lgkmcnt(0)
	flat_load_b32 v2, v[8:9] glc
	s_waitcnt vmcnt(0) lgkmcnt(0)
	buffer_gl1_inv
	buffer_gl0_inv
	v_cmp_eq_u32_e32 vcc_lo, 0, v2
	s_and_b32 vcc_lo, vcc_lo, exec_lo
	s_delay_alu instid0(SALU_CYCLE_1)
	s_or_b32 s43, s43, vcc_lo
	s_branch .LBB6_17441
.LBB6_17446:                            ;   in Loop: Header=BB6_17399 Depth=3
	s_or_b32 exec_lo, exec_lo, s17
	s_and_saveexec_b32 s17, s40
	s_delay_alu instid0(SALU_CYCLE_1)
	s_xor_b32 s17, exec_lo, s17
	s_cbranch_execz .LBB6_17448
; %bb.17447:                            ;   in Loop: Header=BB6_17399 Depth=3
	ds_store_b32 v0, v46
	s_cbranch_execnz .LBB6_18469
.LBB6_17448:                            ;   in Loop: Header=BB6_17399 Depth=3
	s_or_b32 exec_lo, exec_lo, s16
	;;#ASMSTART
	s_wakeup
	;;#ASMEND
.LBB6_17449:                            ;   in Loop: Header=BB6_17399 Depth=3
	s_or_b32 exec_lo, exec_lo, s15
.LBB6_17450:                            ;   in Loop: Header=BB6_17399 Depth=3
	s_and_not1_saveexec_b32 s14, s14
	s_cbranch_execz .LBB6_17452
; %bb.17451:                            ;   in Loop: Header=BB6_17399 Depth=3
	s_waitcnt lgkmcnt(0)
	s_waitcnt_vscnt null, 0x0
	buffer_gl1_inv
	buffer_gl0_inv
	s_barrier
.LBB6_17452:                            ;   in Loop: Header=BB6_17399 Depth=3
	s_or_b32 exec_lo, exec_lo, s14
.LBB6_17453:                            ;   in Loop: Header=BB6_17399 Depth=3
	s_delay_alu instid0(SALU_CYCLE_1)
	s_or_b32 exec_lo, exec_lo, s13
	s_cbranch_execnz .LBB6_18105
; %bb.17454:                            ;   in Loop: Header=BB6_17399 Depth=3
	ds_load_b32 v8, v0
	v_and_b32_e32 v2, 0x4000, v30
	s_xor_b32 s13, s29, -1
	s_delay_alu instid0(VALU_DEP_1) | instskip(SKIP_1) | instid1(SALU_CYCLE_1)
	v_cmp_ne_u32_e32 vcc_lo, 0, v2
	s_and_b32 s14, s13, vcc_lo
	s_and_saveexec_b32 s13, s14
	s_cbranch_execz .LBB6_17476
; %bb.17455:                            ;   in Loop: Header=BB6_17399 Depth=3
	s_and_saveexec_b32 s14, s4
	s_delay_alu instid0(SALU_CYCLE_1)
	s_xor_b32 s14, exec_lo, s14
	s_cbranch_execz .LBB6_17473
; %bb.17456:                            ;   in Loop: Header=BB6_17399 Depth=3
	s_and_saveexec_b32 s15, s1
	s_cbranch_execz .LBB6_17472
; %bb.17457:                            ;   in Loop: Header=BB6_17399 Depth=3
	s_mov_b32 s17, exec_lo
	s_mov_b32 s16, exec_lo
	v_mbcnt_lo_u32_b32 v2, s17, 0
	s_waitcnt lgkmcnt(0)
	s_waitcnt_vscnt null, 0x0
	buffer_gl1_inv
	buffer_gl0_inv
	v_cmpx_eq_u32_e32 0, v2
	s_cbranch_execz .LBB6_17459
; %bb.17458:                            ;   in Loop: Header=BB6_17399 Depth=3
	s_bcnt1_i32_b32 s17, s17
	s_delay_alu instid0(SALU_CYCLE_1)
	v_mov_b32_e32 v2, s17
	ds_add_u64 v0, v[2:3]
	s_cbranch_execnz .LBB6_18319
.LBB6_17459:                            ;   in Loop: Header=BB6_17399 Depth=3
	s_or_b32 exec_lo, exec_lo, s16
	s_cbranch_execnz .LBB6_18297
; %bb.17460:                            ;   in Loop: Header=BB6_17399 Depth=3
	ds_load_b64 v[9:10], v0
	v_dual_mov_b32 v13, v154 :: v_dual_mov_b32 v14, v155
	s_mov_b32 s16, exec_lo
	s_delay_alu instid0(VALU_DEP_1) | instskip(NEXT) | instid1(VALU_DEP_2)
	v_add_co_u32 v13, vcc_lo, v13, v176
	v_add_co_ci_u32_e32 v14, vcc_lo, 0, v14, vcc_lo
	s_delay_alu instid0(VALU_DEP_1)
	v_dual_mov_b32 v155, v14 :: v_dual_mov_b32 v154, v13
	s_waitcnt lgkmcnt(0)
	v_cmpx_lt_u64_e64 v[9:10], v[13:14]
	s_cbranch_execz .LBB6_17471
; %bb.17461:                            ;   in Loop: Header=BB6_17399 Depth=3
	s_mov_b32 s17, 0
	s_mov_b32 s42, 0
                                        ; implicit-def: $sgpr40
                                        ; implicit-def: $sgpr41
	s_branch .LBB6_17463
.LBB6_17462:                            ;   in Loop: Header=BB6_17463 Depth=4
	s_or_b32 exec_lo, exec_lo, s44
	s_delay_alu instid0(SALU_CYCLE_1) | instskip(NEXT) | instid1(SALU_CYCLE_1)
	s_and_b32 vcc_lo, exec_lo, vcc_lo
	s_or_b32 s17, vcc_lo, s17
	s_and_not1_b32 vcc_lo, s40, exec_lo
	s_and_b32 s40, s41, exec_lo
	s_delay_alu instid0(SALU_CYCLE_1)
	s_or_b32 s40, vcc_lo, s40
	s_and_not1_b32 exec_lo, exec_lo, s17
	s_cbranch_execz .LBB6_17469
.LBB6_17463:                            ;   Parent Loop BB6_51 Depth=1
                                        ;     Parent Loop BB6_17397 Depth=2
                                        ;       Parent Loop BB6_17399 Depth=3
                                        ; =>      This Inner Loop Header: Depth=4
	s_add_i32 s42, s42, 1
                                        ; implicit-def: $sgpr44
	s_delay_alu instid0(SALU_CYCLE_1) | instskip(SKIP_1) | instid1(SALU_CYCLE_1)
	s_cmpk_lg_i32 s42, 0x2710
	s_cselect_b32 s43, -1, 0
	s_and_b32 vcc_lo, exec_lo, s43
	s_cbranch_vccz .LBB6_17467
.LBB6_17464:                            ;   in Loop: Header=BB6_17463 Depth=4
	s_and_not1_b32 s41, s41, exec_lo
	s_and_b32 s44, s44, exec_lo
	s_mov_b32 vcc_lo, -1
	s_or_b32 s41, s41, s44
	s_and_saveexec_b32 s44, s43
	s_cbranch_execz .LBB6_17462
; %bb.17465:                            ;   in Loop: Header=BB6_17463 Depth=4
	s_sleep 1
	s_cbranch_execnz .LBB6_18383
; %bb.17466:                            ;   in Loop: Header=BB6_17463 Depth=4
	ds_load_b64 v[9:10], v0
	s_and_not1_b32 s41, s41, exec_lo
	s_waitcnt lgkmcnt(0)
	v_cmp_ge_u64_e32 vcc_lo, v[9:10], v[154:155]
	s_or_not1_b32 vcc_lo, vcc_lo, exec_lo
	s_branch .LBB6_17462
.LBB6_17467:                            ;   in Loop: Header=BB6_17463 Depth=4
	s_cbranch_execnz .LBB6_18393
; %bb.17468:                            ;   in Loop: Header=BB6_17463 Depth=4
	ds_load_b64 v[9:10], v0
	s_and_not1_b32 s43, s43, exec_lo
	s_mov_b32 s42, 0
	s_mov_b32 s44, -1
	s_waitcnt lgkmcnt(0)
	flat_load_b32 v2, v[9:10] glc
	s_waitcnt vmcnt(0) lgkmcnt(0)
	buffer_gl1_inv
	buffer_gl0_inv
	v_cmp_eq_u32_e32 vcc_lo, 0, v2
	s_and_b32 vcc_lo, vcc_lo, exec_lo
	s_delay_alu instid0(SALU_CYCLE_1)
	s_or_b32 s43, s43, vcc_lo
	s_branch .LBB6_17464
.LBB6_17469:                            ;   in Loop: Header=BB6_17399 Depth=3
	s_or_b32 exec_lo, exec_lo, s17
	s_and_saveexec_b32 s17, s40
	s_delay_alu instid0(SALU_CYCLE_1)
	s_xor_b32 s17, exec_lo, s17
	s_cbranch_execz .LBB6_17471
; %bb.17470:                            ;   in Loop: Header=BB6_17399 Depth=3
	ds_store_b32 v0, v46
	s_cbranch_execnz .LBB6_18483
.LBB6_17471:                            ;   in Loop: Header=BB6_17399 Depth=3
	s_or_b32 exec_lo, exec_lo, s16
	;;#ASMSTART
	s_wakeup
	;;#ASMEND
.LBB6_17472:                            ;   in Loop: Header=BB6_17399 Depth=3
	s_or_b32 exec_lo, exec_lo, s15
.LBB6_17473:                            ;   in Loop: Header=BB6_17399 Depth=3
	s_and_not1_saveexec_b32 s14, s14
	s_cbranch_execz .LBB6_17475
; %bb.17474:                            ;   in Loop: Header=BB6_17399 Depth=3
	s_waitcnt lgkmcnt(0)
	s_waitcnt_vscnt null, 0x0
	buffer_gl1_inv
	buffer_gl0_inv
	s_barrier
.LBB6_17475:                            ;   in Loop: Header=BB6_17399 Depth=3
	s_or_b32 exec_lo, exec_lo, s14
.LBB6_17476:                            ;   in Loop: Header=BB6_17399 Depth=3
	s_delay_alu instid0(SALU_CYCLE_1)
	s_or_b32 exec_lo, exec_lo, s13
	s_cbranch_execnz .LBB6_18161
; %bb.17477:                            ;   in Loop: Header=BB6_17399 Depth=3
	ds_load_b64 v[9:10], v0
	v_mov_b32_e32 v19, 0
	s_waitcnt lgkmcnt(0)
	v_cmp_eq_u64_e32 vcc_lo, 0, v[9:10]
	s_or_b32 s13, vcc_lo, vcc_lo
	s_delay_alu instid0(SALU_CYCLE_1)
	s_and_b32 vcc_lo, exec_lo, s13
	s_cbranch_vccnz .LBB6_17552
; %bb.17478:                            ;   in Loop: Header=BB6_17399 Depth=3
	v_cmp_eq_u32_e32 vcc_lo, 0, v8
	s_cbranch_execnz .LBB6_18241
; %bb.17479:                            ;   in Loop: Header=BB6_17399 Depth=3
	ds_load_b64 v[8:9], v0
	v_cndmask_b32_e32 v19, 0, v12, vcc_lo
	s_waitcnt lgkmcnt(0)
	v_cmp_ne_u64_e64 s13, 0, v[8:9]
	s_delay_alu instid0(VALU_DEP_1)
	s_and_b32 vcc_lo, exec_lo, s13
	s_cbranch_vccz .LBB6_17517
; %bb.17480:                            ;   in Loop: Header=BB6_17399 Depth=3
	s_mov_b32 s13, -1
	s_and_saveexec_b32 s14, s10
	s_cbranch_execz .LBB6_17482
; %bb.17481:                            ;   in Loop: Header=BB6_17399 Depth=3
	ds_load_b32 v2, v0 offset:720
	s_waitcnt lgkmcnt(0)
	v_and_b32_e32 v2, 15, v2
	s_delay_alu instid0(VALU_DEP_1)
	v_cmp_eq_u32_e32 vcc_lo, 0, v2
	s_or_not1_b32 s13, vcc_lo, exec_lo
.LBB6_17482:                            ;   in Loop: Header=BB6_17399 Depth=3
	s_or_b32 exec_lo, exec_lo, s14
	s_and_saveexec_b32 s14, s5
	s_cbranch_execz .LBB6_17484
; %bb.17483:                            ;   in Loop: Header=BB6_17399 Depth=3
	ds_load_b32 v2, v0 offset:784
	s_waitcnt lgkmcnt(0)
	v_and_b32_e32 v2, 15, v2
	s_delay_alu instid0(VALU_DEP_1) | instskip(SKIP_3) | instid1(SALU_CYCLE_1)
	v_cmp_eq_u32_e32 vcc_lo, 0, v2
	s_and_b32 s15, s13, vcc_lo
	s_and_not1_b32 s13, s13, exec_lo
	s_and_b32 s15, s15, exec_lo
	s_or_b32 s13, s13, s15
.LBB6_17484:                            ;   in Loop: Header=BB6_17399 Depth=3
	s_or_b32 exec_lo, exec_lo, s14
	s_xor_b32 s13, s13, -1
	v_mov_b32_e32 v20, v19
	v_cndmask_b32_e64 v2, 0, 1, s13
	;;#ASMSTART
	;;#ASMEND
	s_delay_alu instid0(VALU_DEP_1)
	v_cmp_ne_u32_e32 vcc_lo, 0, v2
	v_dual_mov_b32 v2, 0 :: v_dual_mov_b32 v21, v0
	v_mov_b32_e32 v8, v156
	s_mov_b32 s13, -1
	s_cbranch_vccnz .LBB6_17502
; %bb.17485:                            ;   in Loop: Header=BB6_17399 Depth=3
	v_ashrrev_i32_e32 v2, 31, v19
	s_mov_b32 s14, exec_lo
	s_delay_alu instid0(VALU_DEP_1) | instskip(NEXT) | instid1(VALU_DEP_1)
	v_lshrrev_b32_e32 v2, 21, v2
	v_add_nc_u32_e32 v2, v19, v2
	s_delay_alu instid0(VALU_DEP_1) | instskip(NEXT) | instid1(VALU_DEP_1)
	v_ashrrev_i32_e32 v2, 11, v2
	v_sub_nc_u32_e32 v23, v2, v156
	s_delay_alu instid0(VALU_DEP_1)
	v_cmpx_lt_i32_e32 0, v23
	s_cbranch_execz .LBB6_17490
; %bb.17486:                            ;   in Loop: Header=BB6_17399 Depth=3
	s_cbranch_execnz .LBB6_18411
; %bb.17487:                            ;   in Loop: Header=BB6_17399 Depth=3
	ds_load_b64 v[8:9], v0
	ds_load_b128 v[36:39], v0
	v_dual_mov_b32 v13, v188 :: v_dual_mov_b32 v14, v189
	s_mov_b32 s15, 0
	s_waitcnt lgkmcnt(1)
	s_delay_alu instid0(VALU_DEP_1) | instskip(NEXT) | instid1(VALU_DEP_2)
	v_add_co_u32 v8, vcc_lo, v8, v13
	v_add_co_ci_u32_e32 v9, vcc_lo, v9, v14, vcc_lo
	s_waitcnt lgkmcnt(0)
	v_add_co_u32 v10, vcc_lo, v36, v13
	v_add_co_ci_u32_e32 v11, vcc_lo, v37, v14, vcc_lo
	v_add_co_u32 v13, vcc_lo, v38, v13
	v_add_co_ci_u32_e32 v14, vcc_lo, v39, v14, vcc_lo
	s_set_inst_prefetch_distance 0x1
.LBB6_17488:                            ;   Parent Loop BB6_51 Depth=1
                                        ;     Parent Loop BB6_17397 Depth=2
                                        ;       Parent Loop BB6_17399 Depth=3
                                        ; =>      This Inner Loop Header: Depth=4
	s_clause 0x3
	global_load_b128 v[36:39], v[8:9], off slc dlc
	global_load_b128 v[52:55], v[8:9], off offset:512 slc dlc
	global_load_b128 v[68:71], v[8:9], off offset:1024 slc dlc
	;; [unrolled: 1-line block ×3, first 2 shown]
	v_mov_b32_e32 v20, v183
	v_mov_b32_e32 v21, v43
	v_sub_nc_u32_e32 v23, v23, v176
	s_waitcnt vmcnt(3)
	global_store_b128 v[10:11], v[36:39], off glc slc dlc
	s_waitcnt vmcnt(2)
	global_store_b128 v[10:11], v[52:55], off offset:512 glc slc dlc
	s_waitcnt vmcnt(1)
	global_store_b128 v[10:11], v[68:71], off offset:1024 glc slc dlc
	s_waitcnt vmcnt(0)
	global_store_b128 v[10:11], v[80:83], off offset:1536 glc slc dlc
	s_clause 0x3
	global_store_b128 v[13:14], v[36:39], off glc slc dlc
	global_store_b128 v[13:14], v[52:55], off offset:512 glc slc dlc
	global_store_b128 v[13:14], v[68:71], off offset:1024 glc slc dlc
	;; [unrolled: 1-line block ×3, first 2 shown]
	v_add_co_u32 v8, vcc_lo, v8, v20
	v_add_co_u32 v10, s13, v10, v20
	v_add_co_ci_u32_e32 v9, vcc_lo, v9, v21, vcc_lo
	v_add_co_ci_u32_e64 v11, s13, v11, v21, s13
	v_cmp_gt_i32_e32 vcc_lo, 1, v23
	v_add_co_u32 v13, s13, v13, v20
	s_delay_alu instid0(VALU_DEP_1) | instskip(SKIP_1) | instid1(SALU_CYCLE_1)
	v_add_co_ci_u32_e64 v14, s13, v14, v21, s13
	s_or_b32 s15, vcc_lo, s15
	s_and_not1_b32 exec_lo, exec_lo, s15
	s_cbranch_execnz .LBB6_17488
; %bb.17489:                            ;   in Loop: Header=BB6_17399 Depth=3
	s_set_inst_prefetch_distance 0x2
	s_or_b32 exec_lo, exec_lo, s15
.LBB6_17490:                            ;   in Loop: Header=BB6_17399 Depth=3
	s_delay_alu instid0(SALU_CYCLE_1) | instskip(SKIP_4) | instid1(VALU_DEP_2)
	s_or_b32 exec_lo, exec_lo, s14
	v_lshlrev_b32_e32 v22, 11, v2
	v_mov_b32_e32 v2, 0
	s_mov_b32 s13, 0
	s_mov_b32 s16, exec_lo
                                        ; implicit-def: $vgpr20
                                        ; implicit-def: $vgpr21
                                        ; implicit-def: $vgpr8
	v_cmpx_ne_u32_e64 v19, v22
	s_cbranch_execz .LBB6_17501
; %bb.17491:                            ;   in Loop: Header=BB6_17399 Depth=3
	v_lshlrev_b32_e32 v2, 5, v23
	v_sub_nc_u32_e32 v9, v19, v22
	s_mov_b32 s17, exec_lo
	s_delay_alu instid0(VALU_DEP_2) | instskip(NEXT) | instid1(VALU_DEP_2)
	v_sub_nc_u32_e32 v2, v157, v2
	v_ashrrev_i32_e32 v10, 31, v9
	s_delay_alu instid0(VALU_DEP_2) | instskip(NEXT) | instid1(VALU_DEP_2)
	v_ashrrev_i32_e32 v8, 31, v2
	v_lshrrev_b32_e32 v10, 23, v10
	s_delay_alu instid0(VALU_DEP_2) | instskip(NEXT) | instid1(VALU_DEP_2)
	v_lshrrev_b32_e32 v8, 27, v8
	v_add_nc_u32_e32 v10, v9, v10
	s_delay_alu instid0(VALU_DEP_2) | instskip(NEXT) | instid1(VALU_DEP_2)
	v_add_nc_u32_e32 v8, v2, v8
	v_and_b32_e32 v23, 0xfffffe00, v10
	v_ashrrev_i32_e32 v10, 9, v10
	s_delay_alu instid0(VALU_DEP_3) | instskip(NEXT) | instid1(VALU_DEP_3)
	v_and_b32_e32 v11, 0xffffffe0, v8
	v_sub_nc_u32_e32 v27, v9, v23
	s_delay_alu instid0(VALU_DEP_2) | instskip(SKIP_1) | instid1(VALU_DEP_3)
	v_sub_nc_u32_e32 v26, v2, v11
	v_ashrrev_i32_e32 v11, 5, v8
	v_cmp_lt_i32_e64 s13, 15, v27
	s_delay_alu instid0(VALU_DEP_3) | instskip(NEXT) | instid1(VALU_DEP_2)
	v_lshlrev_b32_e32 v2, 4, v26
	v_add_co_ci_u32_e64 v10, vcc_lo, 0, v10, s13
	s_delay_alu instid0(VALU_DEP_2) | instskip(NEXT) | instid1(VALU_DEP_2)
	v_lshl_add_u32 v8, v11, 9, v2
	v_sub_nc_u32_e32 v36, v10, v11
	s_delay_alu instid0(VALU_DEP_2) | instskip(NEXT) | instid1(VALU_DEP_1)
	v_sub_nc_u32_e32 v2, v9, v8
	v_cmpx_lt_i32_e32 15, v2
	s_cbranch_execz .LBB6_17498
; %bb.17492:                            ;   in Loop: Header=BB6_17399 Depth=3
	s_cbranch_execnz .LBB6_18451
; %bb.17493:                            ;   in Loop: Header=BB6_17399 Depth=3
	ds_load_b64 v[9:10], v0
	ds_load_b128 v[52:55], v0
	v_add_nc_u32_e32 v8, v8, v22
	s_mov_b32 s40, 0
	s_delay_alu instid0(VALU_DEP_1) | instskip(SKIP_2) | instid1(VALU_DEP_2)
	v_ashrrev_i32_e32 v11, 31, v8
	s_waitcnt lgkmcnt(1)
	v_add_co_u32 v13, vcc_lo, v9, v8
	v_add_co_ci_u32_e32 v14, vcc_lo, v10, v11, vcc_lo
	s_waitcnt lgkmcnt(0)
	v_add_co_u32 v20, vcc_lo, v52, v8
	v_add_co_ci_u32_e32 v21, vcc_lo, v53, v11, vcc_lo
	v_add_co_u32 v37, vcc_lo, v54, v8
	v_add_co_ci_u32_e32 v38, vcc_lo, v55, v11, vcc_lo
.LBB6_17494:                            ;   Parent Loop BB6_51 Depth=1
                                        ;     Parent Loop BB6_17397 Depth=2
                                        ;       Parent Loop BB6_17399 Depth=3
                                        ; =>      This Loop Header: Depth=4
                                        ;           Child Loop BB6_17495 Depth 5
	global_load_b128 v[8:11], v[13:14], off slc dlc
	s_mov_b64 s[14:15], 0
	s_mov_b32 s41, -1
.LBB6_17495:                            ;   Parent Loop BB6_51 Depth=1
                                        ;     Parent Loop BB6_17397 Depth=2
                                        ;       Parent Loop BB6_17399 Depth=3
                                        ;         Parent Loop BB6_17494 Depth=4
                                        ; =>        This Inner Loop Header: Depth=5
	s_cmp_eq_u32 s14, 0
	v_cndmask_b32_e64 v39, 0, 1, s41
	s_cselect_b32 vcc_lo, -1, 0
	s_cmp_eq_u32 s14, 1
	s_mov_b32 s41, 0
	s_cselect_b32 s14, -1, 0
	s_delay_alu instid0(SALU_CYCLE_1) | instskip(SKIP_1) | instid1(VALU_DEP_2)
	v_cndmask_b32_e64 v48, v20, v37, s14
	v_cndmask_b32_e64 v49, v21, v38, s14
	v_add_co_u32 v50, s15, 0x200, v48
	s_delay_alu instid0(VALU_DEP_1) | instskip(SKIP_1) | instid1(VALU_DEP_3)
	v_add_co_ci_u32_e64 v51, s15, 0, v49, s15
	v_cmp_ne_u32_e64 s15, 1, v39
	v_cndmask_b32_e64 v37, v37, v50, s14
	v_cndmask_b32_e32 v20, v20, v50, vcc_lo
	s_delay_alu instid0(VALU_DEP_4)
	v_cndmask_b32_e64 v38, v38, v51, s14
	v_cndmask_b32_e32 v21, v21, v51, vcc_lo
	s_and_b32 vcc_lo, exec_lo, s15
	s_mov_b64 s[14:15], 1
	s_waitcnt vmcnt(0)
	global_store_b128 v[48:49], v[8:11], off glc slc dlc
	s_cbranch_vccz .LBB6_17495
; %bb.17496:                            ;   in Loop: Header=BB6_17494 Depth=4
	v_dual_mov_b32 v8, v159 :: v_dual_mov_b32 v9, v170
	v_sub_nc_u32_e32 v2, v2, v158
	v_add_co_u32 v13, s14, v172, v13
	s_delay_alu instid0(VALU_DEP_3) | instskip(NEXT) | instid1(VALU_DEP_4)
	v_add_co_u32 v20, vcc_lo, v20, v8
	v_add_co_ci_u32_e32 v21, vcc_lo, v21, v9, vcc_lo
	v_add_co_u32 v37, vcc_lo, v37, v8
	v_add_co_ci_u32_e32 v38, vcc_lo, v38, v9, vcc_lo
	v_cmp_gt_i32_e32 vcc_lo, 16, v2
	v_add_co_ci_u32_e64 v14, s14, v173, v14, s14
	v_sub_nc_u32_e32 v36, v36, v176
	s_or_b32 s40, vcc_lo, s40
	s_delay_alu instid0(SALU_CYCLE_1)
	s_and_not1_b32 exec_lo, exec_lo, s40
	s_cbranch_execnz .LBB6_17494
; %bb.17497:                            ;   in Loop: Header=BB6_17399 Depth=3
	s_or_b32 exec_lo, exec_lo, s40
.LBB6_17498:                            ;   in Loop: Header=BB6_17399 Depth=3
	s_delay_alu instid0(SALU_CYCLE_1) | instskip(SKIP_3) | instid1(VALU_DEP_1)
	s_or_b32 exec_lo, exec_lo, s17
	v_dual_mov_b32 v2, 0 :: v_dual_and_b32 v9, 15, v19
	s_mov_b32 s14, 0
	s_mov_b32 s15, exec_lo
                                        ; implicit-def: $vgpr21
                                        ; implicit-def: $vgpr8
	v_cndmask_b32_e64 v20, v27, v9, s13
	s_delay_alu instid0(VALU_DEP_1)
	v_cmpx_ne_u32_e32 0, v20
	s_cbranch_execz .LBB6_17500
; %bb.17499:                            ;   in Loop: Header=BB6_17399 Depth=3
	v_cmp_lt_i32_e32 vcc_lo, 0, v36
	v_sub_nc_u32_e32 v8, v27, v9
	s_mov_b32 s14, exec_lo
	v_cndmask_b32_e32 v2, 0, v176, vcc_lo
	s_delay_alu instid0(VALU_DEP_2) | instskip(NEXT) | instid1(VALU_DEP_2)
	v_cndmask_b32_e64 v8, 0, v8, s13
	v_sub_nc_u32_e32 v2, v2, v36
	s_delay_alu instid0(VALU_DEP_1) | instskip(NEXT) | instid1(VALU_DEP_1)
	v_lshl_add_u32 v21, v2, 5, v26
	v_ashrrev_i32_e32 v2, 31, v21
	s_delay_alu instid0(VALU_DEP_1) | instskip(NEXT) | instid1(VALU_DEP_1)
	v_lshrrev_b32_e32 v2, 27, v2
	v_add_nc_u32_e32 v9, v21, v2
	v_add3_u32 v2, v23, v22, v8
	s_delay_alu instid0(VALU_DEP_2)
	v_ashrrev_i32_e32 v8, 5, v9
.LBB6_17500:                            ;   in Loop: Header=BB6_17399 Depth=3
	s_or_b32 exec_lo, exec_lo, s15
	s_delay_alu instid0(SALU_CYCLE_1)
	s_and_b32 s13, s14, exec_lo
.LBB6_17501:                            ;   in Loop: Header=BB6_17399 Depth=3
	s_or_b32 exec_lo, exec_lo, s16
.LBB6_17502:                            ;   in Loop: Header=BB6_17399 Depth=3
	s_and_saveexec_b32 s15, s13
	s_cbranch_execz .LBB6_17516
; %bb.17503:                            ;   in Loop: Header=BB6_17399 Depth=3
	v_ashrrev_i32_e32 v9, 31, v20
	s_mov_b32 s14, exec_lo
	s_delay_alu instid0(VALU_DEP_1) | instskip(NEXT) | instid1(VALU_DEP_1)
	v_lshrrev_b32_e32 v9, 22, v9
	v_add_nc_u32_e32 v9, v20, v9
	s_delay_alu instid0(VALU_DEP_1) | instskip(NEXT) | instid1(VALU_DEP_1)
	v_ashrrev_i32_e32 v23, 10, v9
	v_sub_nc_u32_e32 v22, v23, v8
	s_delay_alu instid0(VALU_DEP_1)
	v_cmpx_lt_i32_e32 0, v22
	s_cbranch_execz .LBB6_17508
; %bb.17504:                            ;   in Loop: Header=BB6_17399 Depth=3
	s_cbranch_execnz .LBB6_18405
; %bb.17505:                            ;   in Loop: Header=BB6_17399 Depth=3
	v_ashrrev_i32_e32 v9, 31, v21
	v_lshlrev_b32_e32 v8, 10, v8
	s_mov_b32 s16, 0
	ds_load_b128 v[36:39], v0
	v_lshrrev_b32_e32 v9, 27, v9
	s_delay_alu instid0(VALU_DEP_1) | instskip(SKIP_2) | instid1(VALU_DEP_1)
	v_add_nc_u32_e32 v11, v21, v9
	ds_load_b64 v[9:10], v0
	v_and_b32_e32 v11, 0xffffffe0, v11
	v_sub_nc_u32_e32 v11, v21, v11
	s_delay_alu instid0(VALU_DEP_1) | instskip(NEXT) | instid1(VALU_DEP_1)
	v_add3_u32 v13, v2, v11, v8
	v_ashrrev_i32_e32 v14, 31, v13
	s_waitcnt lgkmcnt(0)
	v_add_co_u32 v26, vcc_lo, 0x3e0, v9
	v_add_co_ci_u32_e32 v27, vcc_lo, 0, v10, vcc_lo
	v_add_co_u32 v8, vcc_lo, v36, v13
	v_add_co_ci_u32_e32 v9, vcc_lo, v37, v14, vcc_lo
	;; [unrolled: 2-line block ×4, first 2 shown]
.LBB6_17506:                            ;   Parent Loop BB6_51 Depth=1
                                        ;     Parent Loop BB6_17397 Depth=2
                                        ;       Parent Loop BB6_17399 Depth=3
                                        ; =>      This Inner Loop Header: Depth=4
	s_delay_alu instid0(VALU_DEP_2) | instskip(NEXT) | instid1(VALU_DEP_2)
	v_add_co_u32 v26, vcc_lo, 0xfffffc20, v13
	v_add_co_ci_u32_e32 v27, vcc_lo, -1, v14, vcc_lo
	v_add_co_u32 v36, vcc_lo, 0xfffffc40, v13
	v_add_co_ci_u32_e32 v37, vcc_lo, -1, v14, vcc_lo
	;; [unrolled: 2-line block ×31, first 2 shown]
	flat_load_u8 v50, v[13:14] slc dlc
	flat_load_u8 v26, v[26:27] slc dlc
	;; [unrolled: 1-line block ×32, first 2 shown]
	v_dual_mov_b32 v102, v175 :: v_dual_mov_b32 v103, v184
	v_sub_nc_u32_e32 v22, v22, v176
	s_waitcnt vmcnt(30) lgkmcnt(30)
	flat_store_b8 v[8:9], v26 glc slc dlc
	s_waitcnt vmcnt(29) lgkmcnt(30)
	flat_store_b8 v[8:9], v27 offset:32 glc slc dlc
	s_waitcnt vmcnt(28) lgkmcnt(30)
	flat_store_b8 v[8:9], v36 offset:64 glc slc dlc
	;; [unrolled: 2-line block ×29, first 2 shown]
	s_waitcnt vmcnt(0) lgkmcnt(30)
	s_clause 0x1
	flat_store_b8 v[8:9], v101 offset:960 glc slc dlc
	flat_store_b8 v[8:9], v50 offset:992 glc slc dlc
	s_clause 0x1f
	flat_store_b8 v[10:11], v26 glc slc dlc
	flat_store_b8 v[10:11], v27 offset:32 glc slc dlc
	flat_store_b8 v[10:11], v36 offset:64 glc slc dlc
	;; [unrolled: 1-line block ×31, first 2 shown]
	v_add_co_u32 v13, vcc_lo, v13, v102
	v_add_co_u32 v8, s13, v8, v102
	v_add_co_ci_u32_e32 v14, vcc_lo, v14, v103, vcc_lo
	v_add_co_ci_u32_e64 v9, s13, v9, v103, s13
	v_cmp_gt_i32_e32 vcc_lo, 1, v22
	v_add_co_u32 v10, s13, v10, v102
	s_delay_alu instid0(VALU_DEP_1) | instskip(SKIP_1) | instid1(SALU_CYCLE_1)
	v_add_co_ci_u32_e64 v11, s13, v11, v103, s13
	s_or_b32 s16, vcc_lo, s16
	s_and_not1_b32 exec_lo, exec_lo, s16
	s_cbranch_execnz .LBB6_17506
; %bb.17507:                            ;   in Loop: Header=BB6_17399 Depth=3
	s_or_b32 exec_lo, exec_lo, s16
.LBB6_17508:                            ;   in Loop: Header=BB6_17399 Depth=3
	s_delay_alu instid0(SALU_CYCLE_1) | instskip(SKIP_2) | instid1(VALU_DEP_1)
	s_or_b32 exec_lo, exec_lo, s14
	v_lshlrev_b32_e32 v8, 10, v23
	s_mov_b32 s40, exec_lo
	v_cmpx_ne_u32_e64 v20, v8
	s_cbranch_execz .LBB6_17515
; %bb.17509:                            ;   in Loop: Header=BB6_17399 Depth=3
	v_ashrrev_i32_e32 v9, 31, v21
	v_lshlrev_b32_e32 v10, 5, v22
	s_delay_alu instid0(VALU_DEP_2) | instskip(NEXT) | instid1(VALU_DEP_1)
	v_lshrrev_b32_e32 v9, 27, v9
	v_add_nc_u32_e32 v9, v21, v9
	s_delay_alu instid0(VALU_DEP_1) | instskip(NEXT) | instid1(VALU_DEP_1)
	v_and_b32_e32 v9, 0xffffffe0, v9
	v_sub_nc_u32_e32 v9, v21, v9
	s_delay_alu instid0(VALU_DEP_1) | instskip(NEXT) | instid1(VALU_DEP_1)
	v_sub_nc_u32_e32 v9, v9, v10
	v_add_nc_u32_e32 v8, v8, v9
	s_delay_alu instid0(VALU_DEP_1) | instskip(NEXT) | instid1(VALU_DEP_1)
	v_sub_nc_u32_e32 v10, v20, v8
	v_cmp_lt_i32_e32 vcc_lo, 0, v10
	s_and_b32 exec_lo, exec_lo, vcc_lo
	s_cbranch_execz .LBB6_17515
; %bb.17510:                            ;   in Loop: Header=BB6_17399 Depth=3
	s_cbranch_execnz .LBB6_18445
; %bb.17511:                            ;   in Loop: Header=BB6_17399 Depth=3
	ds_load_b64 v[13:14], v0
	ds_load_b128 v[20:23], v0
	v_add_nc_u32_e32 v26, v8, v2
	s_mov_b32 s41, 0
	s_delay_alu instid0(VALU_DEP_1) | instskip(SKIP_2) | instid1(VALU_DEP_2)
	v_ashrrev_i32_e32 v27, 31, v26
	s_waitcnt lgkmcnt(1)
	v_add_co_u32 v8, vcc_lo, v13, v26
	v_add_co_ci_u32_e32 v9, vcc_lo, v14, v27, vcc_lo
	s_waitcnt lgkmcnt(0)
	v_add_co_u32 v2, vcc_lo, v20, v26
	v_add_co_ci_u32_e32 v11, vcc_lo, v21, v27, vcc_lo
	v_add_co_u32 v13, vcc_lo, v22, v26
	v_add_co_ci_u32_e32 v14, vcc_lo, v23, v27, vcc_lo
	s_set_inst_prefetch_distance 0x1
.LBB6_17512:                            ;   Parent Loop BB6_51 Depth=1
                                        ;     Parent Loop BB6_17397 Depth=2
                                        ;       Parent Loop BB6_17399 Depth=3
                                        ; =>      This Loop Header: Depth=4
                                        ;           Child Loop BB6_17513 Depth 5
	flat_load_u8 v20, v[8:9] slc dlc
	s_mov_b64 s[16:17], 0
	s_mov_b32 s42, -1
.LBB6_17513:                            ;   Parent Loop BB6_51 Depth=1
                                        ;     Parent Loop BB6_17397 Depth=2
                                        ;       Parent Loop BB6_17399 Depth=3
                                        ;         Parent Loop BB6_17512 Depth=4
                                        ; =>        This Inner Loop Header: Depth=5
	s_cmp_eq_u32 s16, 1
	s_cselect_b32 vcc_lo, -1, 0
	s_cmp_eq_u32 s16, 0
	v_dual_cndmask_b32 v22, v11, v14 :: v_dual_cndmask_b32 v21, v2, v13
	s_mov_b64 s[16:17], 1
	s_delay_alu instid0(VALU_DEP_1) | instskip(NEXT) | instid1(VALU_DEP_1)
	v_add_co_u32 v23, s13, v21, 32
	v_add_co_ci_u32_e64 v26, s13, 0, v22, s13
	s_cselect_b32 s13, -1, 0
	s_and_b32 s14, exec_lo, s42
	s_delay_alu instid0(VALU_DEP_1)
	v_dual_cndmask_b32 v13, v13, v23 :: v_dual_cndmask_b32 v14, v14, v26
	v_cndmask_b32_e64 v11, v11, v26, s13
	v_cndmask_b32_e64 v2, v2, v23, s13
	s_mov_b32 s42, 0
	s_mov_b32 vcc_lo, s14
	s_waitcnt vmcnt(0) lgkmcnt(0)
	flat_store_b8 v[21:22], v20 glc slc dlc
	s_cbranch_vccnz .LBB6_17513
; %bb.17514:                            ;   in Loop: Header=BB6_17512 Depth=4
	v_dual_mov_b32 v20, v174 :: v_dual_mov_b32 v21, v185
	v_sub_nc_u32_e32 v10, v10, v171
	v_add_co_u32 v8, s13, v186, v8
	s_delay_alu instid0(VALU_DEP_3) | instskip(NEXT) | instid1(VALU_DEP_4)
	v_add_co_u32 v2, vcc_lo, v2, v20
	v_add_co_ci_u32_e32 v11, vcc_lo, v11, v21, vcc_lo
	v_add_co_u32 v13, vcc_lo, v13, v20
	v_add_co_ci_u32_e32 v14, vcc_lo, v14, v21, vcc_lo
	v_cmp_gt_i32_e32 vcc_lo, 1, v10
	v_add_co_ci_u32_e64 v9, s13, v187, v9, s13
	s_or_b32 s41, vcc_lo, s41
	s_delay_alu instid0(SALU_CYCLE_1)
	s_and_not1_b32 exec_lo, exec_lo, s41
	s_cbranch_execnz .LBB6_17512
.LBB6_17515:                            ;   in Loop: Header=BB6_17399 Depth=3
	s_set_inst_prefetch_distance 0x2
	s_or_b32 exec_lo, exec_lo, s40
.LBB6_17516:                            ;   in Loop: Header=BB6_17399 Depth=3
	s_delay_alu instid0(SALU_CYCLE_1)
	s_or_b32 exec_lo, exec_lo, s15
	s_mov_b32 s13, 0
	s_branch .LBB6_17518
.LBB6_17517:                            ;   in Loop: Header=BB6_17399 Depth=3
	s_mov_b32 s13, -1
.LBB6_17518:                            ;   in Loop: Header=BB6_17399 Depth=3
	s_delay_alu instid0(SALU_CYCLE_1)
	s_and_b32 vcc_lo, exec_lo, s13
	s_cbranch_vccz .LBB6_17552
; %bb.17519:                            ;   in Loop: Header=BB6_17399 Depth=3
	s_mov_b32 s13, -1
	s_and_saveexec_b32 s14, s10
	s_cbranch_execz .LBB6_17521
; %bb.17520:                            ;   in Loop: Header=BB6_17399 Depth=3
	ds_load_b32 v2, v0 offset:720
	s_waitcnt lgkmcnt(0)
	v_and_b32_e32 v2, 15, v2
	s_delay_alu instid0(VALU_DEP_1)
	v_cmp_eq_u32_e32 vcc_lo, 0, v2
	s_or_not1_b32 s13, vcc_lo, exec_lo
.LBB6_17521:                            ;   in Loop: Header=BB6_17399 Depth=3
	s_or_b32 exec_lo, exec_lo, s14
	s_and_saveexec_b32 s14, vcc_hi
	s_cbranch_execz .LBB6_17523
; %bb.17522:                            ;   in Loop: Header=BB6_17399 Depth=3
	ds_load_b32 v2, v0 offset:784
	s_waitcnt lgkmcnt(0)
	v_and_b32_e32 v2, 15, v2
	s_delay_alu instid0(VALU_DEP_1) | instskip(SKIP_3) | instid1(SALU_CYCLE_1)
	v_cmp_eq_u32_e32 vcc_lo, 0, v2
	s_and_b32 s15, s13, vcc_lo
	s_and_not1_b32 s13, s13, exec_lo
	s_and_b32 s15, s15, exec_lo
	s_or_b32 s13, s13, s15
.LBB6_17523:                            ;   in Loop: Header=BB6_17399 Depth=3
	s_or_b32 exec_lo, exec_lo, s14
	s_xor_b32 s13, s13, -1
	v_mov_b32_e32 v14, v0
	v_cndmask_b32_e64 v2, 0, 1, s13
	;;#ASMSTART
	;;#ASMEND
	s_delay_alu instid0(VALU_DEP_1)
	v_cmp_ne_u32_e32 vcc_lo, 0, v2
	v_dual_mov_b32 v2, 0 :: v_dual_mov_b32 v13, v19
	v_mov_b32_e32 v22, v156
	s_mov_b32 s13, -1
	s_cbranch_vccnz .LBB6_17539
; %bb.17524:                            ;   in Loop: Header=BB6_17399 Depth=3
	v_ashrrev_i32_e32 v2, 31, v19
	s_mov_b32 s13, exec_lo
	s_delay_alu instid0(VALU_DEP_1) | instskip(NEXT) | instid1(VALU_DEP_1)
	v_lshrrev_b32_e32 v2, 20, v2
	v_add_nc_u32_e32 v2, v19, v2
	s_delay_alu instid0(VALU_DEP_1) | instskip(NEXT) | instid1(VALU_DEP_1)
	v_ashrrev_i32_e32 v2, 12, v2
	v_sub_nc_u32_e32 v20, v2, v156
	s_delay_alu instid0(VALU_DEP_1)
	v_cmpx_lt_i32_e32 0, v20
	s_cbranch_execz .LBB6_17529
; %bb.17525:                            ;   in Loop: Header=BB6_17399 Depth=3
	s_cbranch_execnz .LBB6_18429
; %bb.17526:                            ;   in Loop: Header=BB6_17399 Depth=3
	ds_load_b64 v[8:9], v0
	s_mov_b32 s14, 0
	s_waitcnt lgkmcnt(0)
	v_dual_mov_b32 v11, v9 :: v_dual_mov_b32 v10, v8
.LBB6_17527:                            ;   Parent Loop BB6_51 Depth=1
                                        ;     Parent Loop BB6_17397 Depth=2
                                        ;       Parent Loop BB6_17399 Depth=3
                                        ; =>      This Inner Loop Header: Depth=4
	s_clause 0x1
	scratch_load_b32 v21, off, s33 offset:312
	scratch_load_b32 v22, off, s33 offset:316
	v_sub_nc_u32_e32 v20, v20, v176
	s_waitcnt vmcnt(1)
	v_add_co_u32 v13, vcc_lo, v21, v10
	s_waitcnt vmcnt(0)
	v_add_co_ci_u32_e32 v14, vcc_lo, v22, v11, vcc_lo
	s_clause 0x7
	global_load_b128 v[36:39], v[13:14], off slc dlc
	global_load_b128 v[52:55], v[13:14], off offset:512 slc dlc
	global_load_b128 v[68:71], v[13:14], off offset:1024 slc dlc
	;; [unrolled: 1-line block ×7, first 2 shown]
	v_add_co_u32 v13, vcc_lo, v21, v8
	v_mov_b32_e32 v21, v177
	v_add_co_ci_u32_e32 v14, vcc_lo, v22, v9, vcc_lo
	v_mov_b32_e32 v22, v178
	s_waitcnt vmcnt(7)
	global_store_b128 v[13:14], v[36:39], off glc slc dlc
	s_waitcnt vmcnt(6)
	global_store_b128 v[13:14], v[52:55], off offset:512 glc slc dlc
	s_waitcnt vmcnt(5)
	global_store_b128 v[13:14], v[68:71], off offset:1024 glc slc dlc
	s_waitcnt vmcnt(4)
	global_store_b128 v[13:14], v[80:83], off offset:1536 glc slc dlc
	s_waitcnt vmcnt(3)
	global_store_b128 v[13:14], v[84:87], off offset:2048 glc slc dlc
	s_waitcnt vmcnt(2)
	global_store_b128 v[13:14], v[96:99], off offset:2560 glc slc dlc
	s_waitcnt vmcnt(1)
	global_store_b128 v[13:14], v[100:103], off offset:3072 glc slc dlc
	s_waitcnt vmcnt(0)
	global_store_b128 v[13:14], v[112:115], off offset:3584 glc slc dlc
	v_add_co_u32 v10, vcc_lo, v10, v21
	v_add_co_ci_u32_e32 v11, vcc_lo, v11, v22, vcc_lo
	v_add_co_u32 v8, vcc_lo, v8, v21
	v_add_co_ci_u32_e32 v9, vcc_lo, v9, v22, vcc_lo
	v_cmp_gt_i32_e32 vcc_lo, 1, v20
	s_or_b32 s14, vcc_lo, s14
	s_delay_alu instid0(SALU_CYCLE_1)
	s_and_not1_b32 exec_lo, exec_lo, s14
	s_cbranch_execnz .LBB6_17527
; %bb.17528:                            ;   in Loop: Header=BB6_17399 Depth=3
	s_or_b32 exec_lo, exec_lo, s14
.LBB6_17529:                            ;   in Loop: Header=BB6_17399 Depth=3
	s_delay_alu instid0(SALU_CYCLE_1) | instskip(SKIP_4) | instid1(VALU_DEP_2)
	s_or_b32 exec_lo, exec_lo, s13
	v_lshlrev_b32_e32 v10, 12, v2
	v_mov_b32_e32 v2, 0
	s_mov_b32 s13, 0
	s_mov_b32 s15, exec_lo
                                        ; implicit-def: $vgpr13
                                        ; implicit-def: $vgpr14
                                        ; implicit-def: $vgpr22
	v_cmpx_ne_u32_e64 v19, v10
	s_cbranch_execz .LBB6_17538
; %bb.17530:                            ;   in Loop: Header=BB6_17399 Depth=3
	v_lshlrev_b32_e32 v2, 5, v20
	v_sub_nc_u32_e32 v9, v19, v10
	s_mov_b32 s16, exec_lo
	s_delay_alu instid0(VALU_DEP_2) | instskip(NEXT) | instid1(VALU_DEP_2)
	v_sub_nc_u32_e32 v2, v157, v2
	v_ashrrev_i32_e32 v11, 31, v9
	s_delay_alu instid0(VALU_DEP_2) | instskip(NEXT) | instid1(VALU_DEP_2)
	v_ashrrev_i32_e32 v8, 31, v2
	v_lshrrev_b32_e32 v11, 23, v11
	s_delay_alu instid0(VALU_DEP_2) | instskip(NEXT) | instid1(VALU_DEP_2)
	v_lshrrev_b32_e32 v8, 27, v8
	v_add_nc_u32_e32 v14, v9, v11
	s_delay_alu instid0(VALU_DEP_2) | instskip(NEXT) | instid1(VALU_DEP_2)
	v_add_nc_u32_e32 v8, v2, v8
	v_and_b32_e32 v11, 0xfffffe00, v14
	v_ashrrev_i32_e32 v14, 9, v14
	s_delay_alu instid0(VALU_DEP_3) | instskip(NEXT) | instid1(VALU_DEP_3)
	v_and_b32_e32 v13, 0xffffffe0, v8
	v_sub_nc_u32_e32 v21, v9, v11
	v_ashrrev_i32_e32 v8, 5, v8
	s_delay_alu instid0(VALU_DEP_3) | instskip(NEXT) | instid1(VALU_DEP_3)
	v_sub_nc_u32_e32 v20, v2, v13
	v_cmp_lt_i32_e32 vcc_lo, 15, v21
	s_delay_alu instid0(VALU_DEP_2) | instskip(SKIP_1) | instid1(VALU_DEP_2)
	v_lshlrev_b32_e32 v2, 4, v20
	v_add_co_ci_u32_e64 v14, s13, 0, v14, vcc_lo
	v_lshl_add_u32 v13, v8, 9, v2
	s_delay_alu instid0(VALU_DEP_2) | instskip(NEXT) | instid1(VALU_DEP_2)
	v_sub_nc_u32_e32 v23, v14, v8
	v_sub_nc_u32_e32 v2, v9, v13
	s_delay_alu instid0(VALU_DEP_1)
	v_cmpx_lt_i32_e32 15, v2
	s_cbranch_execz .LBB6_17535
; %bb.17531:                            ;   in Loop: Header=BB6_17399 Depth=3
	s_cbranch_execnz .LBB6_18459
; %bb.17532:                            ;   in Loop: Header=BB6_17399 Depth=3
	ds_load_b64 v[8:9], v0
	v_add_nc_u32_e32 v13, v13, v10
	s_mov_b32 s17, 0
	s_delay_alu instid0(VALU_DEP_1)
	v_ashrrev_i32_e32 v14, 31, v13
.LBB6_17533:                            ;   Parent Loop BB6_51 Depth=1
                                        ;     Parent Loop BB6_17397 Depth=2
                                        ;       Parent Loop BB6_17399 Depth=3
                                        ; =>      This Inner Loop Header: Depth=4
	s_waitcnt lgkmcnt(0)
	v_add_co_u32 v26, s13, v8, v13
	s_delay_alu instid0(VALU_DEP_1)
	v_add_co_ci_u32_e64 v27, s13, v9, v14, s13
	v_sub_nc_u32_e32 v2, v2, v158
	v_add_co_u32 v13, s14, v13, v172
	global_load_b128 v[36:39], v[26:27], off slc dlc
	v_sub_nc_u32_e32 v23, v23, v176
	v_cmp_gt_i32_e64 s13, 16, v2
	v_add_co_ci_u32_e64 v14, s14, v14, v173, s14
	s_delay_alu instid0(VALU_DEP_2)
	s_or_b32 s17, s13, s17
	s_waitcnt vmcnt(0)
	global_store_b128 v[26:27], v[36:39], off glc slc dlc
	s_and_not1_b32 exec_lo, exec_lo, s17
	s_cbranch_execnz .LBB6_17533
; %bb.17534:                            ;   in Loop: Header=BB6_17399 Depth=3
	s_or_b32 exec_lo, exec_lo, s17
.LBB6_17535:                            ;   in Loop: Header=BB6_17399 Depth=3
	s_delay_alu instid0(SALU_CYCLE_1) | instskip(SKIP_3) | instid1(VALU_DEP_1)
	s_or_b32 exec_lo, exec_lo, s16
	v_and_b32_e32 v8, 15, v19
	s_mov_b32 s14, 0
	s_mov_b32 s16, exec_lo
                                        ; implicit-def: $vgpr14
                                        ; implicit-def: $vgpr22
	v_dual_mov_b32 v2, 0 :: v_dual_cndmask_b32 v13, v21, v8
	s_delay_alu instid0(VALU_DEP_1)
	v_cmpx_ne_u32_e32 0, v13
; %bb.17536:                            ;   in Loop: Header=BB6_17399 Depth=3
	v_cmp_lt_i32_e64 s13, 0, v23
	v_sub_nc_u32_e32 v8, v21, v8
	s_mov_b32 s14, exec_lo
	s_delay_alu instid0(VALU_DEP_2) | instskip(NEXT) | instid1(VALU_DEP_1)
	v_cndmask_b32_e64 v2, 0, v176, s13
	v_sub_nc_u32_e32 v2, v2, v23
	s_delay_alu instid0(VALU_DEP_1) | instskip(NEXT) | instid1(VALU_DEP_1)
	v_lshl_add_u32 v14, v2, 5, v20
	v_ashrrev_i32_e32 v2, 31, v14
	s_delay_alu instid0(VALU_DEP_1) | instskip(NEXT) | instid1(VALU_DEP_1)
	v_lshrrev_b32_e32 v2, 27, v2
	v_dual_cndmask_b32 v8, 0, v8 :: v_dual_add_nc_u32 v9, v14, v2
	s_delay_alu instid0(VALU_DEP_1) | instskip(NEXT) | instid1(VALU_DEP_2)
	v_add3_u32 v2, v11, v10, v8
	v_ashrrev_i32_e32 v22, 5, v9
; %bb.17537:                            ;   in Loop: Header=BB6_17399 Depth=3
	s_or_b32 exec_lo, exec_lo, s16
	s_delay_alu instid0(SALU_CYCLE_1)
	s_and_b32 s13, s14, exec_lo
.LBB6_17538:                            ;   in Loop: Header=BB6_17399 Depth=3
	s_or_b32 exec_lo, exec_lo, s15
.LBB6_17539:                            ;   in Loop: Header=BB6_17399 Depth=3
	s_and_saveexec_b32 s14, s13
	s_cbranch_execz .LBB6_17551
; %bb.17540:                            ;   in Loop: Header=BB6_17399 Depth=3
	v_ashrrev_i32_e32 v8, 31, v13
	s_mov_b32 s13, exec_lo
	s_delay_alu instid0(VALU_DEP_1) | instskip(NEXT) | instid1(VALU_DEP_1)
	v_lshrrev_b32_e32 v8, 22, v8
	v_add_nc_u32_e32 v8, v13, v8
	s_delay_alu instid0(VALU_DEP_1) | instskip(NEXT) | instid1(VALU_DEP_1)
	v_ashrrev_i32_e32 v21, 10, v8
	v_sub_nc_u32_e32 v20, v21, v22
	s_delay_alu instid0(VALU_DEP_1)
	v_cmpx_lt_i32_e32 0, v20
	s_cbranch_execz .LBB6_17545
; %bb.17541:                            ;   in Loop: Header=BB6_17399 Depth=3
	s_cbranch_execnz .LBB6_18419
; %bb.17542:                            ;   in Loop: Header=BB6_17399 Depth=3
	v_ashrrev_i32_e32 v8, 31, v14
	s_mov_b32 s15, 0
	s_delay_alu instid0(VALU_DEP_1) | instskip(NEXT) | instid1(VALU_DEP_1)
	v_lshrrev_b32_e32 v8, 27, v8
	v_add_nc_u32_e32 v10, v14, v8
	ds_load_b64 v[8:9], v0
	v_lshlrev_b32_e32 v11, 10, v22
	v_and_b32_e32 v10, 0xffffffe0, v10
	s_delay_alu instid0(VALU_DEP_1) | instskip(NEXT) | instid1(VALU_DEP_1)
	v_sub_nc_u32_e32 v10, v14, v10
	v_add3_u32 v22, v2, v10, v11
	s_delay_alu instid0(VALU_DEP_1)
	v_ashrrev_i32_e32 v23, 31, v22
	s_waitcnt lgkmcnt(0)
	v_dual_mov_b32 v11, v9 :: v_dual_mov_b32 v10, v8
.LBB6_17543:                            ;   Parent Loop BB6_51 Depth=1
                                        ;     Parent Loop BB6_17397 Depth=2
                                        ;       Parent Loop BB6_17399 Depth=3
                                        ; =>      This Inner Loop Header: Depth=4
	s_delay_alu instid0(VALU_DEP_1) | instskip(NEXT) | instid1(VALU_DEP_2)
	v_add_co_u32 v26, vcc_lo, v22, v10
	v_add_co_ci_u32_e32 v27, vcc_lo, v23, v11, vcc_lo
	v_dual_mov_b32 v112, v175 :: v_dual_mov_b32 v113, v184
	v_sub_nc_u32_e32 v20, v20, v176
	s_clause 0x1f
	flat_load_u8 v36, v[26:27] slc dlc
	flat_load_u8 v37, v[26:27] offset:32 slc dlc
	flat_load_u8 v38, v[26:27] offset:64 slc dlc
	;; [unrolled: 1-line block ×31, first 2 shown]
	v_add_co_u32 v26, vcc_lo, v22, v8
	v_add_co_ci_u32_e32 v27, vcc_lo, v23, v9, vcc_lo
	v_add_co_u32 v10, vcc_lo, v10, v112
	v_add_co_ci_u32_e32 v11, vcc_lo, v11, v113, vcc_lo
	;; [unrolled: 2-line block ×3, first 2 shown]
	v_cmp_gt_i32_e32 vcc_lo, 1, v20
	s_waitcnt vmcnt(31) lgkmcnt(31)
	flat_store_b8 v[26:27], v36 glc slc dlc
	s_waitcnt vmcnt(30) lgkmcnt(31)
	flat_store_b8 v[26:27], v37 offset:32 glc slc dlc
	s_waitcnt vmcnt(29) lgkmcnt(31)
	flat_store_b8 v[26:27], v38 offset:64 glc slc dlc
	;; [unrolled: 2-line block ×31, first 2 shown]
	s_or_b32 s15, vcc_lo, s15
	s_delay_alu instid0(SALU_CYCLE_1)
	s_and_not1_b32 exec_lo, exec_lo, s15
	s_cbranch_execnz .LBB6_17543
; %bb.17544:                            ;   in Loop: Header=BB6_17399 Depth=3
	s_or_b32 exec_lo, exec_lo, s15
.LBB6_17545:                            ;   in Loop: Header=BB6_17399 Depth=3
	s_delay_alu instid0(SALU_CYCLE_1) | instskip(SKIP_2) | instid1(VALU_DEP_1)
	s_or_b32 exec_lo, exec_lo, s13
	v_lshlrev_b32_e32 v8, 10, v21
	s_mov_b32 s15, exec_lo
	v_cmpx_ne_u32_e64 v13, v8
	s_cbranch_execz .LBB6_17550
; %bb.17546:                            ;   in Loop: Header=BB6_17399 Depth=3
	v_ashrrev_i32_e32 v9, 31, v14
	v_lshlrev_b32_e32 v10, 5, v20
	s_delay_alu instid0(VALU_DEP_2) | instskip(NEXT) | instid1(VALU_DEP_1)
	v_lshrrev_b32_e32 v9, 27, v9
	v_add_nc_u32_e32 v9, v14, v9
	s_delay_alu instid0(VALU_DEP_1) | instskip(NEXT) | instid1(VALU_DEP_1)
	v_and_b32_e32 v9, 0xffffffe0, v9
	v_sub_nc_u32_e32 v9, v14, v9
	s_delay_alu instid0(VALU_DEP_1) | instskip(NEXT) | instid1(VALU_DEP_1)
	v_sub_nc_u32_e32 v9, v9, v10
	v_add_nc_u32_e32 v11, v8, v9
	s_delay_alu instid0(VALU_DEP_1) | instskip(NEXT) | instid1(VALU_DEP_1)
	v_sub_nc_u32_e32 v10, v13, v11
	v_cmp_lt_i32_e32 vcc_lo, 0, v10
	s_and_b32 exec_lo, exec_lo, vcc_lo
	s_cbranch_execz .LBB6_17550
; %bb.17547:                            ;   in Loop: Header=BB6_17399 Depth=3
	s_cbranch_execnz .LBB6_18455
; %bb.17548:                            ;   in Loop: Header=BB6_17399 Depth=3
	ds_load_b64 v[8:9], v0
	v_add_nc_u32_e32 v2, v11, v2
	s_mov_b32 s16, 0
	s_delay_alu instid0(VALU_DEP_1)
	v_ashrrev_i32_e32 v11, 31, v2
.LBB6_17549:                            ;   Parent Loop BB6_51 Depth=1
                                        ;     Parent Loop BB6_17397 Depth=2
                                        ;       Parent Loop BB6_17399 Depth=3
                                        ; =>      This Inner Loop Header: Depth=4
	s_waitcnt lgkmcnt(0)
	v_add_co_u32 v13, vcc_lo, v8, v2
	s_delay_alu instid0(VALU_DEP_2)
	v_add_co_ci_u32_e32 v14, vcc_lo, v9, v11, vcc_lo
	v_sub_nc_u32_e32 v10, v10, v171
	v_add_co_u32 v2, s13, v2, v186
	flat_load_u8 v20, v[13:14] slc dlc
	v_add_co_ci_u32_e64 v11, s13, v11, v187, s13
	v_cmp_gt_i32_e32 vcc_lo, 1, v10
	s_or_b32 s16, vcc_lo, s16
	s_waitcnt vmcnt(0) lgkmcnt(0)
	flat_store_b8 v[13:14], v20 glc slc dlc
	s_and_not1_b32 exec_lo, exec_lo, s16
	s_cbranch_execnz .LBB6_17549
.LBB6_17550:                            ;   in Loop: Header=BB6_17399 Depth=3
	s_or_b32 exec_lo, exec_lo, s15
.LBB6_17551:                            ;   in Loop: Header=BB6_17399 Depth=3
	s_delay_alu instid0(SALU_CYCLE_1)
	s_or_b32 exec_lo, exec_lo, s14
.LBB6_17552:                            ;   in Loop: Header=BB6_17399 Depth=3
	s_and_saveexec_b32 s13, s3
	s_cbranch_execz .LBB6_17574
; %bb.17553:                            ;   in Loop: Header=BB6_17399 Depth=3
	s_and_saveexec_b32 s14, s4
	s_delay_alu instid0(SALU_CYCLE_1)
	s_xor_b32 s14, exec_lo, s14
	s_cbranch_execz .LBB6_17571
; %bb.17554:                            ;   in Loop: Header=BB6_17399 Depth=3
	s_and_saveexec_b32 s15, s1
	s_cbranch_execz .LBB6_17570
; %bb.17555:                            ;   in Loop: Header=BB6_17399 Depth=3
	s_mov_b32 s17, exec_lo
	s_mov_b32 s16, exec_lo
	v_mbcnt_lo_u32_b32 v2, s17, 0
	s_waitcnt lgkmcnt(0)
	s_waitcnt_vscnt null, 0x0
	buffer_gl1_inv
	buffer_gl0_inv
	v_cmpx_eq_u32_e32 0, v2
	s_cbranch_execz .LBB6_17557
; %bb.17556:                            ;   in Loop: Header=BB6_17399 Depth=3
	s_bcnt1_i32_b32 s17, s17
	s_delay_alu instid0(SALU_CYCLE_1)
	v_mov_b32_e32 v2, s17
	ds_add_u64 v0, v[2:3]
	s_cbranch_execnz .LBB6_18397
.LBB6_17557:                            ;   in Loop: Header=BB6_17399 Depth=3
	s_or_b32 exec_lo, exec_lo, s16
	s_cbranch_execnz .LBB6_18375
; %bb.17558:                            ;   in Loop: Header=BB6_17399 Depth=3
	ds_load_b64 v[8:9], v0
	v_dual_mov_b32 v10, v154 :: v_dual_mov_b32 v11, v155
	s_mov_b32 s16, exec_lo
	s_delay_alu instid0(VALU_DEP_1) | instskip(NEXT) | instid1(VALU_DEP_2)
	v_add_co_u32 v10, vcc_lo, v10, v176
	v_add_co_ci_u32_e32 v11, vcc_lo, 0, v11, vcc_lo
	s_delay_alu instid0(VALU_DEP_1)
	v_dual_mov_b32 v155, v11 :: v_dual_mov_b32 v154, v10
	s_waitcnt lgkmcnt(0)
	v_cmpx_lt_u64_e64 v[8:9], v[10:11]
	s_cbranch_execz .LBB6_17569
; %bb.17559:                            ;   in Loop: Header=BB6_17399 Depth=3
	s_mov_b32 s17, 0
	s_mov_b32 s42, 0
                                        ; implicit-def: $sgpr40
                                        ; implicit-def: $sgpr41
	s_branch .LBB6_17561
.LBB6_17560:                            ;   in Loop: Header=BB6_17561 Depth=4
	s_or_b32 exec_lo, exec_lo, s44
	s_delay_alu instid0(SALU_CYCLE_1) | instskip(NEXT) | instid1(SALU_CYCLE_1)
	s_and_b32 vcc_lo, exec_lo, vcc_lo
	s_or_b32 s17, vcc_lo, s17
	s_and_not1_b32 vcc_lo, s40, exec_lo
	s_and_b32 s40, s41, exec_lo
	s_delay_alu instid0(SALU_CYCLE_1)
	s_or_b32 s40, vcc_lo, s40
	s_and_not1_b32 exec_lo, exec_lo, s17
	s_cbranch_execz .LBB6_17567
.LBB6_17561:                            ;   Parent Loop BB6_51 Depth=1
                                        ;     Parent Loop BB6_17397 Depth=2
                                        ;       Parent Loop BB6_17399 Depth=3
                                        ; =>      This Inner Loop Header: Depth=4
	s_add_i32 s42, s42, 1
                                        ; implicit-def: $sgpr44
	s_delay_alu instid0(SALU_CYCLE_1) | instskip(SKIP_1) | instid1(SALU_CYCLE_1)
	s_cmpk_lg_i32 s42, 0x2710
	s_cselect_b32 s43, -1, 0
	s_and_b32 vcc_lo, exec_lo, s43
	s_cbranch_vccz .LBB6_17565
.LBB6_17562:                            ;   in Loop: Header=BB6_17561 Depth=4
	s_and_not1_b32 s41, s41, exec_lo
	s_and_b32 s44, s44, exec_lo
	s_mov_b32 vcc_lo, -1
	s_or_b32 s41, s41, s44
	s_and_saveexec_b32 s44, s43
	s_cbranch_execz .LBB6_17560
; %bb.17563:                            ;   in Loop: Header=BB6_17561 Depth=4
	s_sleep 1
	s_cbranch_execnz .LBB6_18435
; %bb.17564:                            ;   in Loop: Header=BB6_17561 Depth=4
	ds_load_b64 v[8:9], v0
	s_and_not1_b32 s41, s41, exec_lo
	s_waitcnt lgkmcnt(0)
	v_cmp_ge_u64_e32 vcc_lo, v[8:9], v[154:155]
	s_or_not1_b32 vcc_lo, vcc_lo, exec_lo
	s_branch .LBB6_17560
.LBB6_17565:                            ;   in Loop: Header=BB6_17561 Depth=4
	s_cbranch_execnz .LBB6_18443
; %bb.17566:                            ;   in Loop: Header=BB6_17561 Depth=4
	ds_load_b64 v[8:9], v0
	s_and_not1_b32 s43, s43, exec_lo
	s_mov_b32 s42, 0
	s_mov_b32 s44, -1
	s_waitcnt lgkmcnt(0)
	flat_load_b32 v2, v[8:9] glc
	s_waitcnt vmcnt(0) lgkmcnt(0)
	buffer_gl1_inv
	buffer_gl0_inv
	v_cmp_eq_u32_e32 vcc_lo, 0, v2
	s_and_b32 vcc_lo, vcc_lo, exec_lo
	s_delay_alu instid0(SALU_CYCLE_1)
	s_or_b32 s43, s43, vcc_lo
	s_branch .LBB6_17562
.LBB6_17567:                            ;   in Loop: Header=BB6_17399 Depth=3
	s_or_b32 exec_lo, exec_lo, s17
	s_and_saveexec_b32 s17, s40
	s_delay_alu instid0(SALU_CYCLE_1)
	s_xor_b32 s17, exec_lo, s17
	s_cbranch_execz .LBB6_17569
; %bb.17568:                            ;   in Loop: Header=BB6_17399 Depth=3
	ds_store_b32 v0, v46
	s_cbranch_execnz .LBB6_18489
.LBB6_17569:                            ;   in Loop: Header=BB6_17399 Depth=3
	s_or_b32 exec_lo, exec_lo, s16
	;;#ASMSTART
	s_wakeup
	;;#ASMEND
.LBB6_17570:                            ;   in Loop: Header=BB6_17399 Depth=3
	s_or_b32 exec_lo, exec_lo, s15
.LBB6_17571:                            ;   in Loop: Header=BB6_17399 Depth=3
	s_and_not1_saveexec_b32 s14, s14
	s_cbranch_execz .LBB6_17573
; %bb.17572:                            ;   in Loop: Header=BB6_17399 Depth=3
	s_waitcnt lgkmcnt(0)
	s_waitcnt_vscnt null, 0x0
	buffer_gl1_inv
	buffer_gl0_inv
	s_barrier
.LBB6_17573:                            ;   in Loop: Header=BB6_17399 Depth=3
	s_or_b32 exec_lo, exec_lo, s14
.LBB6_17574:                            ;   in Loop: Header=BB6_17399 Depth=3
	s_delay_alu instid0(SALU_CYCLE_1) | instskip(SKIP_1) | instid1(SALU_CYCLE_1)
	s_or_b32 exec_lo, exec_lo, s13
                                        ; implicit-def: $vgpr2
	s_and_saveexec_b32 s13, s7
	s_xor_b32 s14, exec_lo, s13
	s_cbranch_execz .LBB6_17578
; %bb.17575:                            ;   in Loop: Header=BB6_17399 Depth=3
	v_and_b32_e32 v2, 16, v30
	v_cmp_lt_i32_e32 vcc_lo, 0, v19
	s_delay_alu instid0(VALU_DEP_2) | instskip(SKIP_1) | instid1(VALU_DEP_2)
	v_cmp_ne_u32_e64 s13, 0, v2
	v_and_b32_e32 v2, 16, v30
	s_and_b32 s15, s13, vcc_lo
	s_delay_alu instid0(SALU_CYCLE_1)
	s_and_saveexec_b32 s13, s15
	s_cbranch_execz .LBB6_17577
; %bb.17576:                            ;   in Loop: Header=BB6_17399 Depth=3
	v_mov_b32_e32 v2, 1
	s_waitcnt lgkmcnt(0)
	s_waitcnt_vscnt null, 0x0
	buffer_gl1_inv
	buffer_gl0_inv
.LBB6_17577:                            ;   in Loop: Header=BB6_17399 Depth=3
	s_or_b32 exec_lo, exec_lo, s13
.LBB6_17578:                            ;   in Loop: Header=BB6_17399 Depth=3
	s_and_not1_saveexec_b32 s13, s14
	s_cbranch_execz .LBB6_17600
; %bb.17579:                            ;   in Loop: Header=BB6_17399 Depth=3
	s_and_saveexec_b32 s14, s4
	s_delay_alu instid0(SALU_CYCLE_1)
	s_xor_b32 s14, exec_lo, s14
	s_cbranch_execz .LBB6_17597
; %bb.17580:                            ;   in Loop: Header=BB6_17399 Depth=3
	s_and_saveexec_b32 s15, s1
	s_cbranch_execz .LBB6_17596
; %bb.17581:                            ;   in Loop: Header=BB6_17399 Depth=3
	s_mov_b32 s17, exec_lo
	s_mov_b32 s16, exec_lo
	v_mbcnt_lo_u32_b32 v2, s17, 0
	;;#ASMSTART
	s_waitcnt lgkmcnt(0) vmcnt(0)
	;;#ASMEND
	s_delay_alu instid0(VALU_DEP_1)
	v_cmpx_eq_u32_e32 0, v2
	s_cbranch_execz .LBB6_17583
; %bb.17582:                            ;   in Loop: Header=BB6_17399 Depth=3
	s_bcnt1_i32_b32 s17, s17
	s_delay_alu instid0(SALU_CYCLE_1)
	v_mov_b32_e32 v2, s17
	ds_add_u64 v0, v[2:3]
	s_cbranch_execnz .LBB6_18401
.LBB6_17583:                            ;   in Loop: Header=BB6_17399 Depth=3
	s_or_b32 exec_lo, exec_lo, s16
	s_cbranch_execnz .LBB6_18379
; %bb.17584:                            ;   in Loop: Header=BB6_17399 Depth=3
	ds_load_b64 v[8:9], v0
	v_dual_mov_b32 v10, v154 :: v_dual_mov_b32 v11, v155
	s_mov_b32 s16, exec_lo
	s_delay_alu instid0(VALU_DEP_1) | instskip(NEXT) | instid1(VALU_DEP_2)
	v_add_co_u32 v10, vcc_lo, v10, v176
	v_add_co_ci_u32_e32 v11, vcc_lo, 0, v11, vcc_lo
	s_delay_alu instid0(VALU_DEP_1)
	v_dual_mov_b32 v155, v11 :: v_dual_mov_b32 v154, v10
	s_waitcnt lgkmcnt(0)
	v_cmpx_lt_u64_e64 v[8:9], v[10:11]
	s_cbranch_execz .LBB6_17595
; %bb.17585:                            ;   in Loop: Header=BB6_17399 Depth=3
	s_mov_b32 s17, 0
	s_mov_b32 s42, 0
                                        ; implicit-def: $sgpr40
                                        ; implicit-def: $sgpr41
	s_branch .LBB6_17587
.LBB6_17586:                            ;   in Loop: Header=BB6_17587 Depth=4
	s_or_b32 exec_lo, exec_lo, s44
	s_delay_alu instid0(SALU_CYCLE_1) | instskip(NEXT) | instid1(SALU_CYCLE_1)
	s_and_b32 vcc_lo, exec_lo, vcc_lo
	s_or_b32 s17, vcc_lo, s17
	s_and_not1_b32 vcc_lo, s40, exec_lo
	s_and_b32 s40, s41, exec_lo
	s_delay_alu instid0(SALU_CYCLE_1)
	s_or_b32 s40, vcc_lo, s40
	s_and_not1_b32 exec_lo, exec_lo, s17
	s_cbranch_execz .LBB6_17593
.LBB6_17587:                            ;   Parent Loop BB6_51 Depth=1
                                        ;     Parent Loop BB6_17397 Depth=2
                                        ;       Parent Loop BB6_17399 Depth=3
                                        ; =>      This Inner Loop Header: Depth=4
	s_add_i32 s42, s42, 1
                                        ; implicit-def: $sgpr44
	s_delay_alu instid0(SALU_CYCLE_1) | instskip(SKIP_1) | instid1(SALU_CYCLE_1)
	s_cmpk_lg_i32 s42, 0x2710
	s_cselect_b32 s43, -1, 0
	s_and_b32 vcc_lo, exec_lo, s43
	s_cbranch_vccnz .LBB6_17590
; %bb.17588:                            ;   in Loop: Header=BB6_17587 Depth=4
	s_cbranch_execnz .LBB6_18447
; %bb.17589:                            ;   in Loop: Header=BB6_17587 Depth=4
	ds_load_b64 v[8:9], v0
	s_and_not1_b32 s43, s43, exec_lo
	s_mov_b32 s42, 0
	s_mov_b32 s44, -1
	s_waitcnt lgkmcnt(0)
	s_waitcnt_vscnt null, 0x0
	flat_load_b32 v2, v[8:9] glc
	s_waitcnt vmcnt(0) lgkmcnt(0)
	buffer_gl1_inv
	buffer_gl0_inv
	v_cmp_eq_u32_e32 vcc_lo, 0, v2
	s_and_b32 vcc_lo, vcc_lo, exec_lo
	s_delay_alu instid0(SALU_CYCLE_1)
	s_or_b32 s43, s43, vcc_lo
.LBB6_17590:                            ;   in Loop: Header=BB6_17587 Depth=4
	s_and_not1_b32 s41, s41, exec_lo
	s_and_b32 s44, s44, exec_lo
	s_mov_b32 vcc_lo, -1
	s_or_b32 s41, s41, s44
	s_and_saveexec_b32 s44, s43
	s_cbranch_execz .LBB6_17586
; %bb.17591:                            ;   in Loop: Header=BB6_17587 Depth=4
	s_sleep 1
	s_cbranch_execnz .LBB6_18441
; %bb.17592:                            ;   in Loop: Header=BB6_17587 Depth=4
	ds_load_b64 v[8:9], v0
	s_and_not1_b32 s41, s41, exec_lo
	s_waitcnt lgkmcnt(0)
	v_cmp_ge_u64_e32 vcc_lo, v[8:9], v[154:155]
	s_or_not1_b32 vcc_lo, vcc_lo, exec_lo
	s_branch .LBB6_17586
.LBB6_17593:                            ;   in Loop: Header=BB6_17399 Depth=3
	s_or_b32 exec_lo, exec_lo, s17
	s_and_saveexec_b32 s17, s40
	s_delay_alu instid0(SALU_CYCLE_1)
	s_xor_b32 s17, exec_lo, s17
	s_cbranch_execz .LBB6_17595
; %bb.17594:                            ;   in Loop: Header=BB6_17399 Depth=3
	ds_store_b32 v0, v46
	s_cbranch_execnz .LBB6_18491
.LBB6_17595:                            ;   in Loop: Header=BB6_17399 Depth=3
	s_or_b32 exec_lo, exec_lo, s16
	;;#ASMSTART
	s_wakeup
	;;#ASMEND
.LBB6_17596:                            ;   in Loop: Header=BB6_17399 Depth=3
	s_or_b32 exec_lo, exec_lo, s15
.LBB6_17597:                            ;   in Loop: Header=BB6_17399 Depth=3
	s_and_not1_saveexec_b32 s14, s14
	s_cbranch_execz .LBB6_17599
; %bb.17598:                            ;   in Loop: Header=BB6_17399 Depth=3
	;;#ASMSTART
	s_waitcnt lgkmcnt(0) vmcnt(0)
	;;#ASMEND
	s_waitcnt lgkmcnt(0)
	s_waitcnt_vscnt null, 0x0
	s_barrier
.LBB6_17599:                            ;   in Loop: Header=BB6_17399 Depth=3
	s_or_b32 exec_lo, exec_lo, s14
	v_and_b32_e32 v2, 16, v30
.LBB6_17600:                            ;   in Loop: Header=BB6_17399 Depth=3
	s_or_b32 exec_lo, exec_lo, s13
	s_delay_alu instid0(VALU_DEP_1) | instskip(SKIP_1) | instid1(SALU_CYCLE_1)
	v_cmp_ne_u32_e32 vcc_lo, 0, v2
	s_xor_b32 s13, s11, -1
	s_and_b32 s14, vcc_lo, s13
	s_delay_alu instid0(SALU_CYCLE_1)
	s_and_saveexec_b32 s13, s14
	s_cbranch_execz .LBB6_17602
; %bb.17601:                            ;   in Loop: Header=BB6_17399 Depth=3
	s_waitcnt lgkmcnt(0)
	s_waitcnt_vscnt null, 0x0
	flat_store_b32 v[152:153], v46
.LBB6_17602:                            ;   in Loop: Header=BB6_17399 Depth=3
	s_or_b32 exec_lo, exec_lo, s13
	v_and_b32_e32 v2, 48, v30
	s_mov_b32 s13, exec_lo
	s_delay_alu instid0(VALU_DEP_1)
	v_cmpx_ne_u32_e32 0, v2
	s_cbranch_execz .LBB6_17604
; %bb.17603:                            ;   in Loop: Header=BB6_17399 Depth=3
	v_add_co_u32 v34, vcc_lo, v34, 2
	v_add_co_ci_u32_e32 v35, vcc_lo, 0, v35, vcc_lo
	s_waitcnt lgkmcnt(0)
	s_waitcnt_vscnt null, 0x0
	flat_store_b64 v[32:33], v[34:35]
.LBB6_17604:                            ;   in Loop: Header=BB6_17399 Depth=3
	s_or_b32 exec_lo, exec_lo, s13
	v_add_nc_u32_e32 v16, v12, v16
	s_xor_b32 s13, s38, -1
	v_mov_b32_e32 v2, s39
	s_mov_b32 s38, 0
	s_mov_b32 s39, 2
	v_cmp_ge_i32_e32 vcc_lo, v16, v15
	s_or_b32 s13, s13, vcc_lo
	s_delay_alu instid0(SALU_CYCLE_1) | instskip(NEXT) | instid1(SALU_CYCLE_1)
	s_and_b32 s13, exec_lo, s13
	s_or_b32 s37, s13, s37
	s_delay_alu instid0(SALU_CYCLE_1)
	s_and_not1_b32 exec_lo, exec_lo, s37
	s_cbranch_execnz .LBB6_17399
; %bb.17605:                            ;   in Loop: Header=BB6_17397 Depth=2
	s_or_b32 exec_lo, exec_lo, s37
.LBB6_17606:                            ;   in Loop: Header=BB6_17397 Depth=2
	s_delay_alu instid0(SALU_CYCLE_1) | instskip(NEXT) | instid1(SALU_CYCLE_1)
	s_or_b32 exec_lo, exec_lo, s36
	s_mov_b32 s14, exec_lo
	v_cmpx_gt_i32_e32 2, v2
	s_cbranch_execz .LBB6_17690
; %bb.17607:                            ;   in Loop: Header=BB6_17397 Depth=2
	v_cmp_eq_u32_e64 s13, 0, v2
	s_mov_b32 s15, 0
.LBB6_17608:                            ;   Parent Loop BB6_51 Depth=1
                                        ;     Parent Loop BB6_17397 Depth=2
                                        ; =>    This Loop Header: Depth=3
                                        ;         Child Loop BB6_17614 Depth 4
                                        ;         Child Loop BB6_17644 Depth 4
	;; [unrolled: 1-line block ×3, first 2 shown]
	v_and_b32_e32 v2, 12, v30
	s_mov_b32 s17, -1
	s_mov_b32 s16, exec_lo
	s_delay_alu instid0(VALU_DEP_1)
	v_cmpx_ne_u32_e32 0, v2
	s_cbranch_execz .LBB6_17622
; %bb.17609:                            ;   in Loop: Header=BB6_17608 Depth=3
	v_and_b32_e32 v2, 8, v30
	v_dual_mov_b32 v8, v166 :: v_dual_mov_b32 v9, v167
	s_delay_alu instid0(VALU_DEP_1) | instskip(NEXT) | instid1(VALU_DEP_2)
	v_add_co_u32 v10, vcc_lo, v8, v2
	v_add_co_ci_u32_e32 v11, vcc_lo, 0, v9, vcc_lo
	v_add_co_u32 v8, vcc_lo, v34, 2
	v_add_co_ci_u32_e32 v9, vcc_lo, 0, v35, vcc_lo
	s_delay_alu instid0(VALU_DEP_1)
	v_cmp_lt_u64_e32 vcc_lo, v[10:11], v[8:9]
	v_mov_b32_e32 v10, 1
	s_and_saveexec_b32 s17, vcc_lo
	s_cbranch_execz .LBB6_17621
; %bb.17610:                            ;   in Loop: Header=BB6_17608 Depth=3
	v_mov_b32_e32 v10, 0
	s_mov_b32 s36, 0
                                        ; implicit-def: $sgpr37
	s_branch .LBB6_17614
.LBB6_17611:                            ;   in Loop: Header=BB6_17614 Depth=4
	s_or_b32 exec_lo, exec_lo, s41
	v_mov_b32_e32 v11, 0
	s_or_not1_b32 s40, s40, exec_lo
.LBB6_17612:                            ;   in Loop: Header=BB6_17614 Depth=4
	s_or_b32 exec_lo, exec_lo, s39
	s_delay_alu instid0(VALU_DEP_1) | instskip(SKIP_2) | instid1(SALU_CYCLE_1)
	v_mov_b32_e32 v10, v11
	s_and_not1_b32 vcc_lo, s37, exec_lo
	s_and_b32 s37, s40, exec_lo
	s_or_b32 s37, vcc_lo, s37
.LBB6_17613:                            ;   in Loop: Header=BB6_17614 Depth=4
	s_or_b32 exec_lo, exec_lo, s38
	s_waitcnt vmcnt(0) lgkmcnt(0)
	v_dual_mov_b32 v13, v166 :: v_dual_mov_b32 v14, v167
	s_xor_b32 s38, s37, -1
	s_delay_alu instid0(VALU_DEP_1) | instskip(NEXT) | instid1(VALU_DEP_2)
	v_add_co_u32 v13, vcc_lo, v13, v2
	v_add_co_ci_u32_e32 v14, vcc_lo, 0, v14, vcc_lo
	s_delay_alu instid0(VALU_DEP_1) | instskip(SKIP_1) | instid1(SALU_CYCLE_1)
	v_cmp_ge_u64_e32 vcc_lo, v[13:14], v[8:9]
	s_or_b32 vcc_lo, s38, vcc_lo
	s_and_b32 vcc_lo, exec_lo, vcc_lo
	s_delay_alu instid0(SALU_CYCLE_1) | instskip(NEXT) | instid1(SALU_CYCLE_1)
	s_or_b32 s36, vcc_lo, s36
	s_and_not1_b32 exec_lo, exec_lo, s36
	s_cbranch_execz .LBB6_17620
.LBB6_17614:                            ;   Parent Loop BB6_51 Depth=1
                                        ;     Parent Loop BB6_17397 Depth=2
                                        ;       Parent Loop BB6_17608 Depth=3
                                        ; =>      This Inner Loop Header: Depth=4
	s_sleep 1
	flat_load_b64 v[166:167], v[32:33] glc
	v_and_b32_e32 v11, 64, v30
	s_and_not1_b32 s37, s37, exec_lo
	s_mov_b32 s38, exec_lo
	s_delay_alu instid0(VALU_DEP_1)
	v_cmpx_eq_u32_e32 0, v11
	s_cbranch_execz .LBB6_17613
; %bb.17615:                            ;   in Loop: Header=BB6_17614 Depth=4
	v_add_nc_u32_e32 v11, 1, v10
	s_mov_b32 s40, -1
	s_mov_b32 s39, exec_lo
	v_cmpx_lt_i32_e32 0x270e, v10
	s_cbranch_execz .LBB6_17612
; %bb.17616:                            ;   in Loop: Header=BB6_17614 Depth=4
	s_cbranch_execnz .LBB6_18135
; %bb.17617:                            ;   in Loop: Header=BB6_17614 Depth=4
	ds_load_b64 v[10:11], v0
	s_mov_b32 s41, exec_lo
	s_waitcnt vmcnt(0) lgkmcnt(0)
	s_waitcnt_vscnt null, 0x0
	flat_load_b32 v10, v[10:11] glc
	s_waitcnt vmcnt(0) lgkmcnt(0)
	buffer_gl1_inv
	buffer_gl0_inv
	v_cmpx_ne_u32_e32 0, v10
	s_cbranch_execz .LBB6_17611
; %bb.17618:                            ;   in Loop: Header=BB6_17614 Depth=4
	ds_store_b32 v0, v10
	s_cbranch_execnz .LBB6_18223
; %bb.17619:                            ;   in Loop: Header=BB6_17614 Depth=4
	v_or_b32_e32 v30, 64, v30
	s_xor_b32 s40, exec_lo, -1
	s_branch .LBB6_17611
.LBB6_17620:                            ;   in Loop: Header=BB6_17608 Depth=3
	s_or_b32 exec_lo, exec_lo, s36
	v_and_b32_e32 v10, 12, v30
.LBB6_17621:                            ;   in Loop: Header=BB6_17608 Depth=3
	s_or_b32 exec_lo, exec_lo, s17
	s_delay_alu instid0(VALU_DEP_1)
	v_cmp_eq_u32_e32 vcc_lo, 0, v10
	;;#ASMSTART
	s_wakeup
	;;#ASMEND
	s_or_not1_b32 s17, vcc_lo, exec_lo
.LBB6_17622:                            ;   in Loop: Header=BB6_17608 Depth=3
	s_or_b32 exec_lo, exec_lo, s16
	v_sub_nc_u32_e32 v2, v15, v16
	s_xor_b32 s13, s13, -1
	s_delay_alu instid0(SALU_CYCLE_1) | instskip(NEXT) | instid1(SALU_CYCLE_1)
	s_and_b32 s13, exec_lo, s13
	s_or_b32 s15, s13, s15
	s_delay_alu instid0(VALU_DEP_1) | instskip(SKIP_1) | instid1(SALU_CYCLE_1)
	v_min_i32_e32 v12, v12, v2
	s_xor_b32 s13, s17, -1
	s_and_saveexec_b32 s16, s13
	s_cbranch_execz .LBB6_17635
; %bb.17623:                            ;   in Loop: Header=BB6_17608 Depth=3
	v_and_b32_e32 v2, 0x108, v30
	s_delay_alu instid0(VALU_DEP_1) | instskip(SKIP_2) | instid1(SALU_CYCLE_1)
	v_cmp_ne_u32_e32 vcc_lo, 0x108, v2
	v_and_b32_e32 v2, 7, v34
	s_and_saveexec_b32 s13, vcc_lo
	s_xor_b32 s13, exec_lo, s13
	s_delay_alu instid0(SALU_CYCLE_1)
	s_and_not1_saveexec_b32 s13, s13
	s_cbranch_execz .LBB6_17625
; %bb.17624:                            ;   in Loop: Header=BB6_17608 Depth=3
	v_mad_u64_u32 v[8:9], null, v2, 24, v[6:7]
	v_ashrrev_i32_e32 v13, 31, v12
	flat_store_b64 v[8:9], v[12:13] offset:8
.LBB6_17625:                            ;   in Loop: Header=BB6_17608 Depth=3
	s_or_b32 exec_lo, exec_lo, s13
	v_and_b32_e32 v8, 0x100, v30
	s_mov_b32 s13, -1
	s_delay_alu instid0(VALU_DEP_1)
	v_cmp_ne_u32_e32 vcc_lo, 0, v8
                                        ; implicit-def: $vgpr8_vgpr9
	s_and_saveexec_b32 s17, vcc_lo
	s_cbranch_execnz .LBB6_17628
; %bb.17626:                            ;   in Loop: Header=BB6_17608 Depth=3
	s_or_b32 exec_lo, exec_lo, s17
	s_and_saveexec_b32 s17, s13
	s_cbranch_execnz .LBB6_17631
.LBB6_17627:                            ;   in Loop: Header=BB6_17608 Depth=3
	s_or_b32 exec_lo, exec_lo, s17
	s_cbranch_execnz .LBB6_18123
	s_branch .LBB6_17632
.LBB6_17628:                            ;   in Loop: Header=BB6_17608 Depth=3
	v_mad_u64_u32 v[10:11], null, v2, 24, v[6:7]
	s_delay_alu instid0(VALU_DEP_1) | instskip(NEXT) | instid1(VALU_DEP_1)
	v_mov_b32_e32 v8, v11
	v_mad_u64_u32 v[13:14], null, v3, 24, v[8:9]
	s_delay_alu instid0(VALU_DEP_1) | instskip(SKIP_4) | instid1(VALU_DEP_1)
	v_mov_b32_e32 v11, v13
	flat_load_b32 v8, v[10:11]
	s_waitcnt vmcnt(0) lgkmcnt(0)
	v_cmp_ne_u32_e32 vcc_lo, 1, v8
	v_cmp_eq_u32_e64 s13, 1, v8
                                        ; implicit-def: $vgpr8_vgpr9
	s_and_saveexec_b32 s36, s13
	s_cbranch_execz .LBB6_17630
; %bb.17629:                            ;   in Loop: Header=BB6_17608 Depth=3
	flat_load_b32 v8, v[10:11] offset:4 glc
	s_waitcnt vmcnt(0) lgkmcnt(0)
	v_ashrrev_i32_e32 v9, 31, v8
.LBB6_17630:                            ;   in Loop: Header=BB6_17608 Depth=3
	s_or_b32 exec_lo, exec_lo, s36
	s_delay_alu instid0(SALU_CYCLE_1)
	s_or_not1_b32 s13, vcc_lo, exec_lo
	s_or_b32 exec_lo, exec_lo, s17
	s_and_saveexec_b32 s17, s13
	s_cbranch_execz .LBB6_17627
.LBB6_17631:                            ;   in Loop: Header=BB6_17608 Depth=3
	v_mov_b32_e32 v13, v139
	v_mul_lo_u32 v11, v2, v143
	s_delay_alu instid0(VALU_DEP_2) | instskip(SKIP_1) | instid1(VALU_DEP_1)
	v_mul_lo_u32 v10, v3, v13
	v_mad_u64_u32 v[8:9], null, v2, v13, 0
	v_add3_u32 v9, v9, v11, v10
	s_or_b32 exec_lo, exec_lo, s17
	s_cbranch_execnz .LBB6_18123
.LBB6_17632:                            ;   in Loop: Header=BB6_17608 Depth=3
	v_mov_b32_e32 v10, v141
	v_dual_mov_b32 v11, v142 :: v_dual_and_b32 v2, 0x2000, v30
	s_mov_b32 s13, exec_lo
	s_delay_alu instid0(VALU_DEP_2) | instskip(NEXT) | instid1(VALU_DEP_2)
	v_add_co_u32 v8, vcc_lo, v10, v8
	v_add_co_ci_u32_e32 v9, vcc_lo, v11, v9, vcc_lo
	ds_store_b64 v0, v[8:9]
	v_cmpx_ne_u32_e32 0, v2
	s_cbranch_execz .LBB6_17634
; %bb.17633:                            ;   in Loop: Header=BB6_17608 Depth=3
	ds_load_b64 v[8:9], v0 offset:584
	s_waitcnt lgkmcnt(0)
	v_add_co_u32 v8, vcc_lo, v8, 1
	v_add_co_ci_u32_e32 v9, vcc_lo, 0, v9, vcc_lo
	ds_store_b64 v0, v[8:9] offset:584
.LBB6_17634:                            ;   in Loop: Header=BB6_17608 Depth=3
	s_or_b32 exec_lo, exec_lo, s13
	v_add_co_u32 v34, vcc_lo, v34, 2
	v_add_co_ci_u32_e32 v35, vcc_lo, 0, v35, vcc_lo
.LBB6_17635:                            ;   in Loop: Header=BB6_17608 Depth=3
	s_or_b32 exec_lo, exec_lo, s16
	s_and_saveexec_b32 s13, s3
	s_cbranch_execz .LBB6_17657
; %bb.17636:                            ;   in Loop: Header=BB6_17608 Depth=3
	s_and_saveexec_b32 s16, s4
	s_delay_alu instid0(SALU_CYCLE_1)
	s_xor_b32 s16, exec_lo, s16
	s_cbranch_execz .LBB6_17654
; %bb.17637:                            ;   in Loop: Header=BB6_17608 Depth=3
	s_and_saveexec_b32 s17, s1
	s_cbranch_execz .LBB6_17653
; %bb.17638:                            ;   in Loop: Header=BB6_17608 Depth=3
	s_mov_b32 s37, exec_lo
	s_mov_b32 s36, exec_lo
	v_mbcnt_lo_u32_b32 v2, s37, 0
	s_waitcnt lgkmcnt(0)
	s_waitcnt_vscnt null, 0x0
	buffer_gl1_inv
	buffer_gl0_inv
	v_cmpx_eq_u32_e32 0, v2
	s_cbranch_execz .LBB6_17640
; %bb.17639:                            ;   in Loop: Header=BB6_17608 Depth=3
	s_bcnt1_i32_b32 vcc_lo, s37
	s_delay_alu instid0(SALU_CYCLE_1)
	v_mov_b32_e32 v2, vcc_lo
	ds_add_u64 v0, v[2:3]
	s_cbranch_execnz .LBB6_18277
.LBB6_17640:                            ;   in Loop: Header=BB6_17608 Depth=3
	s_or_b32 exec_lo, exec_lo, s36
	s_cbranch_execnz .LBB6_18249
; %bb.17641:                            ;   in Loop: Header=BB6_17608 Depth=3
	ds_load_b64 v[8:9], v0
	v_dual_mov_b32 v10, v154 :: v_dual_mov_b32 v11, v155
	s_mov_b32 s36, exec_lo
	s_delay_alu instid0(VALU_DEP_1) | instskip(NEXT) | instid1(VALU_DEP_2)
	v_add_co_u32 v10, vcc_lo, v10, v176
	v_add_co_ci_u32_e32 v11, vcc_lo, 0, v11, vcc_lo
	s_delay_alu instid0(VALU_DEP_1)
	v_dual_mov_b32 v155, v11 :: v_dual_mov_b32 v154, v10
	s_waitcnt lgkmcnt(0)
	v_cmpx_lt_u64_e64 v[8:9], v[10:11]
	s_cbranch_execz .LBB6_17652
; %bb.17642:                            ;   in Loop: Header=BB6_17608 Depth=3
	s_mov_b32 s37, 0
	s_mov_b32 s40, 0
                                        ; implicit-def: $sgpr38
                                        ; implicit-def: $sgpr39
	s_branch .LBB6_17644
.LBB6_17643:                            ;   in Loop: Header=BB6_17644 Depth=4
	s_or_b32 exec_lo, exec_lo, s42
	s_delay_alu instid0(SALU_CYCLE_1) | instskip(NEXT) | instid1(SALU_CYCLE_1)
	s_and_b32 vcc_lo, exec_lo, vcc_lo
	s_or_b32 s37, vcc_lo, s37
	s_and_not1_b32 vcc_lo, s38, exec_lo
	s_and_b32 s38, s39, exec_lo
	s_delay_alu instid0(SALU_CYCLE_1)
	s_or_b32 s38, vcc_lo, s38
	s_and_not1_b32 exec_lo, exec_lo, s37
	s_cbranch_execz .LBB6_17650
.LBB6_17644:                            ;   Parent Loop BB6_51 Depth=1
                                        ;     Parent Loop BB6_17397 Depth=2
                                        ;       Parent Loop BB6_17608 Depth=3
                                        ; =>      This Inner Loop Header: Depth=4
	s_add_i32 s40, s40, 1
                                        ; implicit-def: $sgpr42
	s_delay_alu instid0(SALU_CYCLE_1) | instskip(SKIP_1) | instid1(SALU_CYCLE_1)
	s_cmpk_lg_i32 s40, 0x2710
	s_cselect_b32 s41, -1, 0
	s_and_b32 vcc_lo, exec_lo, s41
	s_cbranch_vccz .LBB6_17648
.LBB6_17645:                            ;   in Loop: Header=BB6_17644 Depth=4
	s_and_not1_b32 s39, s39, exec_lo
	s_and_b32 s42, s42, exec_lo
	s_mov_b32 vcc_lo, -1
	s_or_b32 s39, s39, s42
	s_and_saveexec_b32 s42, s41
	s_cbranch_execz .LBB6_17643
; %bb.17646:                            ;   in Loop: Header=BB6_17644 Depth=4
	s_sleep 1
	s_cbranch_execnz .LBB6_18331
; %bb.17647:                            ;   in Loop: Header=BB6_17644 Depth=4
	ds_load_b64 v[8:9], v0
	s_and_not1_b32 s39, s39, exec_lo
	s_waitcnt lgkmcnt(0)
	v_cmp_ge_u64_e32 vcc_lo, v[8:9], v[154:155]
	s_or_not1_b32 vcc_lo, vcc_lo, exec_lo
	s_branch .LBB6_17643
.LBB6_17648:                            ;   in Loop: Header=BB6_17644 Depth=4
	s_cbranch_execnz .LBB6_18351
; %bb.17649:                            ;   in Loop: Header=BB6_17644 Depth=4
	ds_load_b64 v[8:9], v0
	s_and_not1_b32 s41, s41, exec_lo
	s_mov_b32 s40, 0
	s_mov_b32 s42, -1
	s_waitcnt lgkmcnt(0)
	flat_load_b32 v2, v[8:9] glc
	s_waitcnt vmcnt(0) lgkmcnt(0)
	buffer_gl1_inv
	buffer_gl0_inv
	v_cmp_eq_u32_e32 vcc_lo, 0, v2
	s_and_b32 vcc_lo, vcc_lo, exec_lo
	s_delay_alu instid0(SALU_CYCLE_1)
	s_or_b32 s41, s41, vcc_lo
	s_branch .LBB6_17645
.LBB6_17650:                            ;   in Loop: Header=BB6_17608 Depth=3
	s_or_b32 exec_lo, exec_lo, s37
	s_and_saveexec_b32 vcc_lo, s38
	s_delay_alu instid0(SALU_CYCLE_1)
	s_xor_b32 vcc_lo, exec_lo, vcc_lo
	s_cbranch_execz .LBB6_17652
; %bb.17651:                            ;   in Loop: Header=BB6_17608 Depth=3
	ds_store_b32 v0, v46
	s_cbranch_execnz .LBB6_18471
.LBB6_17652:                            ;   in Loop: Header=BB6_17608 Depth=3
	s_or_b32 exec_lo, exec_lo, s36
	;;#ASMSTART
	s_wakeup
	;;#ASMEND
.LBB6_17653:                            ;   in Loop: Header=BB6_17608 Depth=3
	s_or_b32 exec_lo, exec_lo, s17
.LBB6_17654:                            ;   in Loop: Header=BB6_17608 Depth=3
	s_and_not1_saveexec_b32 s16, s16
	s_cbranch_execz .LBB6_17656
; %bb.17655:                            ;   in Loop: Header=BB6_17608 Depth=3
	s_waitcnt lgkmcnt(0)
	s_waitcnt_vscnt null, 0x0
	buffer_gl1_inv
	buffer_gl0_inv
	s_barrier
.LBB6_17656:                            ;   in Loop: Header=BB6_17608 Depth=3
	s_or_b32 exec_lo, exec_lo, s16
.LBB6_17657:                            ;   in Loop: Header=BB6_17608 Depth=3
	s_delay_alu instid0(SALU_CYCLE_1) | instskip(SKIP_1) | instid1(SALU_CYCLE_1)
	s_or_b32 exec_lo, exec_lo, s13
                                        ; implicit-def: $vgpr2
	s_and_saveexec_b32 s13, s7
	s_xor_b32 s16, exec_lo, s13
	s_cbranch_execz .LBB6_17662
; %bb.17658:                            ;   in Loop: Header=BB6_17608 Depth=3
	s_cbranch_execnz .LBB6_18155
; %bb.17659:                            ;   in Loop: Header=BB6_17608 Depth=3
	ds_load_b32 v2, v0
	v_cmp_lt_i32_e32 vcc_lo, 0, v12
	s_waitcnt lgkmcnt(0)
	v_readfirstlane_b32 s13, v2
	v_and_b32_e32 v2, 16, v30
	s_delay_alu instid0(VALU_DEP_2) | instskip(NEXT) | instid1(VALU_DEP_1)
	s_cmp_eq_u32 s13, 0
	v_cmp_ne_u32_e64 s13, 0, v2
	s_cselect_b32 s17, -1, 0
	v_and_b32_e32 v2, 16, v30
	s_and_b32 s17, vcc_lo, s17
	s_delay_alu instid0(VALU_DEP_2) | instid1(SALU_CYCLE_1)
	s_and_b32 s17, s13, s17
	s_delay_alu instid0(SALU_CYCLE_1)
	s_and_saveexec_b32 s13, s17
	s_cbranch_execz .LBB6_17661
; %bb.17660:                            ;   in Loop: Header=BB6_17608 Depth=3
	v_mov_b32_e32 v2, 1
	s_waitcnt_vscnt null, 0x0
	buffer_gl1_inv
	buffer_gl0_inv
.LBB6_17661:                            ;   in Loop: Header=BB6_17608 Depth=3
	s_or_b32 exec_lo, exec_lo, s13
.LBB6_17662:                            ;   in Loop: Header=BB6_17608 Depth=3
	s_and_not1_saveexec_b32 s13, s16
	s_cbranch_execz .LBB6_17684
; %bb.17663:                            ;   in Loop: Header=BB6_17608 Depth=3
	s_and_saveexec_b32 s16, s4
	s_delay_alu instid0(SALU_CYCLE_1)
	s_xor_b32 s16, exec_lo, s16
	s_cbranch_execz .LBB6_17681
; %bb.17664:                            ;   in Loop: Header=BB6_17608 Depth=3
	s_and_saveexec_b32 s17, s1
	s_cbranch_execz .LBB6_17680
; %bb.17665:                            ;   in Loop: Header=BB6_17608 Depth=3
	s_mov_b32 s37, exec_lo
	s_mov_b32 s36, exec_lo
	v_mbcnt_lo_u32_b32 v2, s37, 0
	;;#ASMSTART
	s_waitcnt lgkmcnt(0) vmcnt(0)
	;;#ASMEND
	s_delay_alu instid0(VALU_DEP_1)
	v_cmpx_eq_u32_e32 0, v2
	s_cbranch_execz .LBB6_17667
; %bb.17666:                            ;   in Loop: Header=BB6_17608 Depth=3
	s_bcnt1_i32_b32 vcc_lo, s37
	s_delay_alu instid0(SALU_CYCLE_1)
	v_mov_b32_e32 v2, vcc_lo
	ds_add_u64 v0, v[2:3]
	s_cbranch_execnz .LBB6_18301
.LBB6_17667:                            ;   in Loop: Header=BB6_17608 Depth=3
	s_or_b32 exec_lo, exec_lo, s36
	s_cbranch_execnz .LBB6_18275
; %bb.17668:                            ;   in Loop: Header=BB6_17608 Depth=3
	ds_load_b64 v[8:9], v0
	v_dual_mov_b32 v10, v154 :: v_dual_mov_b32 v11, v155
	s_mov_b32 s36, exec_lo
	s_delay_alu instid0(VALU_DEP_1) | instskip(NEXT) | instid1(VALU_DEP_2)
	v_add_co_u32 v10, vcc_lo, v10, v176
	v_add_co_ci_u32_e32 v11, vcc_lo, 0, v11, vcc_lo
	s_delay_alu instid0(VALU_DEP_1)
	v_dual_mov_b32 v155, v11 :: v_dual_mov_b32 v154, v10
	s_waitcnt lgkmcnt(0)
	v_cmpx_lt_u64_e64 v[8:9], v[10:11]
	s_cbranch_execz .LBB6_17679
; %bb.17669:                            ;   in Loop: Header=BB6_17608 Depth=3
	s_mov_b32 s37, 0
	s_mov_b32 s40, 0
                                        ; implicit-def: $sgpr38
                                        ; implicit-def: $sgpr39
	s_branch .LBB6_17671
.LBB6_17670:                            ;   in Loop: Header=BB6_17671 Depth=4
	s_or_b32 exec_lo, exec_lo, s42
	s_delay_alu instid0(SALU_CYCLE_1) | instskip(NEXT) | instid1(SALU_CYCLE_1)
	s_and_b32 vcc_lo, exec_lo, vcc_lo
	s_or_b32 s37, vcc_lo, s37
	s_and_not1_b32 vcc_lo, s38, exec_lo
	s_and_b32 s38, s39, exec_lo
	s_delay_alu instid0(SALU_CYCLE_1)
	s_or_b32 s38, vcc_lo, s38
	s_and_not1_b32 exec_lo, exec_lo, s37
	s_cbranch_execz .LBB6_17677
.LBB6_17671:                            ;   Parent Loop BB6_51 Depth=1
                                        ;     Parent Loop BB6_17397 Depth=2
                                        ;       Parent Loop BB6_17608 Depth=3
                                        ; =>      This Inner Loop Header: Depth=4
	s_add_i32 s40, s40, 1
                                        ; implicit-def: $sgpr42
	s_delay_alu instid0(SALU_CYCLE_1) | instskip(SKIP_1) | instid1(SALU_CYCLE_1)
	s_cmpk_lg_i32 s40, 0x2710
	s_cselect_b32 s41, -1, 0
	s_and_b32 vcc_lo, exec_lo, s41
	s_cbranch_vccz .LBB6_17675
.LBB6_17672:                            ;   in Loop: Header=BB6_17671 Depth=4
	s_and_not1_b32 s39, s39, exec_lo
	s_and_b32 s42, s42, exec_lo
	s_mov_b32 vcc_lo, -1
	s_or_b32 s39, s39, s42
	s_and_saveexec_b32 s42, s41
	s_cbranch_execz .LBB6_17670
; %bb.17673:                            ;   in Loop: Header=BB6_17671 Depth=4
	s_sleep 1
	s_cbranch_execnz .LBB6_18361
; %bb.17674:                            ;   in Loop: Header=BB6_17671 Depth=4
	ds_load_b64 v[8:9], v0
	s_and_not1_b32 s39, s39, exec_lo
	s_waitcnt lgkmcnt(0)
	v_cmp_ge_u64_e32 vcc_lo, v[8:9], v[154:155]
	s_or_not1_b32 vcc_lo, vcc_lo, exec_lo
	s_branch .LBB6_17670
.LBB6_17675:                            ;   in Loop: Header=BB6_17671 Depth=4
	s_cbranch_execnz .LBB6_18373
; %bb.17676:                            ;   in Loop: Header=BB6_17671 Depth=4
	ds_load_b64 v[8:9], v0
	s_and_not1_b32 s41, s41, exec_lo
	s_mov_b32 s40, 0
	s_mov_b32 s42, -1
	s_waitcnt lgkmcnt(0)
	s_waitcnt_vscnt null, 0x0
	flat_load_b32 v2, v[8:9] glc
	s_waitcnt vmcnt(0) lgkmcnt(0)
	buffer_gl1_inv
	buffer_gl0_inv
	v_cmp_eq_u32_e32 vcc_lo, 0, v2
	s_and_b32 vcc_lo, vcc_lo, exec_lo
	s_delay_alu instid0(SALU_CYCLE_1)
	s_or_b32 s41, s41, vcc_lo
	s_branch .LBB6_17672
.LBB6_17677:                            ;   in Loop: Header=BB6_17608 Depth=3
	s_or_b32 exec_lo, exec_lo, s37
	s_and_saveexec_b32 vcc_lo, s38
	s_delay_alu instid0(SALU_CYCLE_1)
	s_xor_b32 vcc_lo, exec_lo, vcc_lo
	s_cbranch_execz .LBB6_17679
; %bb.17678:                            ;   in Loop: Header=BB6_17608 Depth=3
	ds_store_b32 v0, v46
	s_cbranch_execnz .LBB6_18479
.LBB6_17679:                            ;   in Loop: Header=BB6_17608 Depth=3
	s_or_b32 exec_lo, exec_lo, s36
	;;#ASMSTART
	s_wakeup
	;;#ASMEND
.LBB6_17680:                            ;   in Loop: Header=BB6_17608 Depth=3
	s_or_b32 exec_lo, exec_lo, s17
.LBB6_17681:                            ;   in Loop: Header=BB6_17608 Depth=3
	s_and_not1_saveexec_b32 s16, s16
	s_cbranch_execz .LBB6_17683
; %bb.17682:                            ;   in Loop: Header=BB6_17608 Depth=3
	;;#ASMSTART
	s_waitcnt lgkmcnt(0) vmcnt(0)
	;;#ASMEND
	s_waitcnt lgkmcnt(0)
	s_waitcnt_vscnt null, 0x0
	s_barrier
.LBB6_17683:                            ;   in Loop: Header=BB6_17608 Depth=3
	s_or_b32 exec_lo, exec_lo, s16
	v_and_b32_e32 v2, 16, v30
.LBB6_17684:                            ;   in Loop: Header=BB6_17608 Depth=3
	s_or_b32 exec_lo, exec_lo, s13
	s_delay_alu instid0(VALU_DEP_1) | instskip(SKIP_1) | instid1(SALU_CYCLE_1)
	v_cmp_ne_u32_e32 vcc_lo, 0, v2
	s_xor_b32 s13, s11, -1
	s_and_b32 s16, vcc_lo, s13
	s_delay_alu instid0(SALU_CYCLE_1)
	s_and_saveexec_b32 s13, s16
	s_cbranch_execz .LBB6_17686
; %bb.17685:                            ;   in Loop: Header=BB6_17608 Depth=3
	s_waitcnt lgkmcnt(0)
	s_waitcnt_vscnt null, 0x0
	flat_store_b32 v[152:153], v46
.LBB6_17686:                            ;   in Loop: Header=BB6_17608 Depth=3
	s_or_b32 exec_lo, exec_lo, s13
	v_and_b32_e32 v2, 48, v30
	s_mov_b32 s13, exec_lo
	s_delay_alu instid0(VALU_DEP_1)
	v_cmpx_ne_u32_e32 0, v2
	s_cbranch_execz .LBB6_17688
; %bb.17687:                            ;   in Loop: Header=BB6_17608 Depth=3
	v_add_co_u32 v34, vcc_lo, v34, 2
	v_add_co_ci_u32_e32 v35, vcc_lo, 0, v35, vcc_lo
	s_waitcnt lgkmcnt(0)
	s_waitcnt_vscnt null, 0x0
	flat_store_b64 v[32:33], v[34:35]
.LBB6_17688:                            ;   in Loop: Header=BB6_17608 Depth=3
	s_or_b32 exec_lo, exec_lo, s13
	v_add_nc_u32_e32 v16, v12, v16
	s_mov_b32 s13, 0
	s_and_not1_b32 exec_lo, exec_lo, s15
	s_cbranch_execnz .LBB6_17608
; %bb.17689:                            ;   in Loop: Header=BB6_17397 Depth=2
	s_or_b32 exec_lo, exec_lo, s15
.LBB6_17690:                            ;   in Loop: Header=BB6_17397 Depth=2
	s_delay_alu instid0(SALU_CYCLE_1) | instskip(SKIP_2) | instid1(VALU_DEP_1)
	s_or_b32 exec_lo, exec_lo, s14
	v_readlane_b32 s14, v190, 3
	s_add_i32 s13, s31, 1
	s_cmp_eq_u32 s31, s14
	s_cbranch_scc0 .LBB6_17397
.LBB6_17691:                            ;   in Loop: Header=BB6_51 Depth=1
	s_mov_b32 s13, s12
	v_mul_lo_u32 v10, v64, s34
	v_mul_lo_u32 v2, v65, s13
	v_mad_u64_u32 v[8:9], null, v64, s13, 0
	v_mov_b32_e32 v14, 0
	s_mov_b32 s16, 0
	s_delay_alu instid0(VALU_DEP_2) | instskip(NEXT) | instid1(VALU_DEP_3)
	v_add3_u32 v9, v9, v10, v2
	v_sub_co_u32 v10, vcc_lo, v66, v8
	s_delay_alu instid0(VALU_DEP_2) | instskip(NEXT) | instid1(VALU_DEP_1)
	v_sub_co_ci_u32_e32 v11, vcc_lo, v67, v9, vcc_lo
	v_cmp_lt_i64_e32 vcc_lo, v[64:65], v[10:11]
	v_cndmask_b32_e32 v10, v10, v64, vcc_lo
	s_delay_alu instid0(VALU_DEP_1) | instskip(NEXT) | instid1(VALU_DEP_1)
	v_max_i32_e32 v12, 0, v10
	v_add_nc_u32_e32 v2, 31, v12
	s_delay_alu instid0(VALU_DEP_1) | instskip(NEXT) | instid1(VALU_DEP_1)
	v_lshrrev_b32_e32 v2, 1, v2
	v_and_b32_e32 v11, 0x3ffffff0, v2
	v_cmp_lt_i32_e32 vcc_lo, 0, v10
	v_mov_b32_e32 v2, 0
	s_delay_alu instid0(VALU_DEP_3) | instskip(SKIP_1) | instid1(SALU_CYCLE_1)
	v_max_i32_e32 v13, s28, v11
	s_and_b32 s13, s30, vcc_lo
	s_and_saveexec_b32 s15, s13
	s_cbranch_execz .LBB6_17852
; %bb.17692:                            ;   in Loop: Header=BB6_51 Depth=1
	v_add_co_u32 v15, vcc_lo, v8, v179
	v_add_co_ci_u32_e32 v16, vcc_lo, v9, v182, vcc_lo
	v_mov_b32_e32 v14, 0
	s_mov_b32 s31, 1
	s_mov_b32 s17, -1
.LBB6_17693:                            ;   Parent Loop BB6_51 Depth=1
                                        ; =>  This Loop Header: Depth=2
                                        ;       Child Loop BB6_17702 Depth 3
                                        ;       Child Loop BB6_17729 Depth 3
	;; [unrolled: 1-line block ×9, first 2 shown]
	s_and_saveexec_b32 s14, s0
	s_cbranch_execz .LBB6_17696
; %bb.17694:                            ;   in Loop: Header=BB6_17693 Depth=2
	s_cbranch_execnz .LBB6_18107
; %bb.17695:                            ;   in Loop: Header=BB6_17693 Depth=2
	ds_load_b128 v[8:11], v0
	v_ashrrev_i32_e32 v2, 31, v14
	s_waitcnt lgkmcnt(0)
	v_add_co_u32 v17, vcc_lo, v10, v15
	v_add_co_ci_u32_e32 v18, vcc_lo, v11, v16, vcc_lo
	v_add_co_u32 v8, vcc_lo, v8, v15
	v_add_co_ci_u32_e32 v9, vcc_lo, v9, v16, vcc_lo
	s_delay_alu instid0(VALU_DEP_4) | instskip(NEXT) | instid1(VALU_DEP_4)
	v_add_co_u32 v17, vcc_lo, v17, v14
	v_add_co_ci_u32_e32 v18, vcc_lo, v18, v2, vcc_lo
	v_cmp_ne_u64_e32 vcc_lo, 0, v[10:11]
	v_add_co_u32 v8, s13, v8, v14
	s_delay_alu instid0(VALU_DEP_1) | instskip(NEXT) | instid1(VALU_DEP_4)
	v_add_co_ci_u32_e64 v9, s13, v9, v2, s13
	v_dual_cndmask_b32 v11, 0, v18 :: v_dual_cndmask_b32 v10, 0, v17
	ds_store_b64 v0, v[8:9]
	ds_store_b64 v0, v[10:11]
.LBB6_17696:                            ;   in Loop: Header=BB6_17693 Depth=2
	s_or_b32 exec_lo, exec_lo, s14
	v_and_b32_e32 v2, 4, v30
	s_mov_b32 s14, -1
	s_mov_b32 s13, exec_lo
	s_delay_alu instid0(VALU_DEP_1)
	v_cmpx_ne_u32_e32 0, v2
	s_cbranch_execz .LBB6_17710
; %bb.17697:                            ;   in Loop: Header=BB6_17693 Depth=2
	v_add_co_u32 v8, vcc_lo, v34, 2
	v_add_co_ci_u32_e32 v9, vcc_lo, 0, v35, vcc_lo
	v_mov_b32_e32 v2, 1
	s_mov_b32 s14, exec_lo
	s_delay_alu instid0(VALU_DEP_2)
	v_cmpx_lt_u64_e64 v[166:167], v[8:9]
	s_cbranch_execz .LBB6_17709
; %bb.17698:                            ;   in Loop: Header=BB6_17693 Depth=2
	v_mov_b32_e32 v2, 0
	s_mov_b32 s36, 0
                                        ; implicit-def: $sgpr37
	s_branch .LBB6_17702
.LBB6_17699:                            ;   in Loop: Header=BB6_17702 Depth=3
	s_or_b32 exec_lo, exec_lo, s41
	v_mov_b32_e32 v10, 0
	s_or_not1_b32 s40, s40, exec_lo
.LBB6_17700:                            ;   in Loop: Header=BB6_17702 Depth=3
	s_or_b32 exec_lo, exec_lo, s39
	s_delay_alu instid0(VALU_DEP_1) | instskip(SKIP_2) | instid1(SALU_CYCLE_1)
	v_mov_b32_e32 v2, v10
	s_and_not1_b32 vcc_lo, s37, exec_lo
	s_and_b32 s37, s40, exec_lo
	s_or_b32 s37, vcc_lo, s37
.LBB6_17701:                            ;   in Loop: Header=BB6_17702 Depth=3
	s_or_b32 exec_lo, exec_lo, s38
	s_waitcnt vmcnt(0) lgkmcnt(0)
	v_cmp_ge_u64_e32 vcc_lo, v[166:167], v[8:9]
	s_xor_b32 s38, s37, -1
	s_delay_alu instid0(SALU_CYCLE_1) | instskip(NEXT) | instid1(SALU_CYCLE_1)
	s_or_b32 vcc_lo, s38, vcc_lo
	s_and_b32 vcc_lo, exec_lo, vcc_lo
	s_delay_alu instid0(SALU_CYCLE_1) | instskip(NEXT) | instid1(SALU_CYCLE_1)
	s_or_b32 s36, vcc_lo, s36
	s_and_not1_b32 exec_lo, exec_lo, s36
	s_cbranch_execz .LBB6_17708
.LBB6_17702:                            ;   Parent Loop BB6_51 Depth=1
                                        ;     Parent Loop BB6_17693 Depth=2
                                        ; =>    This Inner Loop Header: Depth=3
	s_sleep 1
	flat_load_b64 v[166:167], v[32:33] glc
	v_and_b32_e32 v10, 64, v30
	s_and_not1_b32 s37, s37, exec_lo
	s_mov_b32 s38, exec_lo
	s_delay_alu instid0(VALU_DEP_1)
	v_cmpx_eq_u32_e32 0, v10
	s_cbranch_execz .LBB6_17701
; %bb.17703:                            ;   in Loop: Header=BB6_17702 Depth=3
	v_add_nc_u32_e32 v10, 1, v2
	s_mov_b32 s40, -1
	s_mov_b32 s39, exec_lo
	v_cmpx_lt_i32_e32 0x270e, v2
	s_cbranch_execz .LBB6_17700
; %bb.17704:                            ;   in Loop: Header=BB6_17702 Depth=3
	s_cbranch_execnz .LBB6_18151
; %bb.17705:                            ;   in Loop: Header=BB6_17702 Depth=3
	ds_load_b64 v[10:11], v0
	s_mov_b32 s41, exec_lo
	s_waitcnt vmcnt(0) lgkmcnt(0)
	s_waitcnt_vscnt null, 0x0
	flat_load_b32 v2, v[10:11] glc
	s_waitcnt vmcnt(0) lgkmcnt(0)
	buffer_gl1_inv
	buffer_gl0_inv
	v_cmpx_ne_u32_e32 0, v2
	s_cbranch_execz .LBB6_17699
; %bb.17706:                            ;   in Loop: Header=BB6_17702 Depth=3
	ds_store_b32 v0, v2
	s_cbranch_execnz .LBB6_18233
; %bb.17707:                            ;   in Loop: Header=BB6_17702 Depth=3
	v_or_b32_e32 v30, 64, v30
	s_xor_b32 s40, exec_lo, -1
	s_branch .LBB6_17699
.LBB6_17708:                            ;   in Loop: Header=BB6_17693 Depth=2
	s_or_b32 exec_lo, exec_lo, s36
	v_and_b32_e32 v2, 4, v30
.LBB6_17709:                            ;   in Loop: Header=BB6_17693 Depth=2
	s_or_b32 exec_lo, exec_lo, s14
	s_delay_alu instid0(VALU_DEP_1)
	v_cmp_eq_u32_e32 vcc_lo, 0, v2
	;;#ASMSTART
	s_wakeup
	;;#ASMEND
	s_or_not1_b32 s14, vcc_lo, exec_lo
.LBB6_17710:                            ;   in Loop: Header=BB6_17693 Depth=2
	s_or_b32 exec_lo, exec_lo, s13
	s_xor_b32 s13, s14, -1
	s_delay_alu instid0(SALU_CYCLE_1)
	s_and_saveexec_b32 s14, s13
	s_cbranch_execz .LBB6_17720
; %bb.17711:                            ;   in Loop: Header=BB6_17693 Depth=2
	v_and_b32_e32 v2, 0x100, v30
	s_mov_b32 s13, -1
                                        ; implicit-def: $vgpr8_vgpr9
	s_delay_alu instid0(VALU_DEP_1)
	v_cmp_ne_u32_e32 vcc_lo, 0, v2
	v_and_b32_e32 v2, 7, v34
	s_and_saveexec_b32 s36, vcc_lo
	s_cbranch_execz .LBB6_17715
; %bb.17712:                            ;   in Loop: Header=BB6_17693 Depth=2
	s_delay_alu instid0(VALU_DEP_1) | instskip(SKIP_4) | instid1(VALU_DEP_1)
	v_mad_u64_u32 v[10:11], null, v2, 24, v[6:7]
	flat_load_b32 v8, v[10:11]
	s_waitcnt vmcnt(0) lgkmcnt(0)
	v_cmp_ne_u32_e32 vcc_lo, 1, v8
	v_cmp_eq_u32_e64 s13, 1, v8
                                        ; implicit-def: $vgpr8_vgpr9
	s_and_saveexec_b32 s37, s13
	s_cbranch_execz .LBB6_17714
; %bb.17713:                            ;   in Loop: Header=BB6_17693 Depth=2
	flat_load_b32 v8, v[10:11] offset:4 glc
	s_waitcnt vmcnt(0) lgkmcnt(0)
	v_ashrrev_i32_e32 v9, 31, v8
.LBB6_17714:                            ;   in Loop: Header=BB6_17693 Depth=2
	s_or_b32 exec_lo, exec_lo, s37
	s_delay_alu instid0(SALU_CYCLE_1)
	s_or_not1_b32 s13, vcc_lo, exec_lo
.LBB6_17715:                            ;   in Loop: Header=BB6_17693 Depth=2
	s_or_b32 exec_lo, exec_lo, s36
	s_and_saveexec_b32 vcc_lo, s13
; %bb.17716:                            ;   in Loop: Header=BB6_17693 Depth=2
	v_mad_i64_i32 v[8:9], null, v2, v139, 0
; %bb.17717:                            ;   in Loop: Header=BB6_17693 Depth=2
	s_or_b32 exec_lo, exec_lo, vcc_lo
	v_mov_b32_e32 v10, v141
	v_dual_mov_b32 v11, v142 :: v_dual_and_b32 v2, 0x2000, v30
	s_mov_b32 s13, exec_lo
	s_delay_alu instid0(VALU_DEP_2) | instskip(NEXT) | instid1(VALU_DEP_2)
	v_add_co_u32 v8, vcc_lo, v10, v8
	v_add_co_ci_u32_e32 v9, vcc_lo, v11, v9, vcc_lo
	ds_store_b64 v0, v[8:9] offset:720
	v_cmpx_ne_u32_e32 0, v2
	s_cbranch_execz .LBB6_17719
; %bb.17718:                            ;   in Loop: Header=BB6_17693 Depth=2
	ds_load_b64 v[8:9], v0 offset:584
	s_waitcnt lgkmcnt(0)
	v_add_co_u32 v8, vcc_lo, v8, 1
	v_add_co_ci_u32_e32 v9, vcc_lo, 0, v9, vcc_lo
	ds_store_b64 v0, v[8:9] offset:584
.LBB6_17719:                            ;   in Loop: Header=BB6_17693 Depth=2
	s_or_b32 exec_lo, exec_lo, s13
	v_add_co_u32 v34, vcc_lo, v34, 2
	v_add_co_ci_u32_e32 v35, vcc_lo, 0, v35, vcc_lo
.LBB6_17720:                            ;   in Loop: Header=BB6_17693 Depth=2
	s_or_b32 exec_lo, exec_lo, s14
	s_and_saveexec_b32 s13, s3
	s_cbranch_execz .LBB6_17742
; %bb.17721:                            ;   in Loop: Header=BB6_17693 Depth=2
	s_and_saveexec_b32 s14, s4
	s_delay_alu instid0(SALU_CYCLE_1)
	s_xor_b32 s14, exec_lo, s14
	s_cbranch_execz .LBB6_17739
; %bb.17722:                            ;   in Loop: Header=BB6_17693 Depth=2
	s_and_saveexec_b32 s36, s1
	s_cbranch_execz .LBB6_17738
; %bb.17723:                            ;   in Loop: Header=BB6_17693 Depth=2
	s_mov_b32 s38, exec_lo
	s_mov_b32 s37, exec_lo
	v_mbcnt_lo_u32_b32 v2, s38, 0
	s_waitcnt lgkmcnt(0)
	s_waitcnt_vscnt null, 0x0
	buffer_gl1_inv
	buffer_gl0_inv
	v_cmpx_eq_u32_e32 0, v2
	s_cbranch_execz .LBB6_17725
; %bb.17724:                            ;   in Loop: Header=BB6_17693 Depth=2
	s_bcnt1_i32_b32 vcc_lo, s38
	s_delay_alu instid0(SALU_CYCLE_1)
	v_mov_b32_e32 v2, vcc_lo
	ds_add_u64 v0, v[2:3]
	s_cbranch_execnz .LBB6_18269
.LBB6_17725:                            ;   in Loop: Header=BB6_17693 Depth=2
	s_or_b32 exec_lo, exec_lo, s37
	s_cbranch_execnz .LBB6_18243
; %bb.17726:                            ;   in Loop: Header=BB6_17693 Depth=2
	ds_load_b64 v[8:9], v0
	v_dual_mov_b32 v10, v154 :: v_dual_mov_b32 v11, v155
	s_mov_b32 s37, exec_lo
	s_delay_alu instid0(VALU_DEP_1) | instskip(NEXT) | instid1(VALU_DEP_2)
	v_add_co_u32 v10, vcc_lo, v10, v176
	v_add_co_ci_u32_e32 v11, vcc_lo, 0, v11, vcc_lo
	s_delay_alu instid0(VALU_DEP_1)
	v_dual_mov_b32 v155, v11 :: v_dual_mov_b32 v154, v10
	s_waitcnt lgkmcnt(0)
	v_cmpx_lt_u64_e64 v[8:9], v[10:11]
	s_cbranch_execz .LBB6_17737
; %bb.17727:                            ;   in Loop: Header=BB6_17693 Depth=2
	s_mov_b32 s38, 0
	s_mov_b32 s41, 0
                                        ; implicit-def: $sgpr39
                                        ; implicit-def: $sgpr40
	s_branch .LBB6_17729
.LBB6_17728:                            ;   in Loop: Header=BB6_17729 Depth=3
	s_or_b32 exec_lo, exec_lo, s43
	s_delay_alu instid0(SALU_CYCLE_1) | instskip(NEXT) | instid1(SALU_CYCLE_1)
	s_and_b32 vcc_lo, exec_lo, vcc_lo
	s_or_b32 s38, vcc_lo, s38
	s_and_not1_b32 vcc_lo, s39, exec_lo
	s_and_b32 s39, s40, exec_lo
	s_delay_alu instid0(SALU_CYCLE_1)
	s_or_b32 s39, vcc_lo, s39
	s_and_not1_b32 exec_lo, exec_lo, s38
	s_cbranch_execz .LBB6_17735
.LBB6_17729:                            ;   Parent Loop BB6_51 Depth=1
                                        ;     Parent Loop BB6_17693 Depth=2
                                        ; =>    This Inner Loop Header: Depth=3
	s_add_i32 s41, s41, 1
                                        ; implicit-def: $sgpr43
	s_delay_alu instid0(SALU_CYCLE_1) | instskip(SKIP_1) | instid1(SALU_CYCLE_1)
	s_cmpk_lg_i32 s41, 0x2710
	s_cselect_b32 s42, -1, 0
	s_and_b32 vcc_lo, exec_lo, s42
	s_cbranch_vccz .LBB6_17733
.LBB6_17730:                            ;   in Loop: Header=BB6_17729 Depth=3
	s_and_not1_b32 s40, s40, exec_lo
	s_and_b32 s43, s43, exec_lo
	s_mov_b32 vcc_lo, -1
	s_or_b32 s40, s40, s43
	s_and_saveexec_b32 s43, s42
	s_cbranch_execz .LBB6_17728
; %bb.17731:                            ;   in Loop: Header=BB6_17729 Depth=3
	s_sleep 1
	s_cbranch_execnz .LBB6_18323
; %bb.17732:                            ;   in Loop: Header=BB6_17729 Depth=3
	ds_load_b64 v[8:9], v0
	s_and_not1_b32 s40, s40, exec_lo
	s_waitcnt lgkmcnt(0)
	v_cmp_ge_u64_e32 vcc_lo, v[8:9], v[154:155]
	s_or_not1_b32 vcc_lo, vcc_lo, exec_lo
	s_branch .LBB6_17728
.LBB6_17733:                            ;   in Loop: Header=BB6_17729 Depth=3
	s_cbranch_execnz .LBB6_18343
; %bb.17734:                            ;   in Loop: Header=BB6_17729 Depth=3
	ds_load_b64 v[8:9], v0
	s_and_not1_b32 s42, s42, exec_lo
	s_mov_b32 s41, 0
	s_mov_b32 s43, -1
	s_waitcnt lgkmcnt(0)
	flat_load_b32 v2, v[8:9] glc
	s_waitcnt vmcnt(0) lgkmcnt(0)
	buffer_gl1_inv
	buffer_gl0_inv
	v_cmp_eq_u32_e32 vcc_lo, 0, v2
	s_and_b32 vcc_lo, vcc_lo, exec_lo
	s_delay_alu instid0(SALU_CYCLE_1)
	s_or_b32 s42, s42, vcc_lo
	s_branch .LBB6_17730
.LBB6_17735:                            ;   in Loop: Header=BB6_17693 Depth=2
	s_or_b32 exec_lo, exec_lo, s38
	s_and_saveexec_b32 vcc_lo, s39
	s_delay_alu instid0(SALU_CYCLE_1)
	s_xor_b32 vcc_lo, exec_lo, vcc_lo
	s_cbranch_execz .LBB6_17737
; %bb.17736:                            ;   in Loop: Header=BB6_17693 Depth=2
	ds_store_b32 v0, v46
	s_cbranch_execnz .LBB6_18467
.LBB6_17737:                            ;   in Loop: Header=BB6_17693 Depth=2
	s_or_b32 exec_lo, exec_lo, s37
	;;#ASMSTART
	s_wakeup
	;;#ASMEND
.LBB6_17738:                            ;   in Loop: Header=BB6_17693 Depth=2
	s_or_b32 exec_lo, exec_lo, s36
.LBB6_17739:                            ;   in Loop: Header=BB6_17693 Depth=2
	s_and_not1_saveexec_b32 s14, s14
	s_cbranch_execz .LBB6_17741
; %bb.17740:                            ;   in Loop: Header=BB6_17693 Depth=2
	s_waitcnt lgkmcnt(0)
	s_waitcnt_vscnt null, 0x0
	buffer_gl1_inv
	buffer_gl0_inv
	s_barrier
.LBB6_17741:                            ;   in Loop: Header=BB6_17693 Depth=2
	s_or_b32 exec_lo, exec_lo, s14
.LBB6_17742:                            ;   in Loop: Header=BB6_17693 Depth=2
	s_delay_alu instid0(SALU_CYCLE_1)
	s_or_b32 exec_lo, exec_lo, s13
	s_cbranch_execnz .LBB6_18103
; %bb.17743:                            ;   in Loop: Header=BB6_17693 Depth=2
	ds_load_b32 v8, v0
	v_and_b32_e32 v2, 0x4000, v30
	s_xor_b32 s13, s29, -1
	s_delay_alu instid0(VALU_DEP_1) | instskip(SKIP_1) | instid1(SALU_CYCLE_1)
	v_cmp_ne_u32_e32 vcc_lo, 0, v2
	s_and_b32 s14, s13, vcc_lo
	s_and_saveexec_b32 s13, s14
	s_cbranch_execz .LBB6_17765
; %bb.17744:                            ;   in Loop: Header=BB6_17693 Depth=2
	s_and_saveexec_b32 s14, s4
	s_delay_alu instid0(SALU_CYCLE_1)
	s_xor_b32 s14, exec_lo, s14
	s_cbranch_execz .LBB6_17762
; %bb.17745:                            ;   in Loop: Header=BB6_17693 Depth=2
	s_and_saveexec_b32 s36, s1
	s_cbranch_execz .LBB6_17761
; %bb.17746:                            ;   in Loop: Header=BB6_17693 Depth=2
	s_mov_b32 s38, exec_lo
	s_mov_b32 s37, exec_lo
	v_mbcnt_lo_u32_b32 v2, s38, 0
	s_waitcnt lgkmcnt(0)
	s_waitcnt_vscnt null, 0x0
	buffer_gl1_inv
	buffer_gl0_inv
	v_cmpx_eq_u32_e32 0, v2
	s_cbranch_execz .LBB6_17748
; %bb.17747:                            ;   in Loop: Header=BB6_17693 Depth=2
	s_bcnt1_i32_b32 vcc_lo, s38
	s_delay_alu instid0(SALU_CYCLE_1)
	v_mov_b32_e32 v2, vcc_lo
	ds_add_u64 v0, v[2:3]
	s_cbranch_execnz .LBB6_18315
.LBB6_17748:                            ;   in Loop: Header=BB6_17693 Depth=2
	s_or_b32 exec_lo, exec_lo, s37
	s_cbranch_execnz .LBB6_18289
; %bb.17749:                            ;   in Loop: Header=BB6_17693 Depth=2
	ds_load_b64 v[9:10], v0
	v_dual_mov_b32 v17, v154 :: v_dual_mov_b32 v18, v155
	s_mov_b32 s37, exec_lo
	s_delay_alu instid0(VALU_DEP_1) | instskip(NEXT) | instid1(VALU_DEP_2)
	v_add_co_u32 v17, vcc_lo, v17, v176
	v_add_co_ci_u32_e32 v18, vcc_lo, 0, v18, vcc_lo
	s_delay_alu instid0(VALU_DEP_1)
	v_dual_mov_b32 v155, v18 :: v_dual_mov_b32 v154, v17
	s_waitcnt lgkmcnt(0)
	v_cmpx_lt_u64_e64 v[9:10], v[17:18]
	s_cbranch_execz .LBB6_17760
; %bb.17750:                            ;   in Loop: Header=BB6_17693 Depth=2
	s_mov_b32 s38, 0
	s_mov_b32 s41, 0
                                        ; implicit-def: $sgpr39
                                        ; implicit-def: $sgpr40
	s_branch .LBB6_17752
.LBB6_17751:                            ;   in Loop: Header=BB6_17752 Depth=3
	s_or_b32 exec_lo, exec_lo, s43
	s_delay_alu instid0(SALU_CYCLE_1) | instskip(NEXT) | instid1(SALU_CYCLE_1)
	s_and_b32 vcc_lo, exec_lo, vcc_lo
	s_or_b32 s38, vcc_lo, s38
	s_and_not1_b32 vcc_lo, s39, exec_lo
	s_and_b32 s39, s40, exec_lo
	s_delay_alu instid0(SALU_CYCLE_1)
	s_or_b32 s39, vcc_lo, s39
	s_and_not1_b32 exec_lo, exec_lo, s38
	s_cbranch_execz .LBB6_17758
.LBB6_17752:                            ;   Parent Loop BB6_51 Depth=1
                                        ;     Parent Loop BB6_17693 Depth=2
                                        ; =>    This Inner Loop Header: Depth=3
	s_add_i32 s41, s41, 1
                                        ; implicit-def: $sgpr43
	s_delay_alu instid0(SALU_CYCLE_1) | instskip(SKIP_1) | instid1(SALU_CYCLE_1)
	s_cmpk_lg_i32 s41, 0x2710
	s_cselect_b32 s42, -1, 0
	s_and_b32 vcc_lo, exec_lo, s42
	s_cbranch_vccz .LBB6_17756
.LBB6_17753:                            ;   in Loop: Header=BB6_17752 Depth=3
	s_and_not1_b32 s40, s40, exec_lo
	s_and_b32 s43, s43, exec_lo
	s_mov_b32 vcc_lo, -1
	s_or_b32 s40, s40, s43
	s_and_saveexec_b32 s43, s42
	s_cbranch_execz .LBB6_17751
; %bb.17754:                            ;   in Loop: Header=BB6_17752 Depth=3
	s_sleep 1
	s_cbranch_execnz .LBB6_18377
; %bb.17755:                            ;   in Loop: Header=BB6_17752 Depth=3
	ds_load_b64 v[9:10], v0
	s_and_not1_b32 s40, s40, exec_lo
	s_waitcnt lgkmcnt(0)
	v_cmp_ge_u64_e32 vcc_lo, v[9:10], v[154:155]
	s_or_not1_b32 vcc_lo, vcc_lo, exec_lo
	s_branch .LBB6_17751
.LBB6_17756:                            ;   in Loop: Header=BB6_17752 Depth=3
	s_cbranch_execnz .LBB6_18391
; %bb.17757:                            ;   in Loop: Header=BB6_17752 Depth=3
	ds_load_b64 v[9:10], v0
	s_and_not1_b32 s42, s42, exec_lo
	s_mov_b32 s41, 0
	s_mov_b32 s43, -1
	s_waitcnt lgkmcnt(0)
	flat_load_b32 v2, v[9:10] glc
	s_waitcnt vmcnt(0) lgkmcnt(0)
	buffer_gl1_inv
	buffer_gl0_inv
	v_cmp_eq_u32_e32 vcc_lo, 0, v2
	s_and_b32 vcc_lo, vcc_lo, exec_lo
	s_delay_alu instid0(SALU_CYCLE_1)
	s_or_b32 s42, s42, vcc_lo
	s_branch .LBB6_17753
.LBB6_17758:                            ;   in Loop: Header=BB6_17693 Depth=2
	s_or_b32 exec_lo, exec_lo, s38
	s_and_saveexec_b32 vcc_lo, s39
	s_delay_alu instid0(SALU_CYCLE_1)
	s_xor_b32 vcc_lo, exec_lo, vcc_lo
	s_cbranch_execz .LBB6_17760
; %bb.17759:                            ;   in Loop: Header=BB6_17693 Depth=2
	ds_store_b32 v0, v46
	s_cbranch_execnz .LBB6_18481
.LBB6_17760:                            ;   in Loop: Header=BB6_17693 Depth=2
	s_or_b32 exec_lo, exec_lo, s37
	;;#ASMSTART
	s_wakeup
	;;#ASMEND
.LBB6_17761:                            ;   in Loop: Header=BB6_17693 Depth=2
	s_or_b32 exec_lo, exec_lo, s36
.LBB6_17762:                            ;   in Loop: Header=BB6_17693 Depth=2
	s_and_not1_saveexec_b32 s14, s14
	s_cbranch_execz .LBB6_17764
; %bb.17763:                            ;   in Loop: Header=BB6_17693 Depth=2
	s_waitcnt lgkmcnt(0)
	s_waitcnt_vscnt null, 0x0
	buffer_gl1_inv
	buffer_gl0_inv
	s_barrier
.LBB6_17764:                            ;   in Loop: Header=BB6_17693 Depth=2
	s_or_b32 exec_lo, exec_lo, s14
.LBB6_17765:                            ;   in Loop: Header=BB6_17693 Depth=2
	s_delay_alu instid0(SALU_CYCLE_1)
	s_or_b32 exec_lo, exec_lo, s13
	s_cbranch_execnz .LBB6_18159
; %bb.17766:                            ;   in Loop: Header=BB6_17693 Depth=2
	ds_load_b64 v[9:10], v0
	v_sub_nc_u32_e32 v2, v12, v14
	v_mov_b32_e32 v17, 0
	s_delay_alu instid0(VALU_DEP_2) | instskip(SKIP_3) | instid1(SALU_CYCLE_1)
	v_min_i32_e32 v13, v13, v2
	s_waitcnt lgkmcnt(0)
	v_cmp_eq_u64_e32 vcc_lo, 0, v[9:10]
	s_or_b32 s13, vcc_lo, vcc_lo
	s_and_b32 vcc_lo, exec_lo, s13
	s_cbranch_vccnz .LBB6_17800
; %bb.17767:                            ;   in Loop: Header=BB6_17693 Depth=2
	s_mov_b32 s13, -1
	s_and_saveexec_b32 s14, s10
	s_cbranch_execz .LBB6_17769
; %bb.17768:                            ;   in Loop: Header=BB6_17693 Depth=2
	ds_load_b32 v2, v0 offset:720
	s_waitcnt lgkmcnt(0)
	v_and_b32_e32 v2, 15, v2
	s_delay_alu instid0(VALU_DEP_1)
	v_cmp_eq_u32_e32 vcc_lo, 0, v2
	s_or_not1_b32 s13, vcc_lo, exec_lo
.LBB6_17769:                            ;   in Loop: Header=BB6_17693 Depth=2
	s_or_b32 exec_lo, exec_lo, s14
	s_and_saveexec_b32 s14, vcc_hi
	s_cbranch_execz .LBB6_17771
; %bb.17770:                            ;   in Loop: Header=BB6_17693 Depth=2
	ds_load_b32 v2, v0 offset:784
	s_waitcnt lgkmcnt(0)
	v_and_b32_e32 v2, 15, v2
	s_delay_alu instid0(VALU_DEP_1) | instskip(SKIP_3) | instid1(SALU_CYCLE_1)
	v_cmp_eq_u32_e32 vcc_lo, 0, v2
	s_and_b32 vcc_lo, s13, vcc_lo
	s_and_not1_b32 s13, s13, exec_lo
	s_and_b32 vcc_lo, vcc_lo, exec_lo
	s_or_b32 s13, s13, vcc_lo
.LBB6_17771:                            ;   in Loop: Header=BB6_17693 Depth=2
	s_or_b32 exec_lo, exec_lo, s14
	v_cmp_eq_u32_e32 vcc_lo, 0, v8
	s_xor_b32 s13, s13, -1
	v_mov_b32_e32 v22, v156
	v_cndmask_b32_e64 v2, 0, 1, s13
	;;#ASMSTART
	;;#ASMEND
	v_cndmask_b32_e32 v17, 0, v13, vcc_lo
	s_delay_alu instid0(VALU_DEP_2) | instskip(SKIP_2) | instid1(VALU_DEP_3)
	v_cmp_ne_u32_e32 vcc_lo, 0, v2
	v_mov_b32_e32 v2, 0
	s_mov_b32 s13, -1
	v_dual_mov_b32 v19, v0 :: v_dual_mov_b32 v18, v17
	s_cbranch_vccnz .LBB6_17787
; %bb.17772:                            ;   in Loop: Header=BB6_17693 Depth=2
	v_ashrrev_i32_e32 v2, 31, v17
	s_mov_b32 s13, exec_lo
	s_delay_alu instid0(VALU_DEP_1) | instskip(NEXT) | instid1(VALU_DEP_1)
	v_lshrrev_b32_e32 v2, 20, v2
	v_add_nc_u32_e32 v2, v17, v2
	s_delay_alu instid0(VALU_DEP_1) | instskip(NEXT) | instid1(VALU_DEP_1)
	v_ashrrev_i32_e32 v2, 12, v2
	v_sub_nc_u32_e32 v20, v2, v156
	s_delay_alu instid0(VALU_DEP_1)
	v_cmpx_lt_i32_e32 0, v20
	s_cbranch_execz .LBB6_17777
; %bb.17773:                            ;   in Loop: Header=BB6_17693 Depth=2
	s_cbranch_execnz .LBB6_18347
; %bb.17774:                            ;   in Loop: Header=BB6_17693 Depth=2
	ds_load_b64 v[8:9], v0
	s_mov_b32 s14, 0
	s_waitcnt lgkmcnt(0)
	v_dual_mov_b32 v11, v9 :: v_dual_mov_b32 v10, v8
.LBB6_17775:                            ;   Parent Loop BB6_51 Depth=1
                                        ;     Parent Loop BB6_17693 Depth=2
                                        ; =>    This Inner Loop Header: Depth=3
	s_clause 0x1
	scratch_load_b32 v21, off, s33 offset:312
	scratch_load_b32 v22, off, s33 offset:316
	v_sub_nc_u32_e32 v20, v20, v176
	s_waitcnt vmcnt(1)
	v_add_co_u32 v18, vcc_lo, v21, v10
	s_waitcnt vmcnt(0)
	v_add_co_ci_u32_e32 v19, vcc_lo, v22, v11, vcc_lo
	s_clause 0x7
	global_load_b128 v[36:39], v[18:19], off slc dlc
	global_load_b128 v[52:55], v[18:19], off offset:512 slc dlc
	global_load_b128 v[66:69], v[18:19], off offset:1024 slc dlc
	global_load_b128 v[80:83], v[18:19], off offset:1536 slc dlc
	global_load_b128 v[84:87], v[18:19], off offset:2048 slc dlc
	global_load_b128 v[96:99], v[18:19], off offset:2560 slc dlc
	global_load_b128 v[100:103], v[18:19], off offset:3072 slc dlc
	global_load_b128 v[112:115], v[18:19], off offset:3584 slc dlc
	v_add_co_u32 v18, vcc_lo, v21, v8
	v_mov_b32_e32 v21, v177
	v_add_co_ci_u32_e32 v19, vcc_lo, v22, v9, vcc_lo
	v_mov_b32_e32 v22, v178
	s_waitcnt vmcnt(7)
	global_store_b128 v[18:19], v[36:39], off glc slc dlc
	s_waitcnt vmcnt(6)
	global_store_b128 v[18:19], v[52:55], off offset:512 glc slc dlc
	s_waitcnt vmcnt(5)
	global_store_b128 v[18:19], v[66:69], off offset:1024 glc slc dlc
	;; [unrolled: 2-line block ×7, first 2 shown]
	v_add_co_u32 v10, vcc_lo, v10, v21
	v_add_co_ci_u32_e32 v11, vcc_lo, v11, v22, vcc_lo
	v_add_co_u32 v8, vcc_lo, v8, v21
	v_add_co_ci_u32_e32 v9, vcc_lo, v9, v22, vcc_lo
	v_cmp_gt_i32_e32 vcc_lo, 1, v20
	s_or_b32 s14, vcc_lo, s14
	s_delay_alu instid0(SALU_CYCLE_1)
	s_and_not1_b32 exec_lo, exec_lo, s14
	s_cbranch_execnz .LBB6_17775
; %bb.17776:                            ;   in Loop: Header=BB6_17693 Depth=2
	s_or_b32 exec_lo, exec_lo, s14
.LBB6_17777:                            ;   in Loop: Header=BB6_17693 Depth=2
	s_delay_alu instid0(SALU_CYCLE_1) | instskip(SKIP_4) | instid1(VALU_DEP_2)
	s_or_b32 exec_lo, exec_lo, s13
	v_lshlrev_b32_e32 v10, 12, v2
	v_mov_b32_e32 v2, 0
	s_mov_b32 s13, 0
	s_mov_b32 s36, exec_lo
                                        ; implicit-def: $vgpr18
                                        ; implicit-def: $vgpr19
                                        ; implicit-def: $vgpr22
	v_cmpx_ne_u32_e64 v17, v10
	s_cbranch_execz .LBB6_17786
; %bb.17778:                            ;   in Loop: Header=BB6_17693 Depth=2
	v_lshlrev_b32_e32 v2, 5, v20
	v_sub_nc_u32_e32 v9, v17, v10
	s_mov_b32 s37, exec_lo
	s_delay_alu instid0(VALU_DEP_2) | instskip(NEXT) | instid1(VALU_DEP_2)
	v_sub_nc_u32_e32 v2, v157, v2
	v_ashrrev_i32_e32 v11, 31, v9
	s_delay_alu instid0(VALU_DEP_2) | instskip(NEXT) | instid1(VALU_DEP_2)
	v_ashrrev_i32_e32 v8, 31, v2
	v_lshrrev_b32_e32 v11, 23, v11
	s_delay_alu instid0(VALU_DEP_2) | instskip(NEXT) | instid1(VALU_DEP_2)
	v_lshrrev_b32_e32 v8, 27, v8
	v_add_nc_u32_e32 v19, v9, v11
	s_delay_alu instid0(VALU_DEP_2) | instskip(NEXT) | instid1(VALU_DEP_2)
	v_add_nc_u32_e32 v8, v2, v8
	v_and_b32_e32 v11, 0xfffffe00, v19
	v_ashrrev_i32_e32 v19, 9, v19
	s_delay_alu instid0(VALU_DEP_3) | instskip(NEXT) | instid1(VALU_DEP_3)
	v_and_b32_e32 v18, 0xffffffe0, v8
	v_sub_nc_u32_e32 v21, v9, v11
	v_ashrrev_i32_e32 v8, 5, v8
	s_delay_alu instid0(VALU_DEP_3) | instskip(NEXT) | instid1(VALU_DEP_3)
	v_sub_nc_u32_e32 v20, v2, v18
	v_cmp_lt_i32_e32 vcc_lo, 15, v21
	s_delay_alu instid0(VALU_DEP_2) | instskip(SKIP_1) | instid1(VALU_DEP_2)
	v_lshlrev_b32_e32 v2, 4, v20
	v_add_co_ci_u32_e64 v19, s13, 0, v19, vcc_lo
	v_lshl_add_u32 v18, v8, 9, v2
	s_delay_alu instid0(VALU_DEP_2) | instskip(NEXT) | instid1(VALU_DEP_2)
	v_sub_nc_u32_e32 v23, v19, v8
	v_sub_nc_u32_e32 v2, v9, v18
	s_delay_alu instid0(VALU_DEP_1)
	v_cmpx_lt_i32_e32 15, v2
	s_cbranch_execz .LBB6_17783
; %bb.17779:                            ;   in Loop: Header=BB6_17693 Depth=2
	s_cbranch_execnz .LBB6_18403
; %bb.17780:                            ;   in Loop: Header=BB6_17693 Depth=2
	ds_load_b64 v[8:9], v0
	v_add_nc_u32_e32 v18, v18, v10
	s_mov_b32 s38, 0
	s_delay_alu instid0(VALU_DEP_1)
	v_ashrrev_i32_e32 v19, 31, v18
.LBB6_17781:                            ;   Parent Loop BB6_51 Depth=1
                                        ;     Parent Loop BB6_17693 Depth=2
                                        ; =>    This Inner Loop Header: Depth=3
	s_waitcnt lgkmcnt(0)
	v_add_co_u32 v26, s13, v8, v18
	s_delay_alu instid0(VALU_DEP_1)
	v_add_co_ci_u32_e64 v27, s13, v9, v19, s13
	v_sub_nc_u32_e32 v2, v2, v158
	v_add_co_u32 v18, s14, v18, v172
	global_load_b128 v[36:39], v[26:27], off slc dlc
	v_sub_nc_u32_e32 v23, v23, v176
	v_cmp_gt_i32_e64 s13, 16, v2
	v_add_co_ci_u32_e64 v19, s14, v19, v173, s14
	s_delay_alu instid0(VALU_DEP_2)
	s_or_b32 s38, s13, s38
	s_waitcnt vmcnt(0)
	global_store_b128 v[26:27], v[36:39], off glc slc dlc
	s_and_not1_b32 exec_lo, exec_lo, s38
	s_cbranch_execnz .LBB6_17781
; %bb.17782:                            ;   in Loop: Header=BB6_17693 Depth=2
	s_or_b32 exec_lo, exec_lo, s38
.LBB6_17783:                            ;   in Loop: Header=BB6_17693 Depth=2
	s_delay_alu instid0(SALU_CYCLE_1) | instskip(SKIP_4) | instid1(VALU_DEP_2)
	s_or_b32 exec_lo, exec_lo, s37
	v_and_b32_e32 v8, 15, v17
	v_mov_b32_e32 v2, 0
	s_mov_b32 s14, 0
	s_mov_b32 s37, exec_lo
                                        ; implicit-def: $vgpr19
                                        ; implicit-def: $vgpr22
	v_cndmask_b32_e32 v18, v21, v8, vcc_lo
	s_delay_alu instid0(VALU_DEP_1)
	v_cmpx_ne_u32_e32 0, v18
; %bb.17784:                            ;   in Loop: Header=BB6_17693 Depth=2
	v_cmp_lt_i32_e64 s13, 0, v23
	v_sub_nc_u32_e32 v8, v21, v8
	s_mov_b32 s14, exec_lo
	s_delay_alu instid0(VALU_DEP_2) | instskip(NEXT) | instid1(VALU_DEP_1)
	v_cndmask_b32_e64 v2, 0, v176, s13
	v_sub_nc_u32_e32 v2, v2, v23
	s_delay_alu instid0(VALU_DEP_1) | instskip(NEXT) | instid1(VALU_DEP_1)
	v_lshl_add_u32 v19, v2, 5, v20
	v_ashrrev_i32_e32 v2, 31, v19
	s_delay_alu instid0(VALU_DEP_1) | instskip(NEXT) | instid1(VALU_DEP_1)
	v_lshrrev_b32_e32 v2, 27, v2
	v_dual_cndmask_b32 v8, 0, v8 :: v_dual_add_nc_u32 v9, v19, v2
	s_delay_alu instid0(VALU_DEP_1) | instskip(NEXT) | instid1(VALU_DEP_2)
	v_add3_u32 v2, v11, v10, v8
	v_ashrrev_i32_e32 v22, 5, v9
; %bb.17785:                            ;   in Loop: Header=BB6_17693 Depth=2
	s_or_b32 exec_lo, exec_lo, s37
	s_delay_alu instid0(SALU_CYCLE_1)
	s_and_b32 s13, s14, exec_lo
.LBB6_17786:                            ;   in Loop: Header=BB6_17693 Depth=2
	s_or_b32 exec_lo, exec_lo, s36
.LBB6_17787:                            ;   in Loop: Header=BB6_17693 Depth=2
	s_and_saveexec_b32 s14, s13
	s_cbranch_execz .LBB6_17799
; %bb.17788:                            ;   in Loop: Header=BB6_17693 Depth=2
	s_delay_alu instid0(VALU_DEP_1) | instskip(SKIP_1) | instid1(VALU_DEP_1)
	v_ashrrev_i32_e32 v8, 31, v18
	s_mov_b32 s13, exec_lo
	v_lshrrev_b32_e32 v8, 22, v8
	s_delay_alu instid0(VALU_DEP_1) | instskip(NEXT) | instid1(VALU_DEP_1)
	v_add_nc_u32_e32 v8, v18, v8
	v_ashrrev_i32_e32 v21, 10, v8
	s_delay_alu instid0(VALU_DEP_1) | instskip(NEXT) | instid1(VALU_DEP_1)
	v_sub_nc_u32_e32 v20, v21, v22
	v_cmpx_lt_i32_e32 0, v20
	s_cbranch_execz .LBB6_17793
; %bb.17789:                            ;   in Loop: Header=BB6_17693 Depth=2
	s_cbranch_execnz .LBB6_18337
; %bb.17790:                            ;   in Loop: Header=BB6_17693 Depth=2
	v_ashrrev_i32_e32 v8, 31, v19
	s_mov_b32 s36, 0
	s_delay_alu instid0(VALU_DEP_1) | instskip(NEXT) | instid1(VALU_DEP_1)
	v_lshrrev_b32_e32 v8, 27, v8
	v_add_nc_u32_e32 v10, v19, v8
	ds_load_b64 v[8:9], v0
	v_lshlrev_b32_e32 v11, 10, v22
	v_and_b32_e32 v10, 0xffffffe0, v10
	s_delay_alu instid0(VALU_DEP_1) | instskip(NEXT) | instid1(VALU_DEP_1)
	v_sub_nc_u32_e32 v10, v19, v10
	v_add3_u32 v22, v2, v10, v11
	s_delay_alu instid0(VALU_DEP_1)
	v_ashrrev_i32_e32 v23, 31, v22
	s_waitcnt lgkmcnt(0)
	v_dual_mov_b32 v11, v9 :: v_dual_mov_b32 v10, v8
.LBB6_17791:                            ;   Parent Loop BB6_51 Depth=1
                                        ;     Parent Loop BB6_17693 Depth=2
                                        ; =>    This Inner Loop Header: Depth=3
	s_delay_alu instid0(VALU_DEP_1) | instskip(NEXT) | instid1(VALU_DEP_2)
	v_add_co_u32 v26, vcc_lo, v22, v10
	v_add_co_ci_u32_e32 v27, vcc_lo, v23, v11, vcc_lo
	v_dual_mov_b32 v102, v175 :: v_dual_mov_b32 v103, v184
	v_sub_nc_u32_e32 v20, v20, v176
	s_clause 0x1f
	flat_load_u8 v36, v[26:27] slc dlc
	flat_load_u8 v37, v[26:27] offset:32 slc dlc
	flat_load_u8 v38, v[26:27] offset:64 slc dlc
	;; [unrolled: 1-line block ×31, first 2 shown]
	v_add_co_u32 v26, vcc_lo, v22, v8
	v_add_co_ci_u32_e32 v27, vcc_lo, v23, v9, vcc_lo
	v_add_co_u32 v10, vcc_lo, v10, v102
	v_add_co_ci_u32_e32 v11, vcc_lo, v11, v103, vcc_lo
	;; [unrolled: 2-line block ×3, first 2 shown]
	v_cmp_gt_i32_e32 vcc_lo, 1, v20
	s_waitcnt vmcnt(31) lgkmcnt(31)
	flat_store_b8 v[26:27], v36 glc slc dlc
	s_waitcnt vmcnt(30) lgkmcnt(31)
	flat_store_b8 v[26:27], v37 offset:32 glc slc dlc
	s_waitcnt vmcnt(29) lgkmcnt(31)
	flat_store_b8 v[26:27], v38 offset:64 glc slc dlc
	;; [unrolled: 2-line block ×31, first 2 shown]
	s_or_b32 s36, vcc_lo, s36
	s_delay_alu instid0(SALU_CYCLE_1)
	s_and_not1_b32 exec_lo, exec_lo, s36
	s_cbranch_execnz .LBB6_17791
; %bb.17792:                            ;   in Loop: Header=BB6_17693 Depth=2
	s_or_b32 exec_lo, exec_lo, s36
.LBB6_17793:                            ;   in Loop: Header=BB6_17693 Depth=2
	s_delay_alu instid0(SALU_CYCLE_1) | instskip(SKIP_2) | instid1(VALU_DEP_1)
	s_or_b32 exec_lo, exec_lo, s13
	v_lshlrev_b32_e32 v8, 10, v21
	s_mov_b32 s36, exec_lo
	v_cmpx_ne_u32_e64 v18, v8
	s_cbranch_execz .LBB6_17798
; %bb.17794:                            ;   in Loop: Header=BB6_17693 Depth=2
	v_ashrrev_i32_e32 v9, 31, v19
	v_lshlrev_b32_e32 v10, 5, v20
	s_delay_alu instid0(VALU_DEP_2) | instskip(NEXT) | instid1(VALU_DEP_1)
	v_lshrrev_b32_e32 v9, 27, v9
	v_add_nc_u32_e32 v9, v19, v9
	s_delay_alu instid0(VALU_DEP_1) | instskip(NEXT) | instid1(VALU_DEP_1)
	v_and_b32_e32 v9, 0xffffffe0, v9
	v_sub_nc_u32_e32 v9, v19, v9
	s_delay_alu instid0(VALU_DEP_1) | instskip(NEXT) | instid1(VALU_DEP_1)
	v_sub_nc_u32_e32 v9, v9, v10
	v_add_nc_u32_e32 v11, v8, v9
	s_delay_alu instid0(VALU_DEP_1) | instskip(NEXT) | instid1(VALU_DEP_1)
	v_sub_nc_u32_e32 v10, v18, v11
	v_cmp_lt_i32_e32 vcc_lo, 0, v10
	s_and_b32 exec_lo, exec_lo, vcc_lo
	s_cbranch_execz .LBB6_17798
; %bb.17795:                            ;   in Loop: Header=BB6_17693 Depth=2
	s_cbranch_execnz .LBB6_18395
; %bb.17796:                            ;   in Loop: Header=BB6_17693 Depth=2
	ds_load_b64 v[8:9], v0
	v_add_nc_u32_e32 v2, v11, v2
	s_mov_b32 s37, 0
	s_delay_alu instid0(VALU_DEP_1)
	v_ashrrev_i32_e32 v11, 31, v2
.LBB6_17797:                            ;   Parent Loop BB6_51 Depth=1
                                        ;     Parent Loop BB6_17693 Depth=2
                                        ; =>    This Inner Loop Header: Depth=3
	s_waitcnt lgkmcnt(0)
	v_add_co_u32 v18, vcc_lo, v8, v2
	s_delay_alu instid0(VALU_DEP_2)
	v_add_co_ci_u32_e32 v19, vcc_lo, v9, v11, vcc_lo
	v_sub_nc_u32_e32 v10, v10, v171
	v_add_co_u32 v2, s13, v2, v186
	flat_load_u8 v20, v[18:19] slc dlc
	v_add_co_ci_u32_e64 v11, s13, v11, v187, s13
	v_cmp_gt_i32_e32 vcc_lo, 1, v10
	s_or_b32 s37, vcc_lo, s37
	s_waitcnt vmcnt(0) lgkmcnt(0)
	flat_store_b8 v[18:19], v20 glc slc dlc
	s_and_not1_b32 exec_lo, exec_lo, s37
	s_cbranch_execnz .LBB6_17797
.LBB6_17798:                            ;   in Loop: Header=BB6_17693 Depth=2
	s_or_b32 exec_lo, exec_lo, s36
.LBB6_17799:                            ;   in Loop: Header=BB6_17693 Depth=2
	s_delay_alu instid0(SALU_CYCLE_1)
	s_or_b32 exec_lo, exec_lo, s14
.LBB6_17800:                            ;   in Loop: Header=BB6_17693 Depth=2
	s_and_saveexec_b32 s13, s3
	s_cbranch_execz .LBB6_17822
; %bb.17801:                            ;   in Loop: Header=BB6_17693 Depth=2
	s_and_saveexec_b32 s14, s4
	s_delay_alu instid0(SALU_CYCLE_1)
	s_xor_b32 s14, exec_lo, s14
	s_cbranch_execz .LBB6_17819
; %bb.17802:                            ;   in Loop: Header=BB6_17693 Depth=2
	s_and_saveexec_b32 s36, s1
	s_cbranch_execz .LBB6_17818
; %bb.17803:                            ;   in Loop: Header=BB6_17693 Depth=2
	s_mov_b32 s38, exec_lo
	s_mov_b32 s37, exec_lo
	v_mbcnt_lo_u32_b32 v2, s38, 0
	s_waitcnt lgkmcnt(0)
	s_waitcnt_vscnt null, 0x0
	buffer_gl1_inv
	buffer_gl0_inv
	v_cmpx_eq_u32_e32 0, v2
	s_cbranch_execz .LBB6_17805
; %bb.17804:                            ;   in Loop: Header=BB6_17693 Depth=2
	s_bcnt1_i32_b32 vcc_lo, s38
	s_delay_alu instid0(SALU_CYCLE_1)
	v_mov_b32_e32 v2, vcc_lo
	ds_add_u64 v0, v[2:3]
	s_cbranch_execnz .LBB6_18381
.LBB6_17805:                            ;   in Loop: Header=BB6_17693 Depth=2
	s_or_b32 exec_lo, exec_lo, s37
	s_cbranch_execnz .LBB6_18357
; %bb.17806:                            ;   in Loop: Header=BB6_17693 Depth=2
	ds_load_b64 v[8:9], v0
	v_dual_mov_b32 v10, v154 :: v_dual_mov_b32 v11, v155
	s_mov_b32 s37, exec_lo
	s_delay_alu instid0(VALU_DEP_1) | instskip(NEXT) | instid1(VALU_DEP_2)
	v_add_co_u32 v10, vcc_lo, v10, v176
	v_add_co_ci_u32_e32 v11, vcc_lo, 0, v11, vcc_lo
	s_delay_alu instid0(VALU_DEP_1)
	v_dual_mov_b32 v155, v11 :: v_dual_mov_b32 v154, v10
	s_waitcnt lgkmcnt(0)
	v_cmpx_lt_u64_e64 v[8:9], v[10:11]
	s_cbranch_execz .LBB6_17817
; %bb.17807:                            ;   in Loop: Header=BB6_17693 Depth=2
	s_mov_b32 s38, 0
	s_mov_b32 s41, 0
                                        ; implicit-def: $sgpr39
                                        ; implicit-def: $sgpr40
	s_branch .LBB6_17809
.LBB6_17808:                            ;   in Loop: Header=BB6_17809 Depth=3
	s_or_b32 exec_lo, exec_lo, s43
	s_delay_alu instid0(SALU_CYCLE_1) | instskip(NEXT) | instid1(SALU_CYCLE_1)
	s_and_b32 vcc_lo, exec_lo, vcc_lo
	s_or_b32 s38, vcc_lo, s38
	s_and_not1_b32 vcc_lo, s39, exec_lo
	s_and_b32 s39, s40, exec_lo
	s_delay_alu instid0(SALU_CYCLE_1)
	s_or_b32 s39, vcc_lo, s39
	s_and_not1_b32 exec_lo, exec_lo, s38
	s_cbranch_execz .LBB6_17815
.LBB6_17809:                            ;   Parent Loop BB6_51 Depth=1
                                        ;     Parent Loop BB6_17693 Depth=2
                                        ; =>    This Inner Loop Header: Depth=3
	s_add_i32 s41, s41, 1
                                        ; implicit-def: $sgpr43
	s_delay_alu instid0(SALU_CYCLE_1) | instskip(SKIP_1) | instid1(SALU_CYCLE_1)
	s_cmpk_lg_i32 s41, 0x2710
	s_cselect_b32 s42, -1, 0
	s_and_b32 vcc_lo, exec_lo, s42
	s_cbranch_vccnz .LBB6_17812
; %bb.17810:                            ;   in Loop: Header=BB6_17809 Depth=3
	s_cbranch_execnz .LBB6_18431
; %bb.17811:                            ;   in Loop: Header=BB6_17809 Depth=3
	ds_load_b64 v[8:9], v0
	s_and_not1_b32 s42, s42, exec_lo
	s_mov_b32 s41, 0
	s_mov_b32 s43, -1
	s_waitcnt lgkmcnt(0)
	flat_load_b32 v2, v[8:9] glc
	s_waitcnt vmcnt(0) lgkmcnt(0)
	buffer_gl1_inv
	buffer_gl0_inv
	v_cmp_eq_u32_e32 vcc_lo, 0, v2
	s_and_b32 vcc_lo, vcc_lo, exec_lo
	s_delay_alu instid0(SALU_CYCLE_1)
	s_or_b32 s42, s42, vcc_lo
.LBB6_17812:                            ;   in Loop: Header=BB6_17809 Depth=3
	s_and_not1_b32 s40, s40, exec_lo
	s_and_b32 s43, s43, exec_lo
	s_mov_b32 vcc_lo, -1
	s_or_b32 s40, s40, s43
	s_and_saveexec_b32 s43, s42
	s_cbranch_execz .LBB6_17808
; %bb.17813:                            ;   in Loop: Header=BB6_17809 Depth=3
	s_sleep 1
	s_cbranch_execnz .LBB6_18421
; %bb.17814:                            ;   in Loop: Header=BB6_17809 Depth=3
	ds_load_b64 v[8:9], v0
	s_and_not1_b32 s40, s40, exec_lo
	s_waitcnt lgkmcnt(0)
	v_cmp_ge_u64_e32 vcc_lo, v[8:9], v[154:155]
	s_or_not1_b32 vcc_lo, vcc_lo, exec_lo
	s_branch .LBB6_17808
.LBB6_17815:                            ;   in Loop: Header=BB6_17693 Depth=2
	s_or_b32 exec_lo, exec_lo, s38
	s_and_saveexec_b32 vcc_lo, s39
	s_delay_alu instid0(SALU_CYCLE_1)
	s_xor_b32 vcc_lo, exec_lo, vcc_lo
	s_cbranch_execz .LBB6_17817
; %bb.17816:                            ;   in Loop: Header=BB6_17693 Depth=2
	ds_store_b32 v0, v46
	s_cbranch_execnz .LBB6_18485
.LBB6_17817:                            ;   in Loop: Header=BB6_17693 Depth=2
	s_or_b32 exec_lo, exec_lo, s37
	;;#ASMSTART
	s_wakeup
	;;#ASMEND
.LBB6_17818:                            ;   in Loop: Header=BB6_17693 Depth=2
	s_or_b32 exec_lo, exec_lo, s36
.LBB6_17819:                            ;   in Loop: Header=BB6_17693 Depth=2
	s_and_not1_saveexec_b32 s14, s14
	s_cbranch_execz .LBB6_17821
; %bb.17820:                            ;   in Loop: Header=BB6_17693 Depth=2
	s_waitcnt lgkmcnt(0)
	s_waitcnt_vscnt null, 0x0
	buffer_gl1_inv
	buffer_gl0_inv
	s_barrier
.LBB6_17821:                            ;   in Loop: Header=BB6_17693 Depth=2
	s_or_b32 exec_lo, exec_lo, s14
.LBB6_17822:                            ;   in Loop: Header=BB6_17693 Depth=2
	s_delay_alu instid0(SALU_CYCLE_1) | instskip(SKIP_1) | instid1(SALU_CYCLE_1)
	s_or_b32 exec_lo, exec_lo, s13
	s_and_saveexec_b32 s13, s7
	s_xor_b32 s14, exec_lo, s13
	s_cbranch_execz .LBB6_17826
; %bb.17823:                            ;   in Loop: Header=BB6_17693 Depth=2
	v_and_b32_e32 v2, 16, v30
	v_cmp_lt_i32_e32 vcc_lo, 0, v17
	s_delay_alu instid0(VALU_DEP_2) | instskip(NEXT) | instid1(VALU_DEP_1)
	v_cmp_ne_u32_e64 s13, 0, v2
	s_and_b32 vcc_lo, s13, vcc_lo
	s_delay_alu instid0(SALU_CYCLE_1)
	s_and_saveexec_b32 s13, vcc_lo
	s_cbranch_execz .LBB6_17825
; %bb.17824:                            ;   in Loop: Header=BB6_17693 Depth=2
	s_waitcnt lgkmcnt(0)
	s_waitcnt_vscnt null, 0x0
	buffer_gl1_inv
	buffer_gl0_inv
.LBB6_17825:                            ;   in Loop: Header=BB6_17693 Depth=2
	s_or_b32 exec_lo, exec_lo, s13
.LBB6_17826:                            ;   in Loop: Header=BB6_17693 Depth=2
	s_and_not1_saveexec_b32 s13, s14
	s_cbranch_execz .LBB6_17848
; %bb.17827:                            ;   in Loop: Header=BB6_17693 Depth=2
	s_and_saveexec_b32 s14, s4
	s_delay_alu instid0(SALU_CYCLE_1)
	s_xor_b32 s14, exec_lo, s14
	s_cbranch_execz .LBB6_17845
; %bb.17828:                            ;   in Loop: Header=BB6_17693 Depth=2
	s_and_saveexec_b32 s36, s1
	s_cbranch_execz .LBB6_17844
; %bb.17829:                            ;   in Loop: Header=BB6_17693 Depth=2
	s_mov_b32 s38, exec_lo
	s_mov_b32 s37, exec_lo
	v_mbcnt_lo_u32_b32 v2, s38, 0
	;;#ASMSTART
	s_waitcnt lgkmcnt(0) vmcnt(0)
	;;#ASMEND
	s_delay_alu instid0(VALU_DEP_1)
	v_cmpx_eq_u32_e32 0, v2
	s_cbranch_execz .LBB6_17831
; %bb.17830:                            ;   in Loop: Header=BB6_17693 Depth=2
	s_bcnt1_i32_b32 vcc_lo, s38
	s_delay_alu instid0(SALU_CYCLE_1)
	v_mov_b32_e32 v2, vcc_lo
	ds_add_u64 v0, v[2:3]
	s_cbranch_execnz .LBB6_18387
.LBB6_17831:                            ;   in Loop: Header=BB6_17693 Depth=2
	s_or_b32 exec_lo, exec_lo, s37
	s_cbranch_execnz .LBB6_18365
; %bb.17832:                            ;   in Loop: Header=BB6_17693 Depth=2
	ds_load_b64 v[8:9], v0
	v_dual_mov_b32 v10, v154 :: v_dual_mov_b32 v11, v155
	s_mov_b32 s37, exec_lo
	s_delay_alu instid0(VALU_DEP_1) | instskip(NEXT) | instid1(VALU_DEP_2)
	v_add_co_u32 v10, vcc_lo, v10, v176
	v_add_co_ci_u32_e32 v11, vcc_lo, 0, v11, vcc_lo
	s_delay_alu instid0(VALU_DEP_1)
	v_dual_mov_b32 v155, v11 :: v_dual_mov_b32 v154, v10
	s_waitcnt lgkmcnt(0)
	v_cmpx_lt_u64_e64 v[8:9], v[10:11]
	s_cbranch_execz .LBB6_17843
; %bb.17833:                            ;   in Loop: Header=BB6_17693 Depth=2
	s_mov_b32 s38, 0
	s_mov_b32 s41, 0
                                        ; implicit-def: $sgpr39
                                        ; implicit-def: $sgpr40
	s_branch .LBB6_17835
.LBB6_17834:                            ;   in Loop: Header=BB6_17835 Depth=3
	s_or_b32 exec_lo, exec_lo, s43
	s_delay_alu instid0(SALU_CYCLE_1) | instskip(NEXT) | instid1(SALU_CYCLE_1)
	s_and_b32 vcc_lo, exec_lo, vcc_lo
	s_or_b32 s38, vcc_lo, s38
	s_and_not1_b32 vcc_lo, s39, exec_lo
	s_and_b32 s39, s40, exec_lo
	s_delay_alu instid0(SALU_CYCLE_1)
	s_or_b32 s39, vcc_lo, s39
	s_and_not1_b32 exec_lo, exec_lo, s38
	s_cbranch_execz .LBB6_17841
.LBB6_17835:                            ;   Parent Loop BB6_51 Depth=1
                                        ;     Parent Loop BB6_17693 Depth=2
                                        ; =>    This Inner Loop Header: Depth=3
	s_add_i32 s41, s41, 1
                                        ; implicit-def: $sgpr43
	s_delay_alu instid0(SALU_CYCLE_1) | instskip(SKIP_1) | instid1(SALU_CYCLE_1)
	s_cmpk_lg_i32 s41, 0x2710
	s_cselect_b32 s42, -1, 0
	s_and_b32 vcc_lo, exec_lo, s42
	s_cbranch_vccnz .LBB6_17838
; %bb.17836:                            ;   in Loop: Header=BB6_17835 Depth=3
	s_cbranch_execnz .LBB6_18439
; %bb.17837:                            ;   in Loop: Header=BB6_17835 Depth=3
	ds_load_b64 v[8:9], v0
	s_and_not1_b32 s42, s42, exec_lo
	s_mov_b32 s41, 0
	s_mov_b32 s43, -1
	s_waitcnt lgkmcnt(0)
	s_waitcnt_vscnt null, 0x0
	flat_load_b32 v2, v[8:9] glc
	s_waitcnt vmcnt(0) lgkmcnt(0)
	buffer_gl1_inv
	buffer_gl0_inv
	v_cmp_eq_u32_e32 vcc_lo, 0, v2
	s_and_b32 vcc_lo, vcc_lo, exec_lo
	s_delay_alu instid0(SALU_CYCLE_1)
	s_or_b32 s42, s42, vcc_lo
.LBB6_17838:                            ;   in Loop: Header=BB6_17835 Depth=3
	s_and_not1_b32 s40, s40, exec_lo
	s_and_b32 s43, s43, exec_lo
	s_mov_b32 vcc_lo, -1
	s_or_b32 s40, s40, s43
	s_and_saveexec_b32 s43, s42
	s_cbranch_execz .LBB6_17834
; %bb.17839:                            ;   in Loop: Header=BB6_17835 Depth=3
	s_sleep 1
	s_cbranch_execnz .LBB6_18425
; %bb.17840:                            ;   in Loop: Header=BB6_17835 Depth=3
	ds_load_b64 v[8:9], v0
	s_and_not1_b32 s40, s40, exec_lo
	s_waitcnt lgkmcnt(0)
	v_cmp_ge_u64_e32 vcc_lo, v[8:9], v[154:155]
	s_or_not1_b32 vcc_lo, vcc_lo, exec_lo
	s_branch .LBB6_17834
.LBB6_17841:                            ;   in Loop: Header=BB6_17693 Depth=2
	s_or_b32 exec_lo, exec_lo, s38
	s_and_saveexec_b32 vcc_lo, s39
	s_delay_alu instid0(SALU_CYCLE_1)
	s_xor_b32 vcc_lo, exec_lo, vcc_lo
	s_cbranch_execz .LBB6_17843
; %bb.17842:                            ;   in Loop: Header=BB6_17693 Depth=2
	ds_store_b32 v0, v46
	s_cbranch_execnz .LBB6_18487
.LBB6_17843:                            ;   in Loop: Header=BB6_17693 Depth=2
	s_or_b32 exec_lo, exec_lo, s37
	;;#ASMSTART
	s_wakeup
	;;#ASMEND
.LBB6_17844:                            ;   in Loop: Header=BB6_17693 Depth=2
	s_or_b32 exec_lo, exec_lo, s36
.LBB6_17845:                            ;   in Loop: Header=BB6_17693 Depth=2
	s_and_not1_saveexec_b32 s14, s14
	s_cbranch_execz .LBB6_17847
; %bb.17846:                            ;   in Loop: Header=BB6_17693 Depth=2
	;;#ASMSTART
	s_waitcnt lgkmcnt(0) vmcnt(0)
	;;#ASMEND
	s_waitcnt lgkmcnt(0)
	s_waitcnt_vscnt null, 0x0
	s_barrier
.LBB6_17847:                            ;   in Loop: Header=BB6_17693 Depth=2
	s_or_b32 exec_lo, exec_lo, s14
.LBB6_17848:                            ;   in Loop: Header=BB6_17693 Depth=2
	s_delay_alu instid0(SALU_CYCLE_1) | instskip(SKIP_2) | instid1(VALU_DEP_1)
	s_or_b32 exec_lo, exec_lo, s13
	v_and_b32_e32 v2, 32, v30
	s_mov_b32 s13, exec_lo
	v_cmpx_ne_u32_e32 0, v2
	s_cbranch_execz .LBB6_17850
; %bb.17849:                            ;   in Loop: Header=BB6_17693 Depth=2
	v_add_co_u32 v34, vcc_lo, v34, 2
	v_add_co_ci_u32_e32 v35, vcc_lo, 0, v35, vcc_lo
	s_waitcnt lgkmcnt(0)
	s_waitcnt_vscnt null, 0x0
	flat_store_b64 v[32:33], v[34:35]
.LBB6_17850:                            ;   in Loop: Header=BB6_17693 Depth=2
	s_or_b32 exec_lo, exec_lo, s13
	v_add_nc_u32_e32 v14, v13, v14
	s_xor_b32 s13, s17, -1
	v_mov_b32_e32 v2, s31
	s_mov_b32 s17, 0
	s_mov_b32 s31, 2
	v_cmp_ge_i32_e32 vcc_lo, v14, v12
	s_or_b32 s13, s13, vcc_lo
	s_delay_alu instid0(SALU_CYCLE_1) | instskip(NEXT) | instid1(SALU_CYCLE_1)
	s_and_b32 s13, exec_lo, s13
	s_or_b32 s16, s13, s16
	s_delay_alu instid0(SALU_CYCLE_1)
	s_and_not1_b32 exec_lo, exec_lo, s16
	s_cbranch_execnz .LBB6_17693
; %bb.17851:                            ;   in Loop: Header=BB6_51 Depth=1
	s_or_b32 exec_lo, exec_lo, s16
.LBB6_17852:                            ;   in Loop: Header=BB6_51 Depth=1
	s_delay_alu instid0(SALU_CYCLE_1) | instskip(NEXT) | instid1(SALU_CYCLE_1)
	s_or_b32 exec_lo, exec_lo, s15
	s_mov_b32 s14, exec_lo
	v_cmpx_gt_i32_e32 2, v2
	s_cbranch_execz .LBB6_17931
; %bb.17853:                            ;   in Loop: Header=BB6_51 Depth=1
	v_cmp_eq_u32_e64 s13, 0, v2
	s_mov_b32 s15, 0
.LBB6_17854:                            ;   Parent Loop BB6_51 Depth=1
                                        ; =>  This Loop Header: Depth=2
                                        ;       Child Loop BB6_17860 Depth 3
                                        ;       Child Loop BB6_17887 Depth 3
	;; [unrolled: 1-line block ×3, first 2 shown]
	v_and_b32_e32 v2, 4, v30
	s_mov_b32 s17, -1
	s_mov_b32 s16, exec_lo
	s_delay_alu instid0(VALU_DEP_1)
	v_cmpx_ne_u32_e32 0, v2
	s_cbranch_execz .LBB6_17868
; %bb.17855:                            ;   in Loop: Header=BB6_17854 Depth=2
	v_add_co_u32 v8, vcc_lo, v34, 2
	v_add_co_ci_u32_e32 v9, vcc_lo, 0, v35, vcc_lo
	v_mov_b32_e32 v2, 1
	s_mov_b32 s17, exec_lo
	s_delay_alu instid0(VALU_DEP_2)
	v_cmpx_lt_u64_e64 v[166:167], v[8:9]
	s_cbranch_execz .LBB6_17867
; %bb.17856:                            ;   in Loop: Header=BB6_17854 Depth=2
	v_mov_b32_e32 v2, 0
	s_mov_b32 s31, 0
                                        ; implicit-def: $sgpr36
	s_branch .LBB6_17860
.LBB6_17857:                            ;   in Loop: Header=BB6_17860 Depth=3
	s_or_b32 exec_lo, exec_lo, s40
	v_mov_b32_e32 v10, 0
	s_or_not1_b32 s39, s39, exec_lo
.LBB6_17858:                            ;   in Loop: Header=BB6_17860 Depth=3
	s_or_b32 exec_lo, exec_lo, s38
	s_delay_alu instid0(VALU_DEP_1) | instskip(SKIP_2) | instid1(SALU_CYCLE_1)
	v_mov_b32_e32 v2, v10
	s_and_not1_b32 vcc_lo, s36, exec_lo
	s_and_b32 s36, s39, exec_lo
	s_or_b32 s36, vcc_lo, s36
.LBB6_17859:                            ;   in Loop: Header=BB6_17860 Depth=3
	s_or_b32 exec_lo, exec_lo, s37
	s_waitcnt vmcnt(0) lgkmcnt(0)
	v_cmp_ge_u64_e32 vcc_lo, v[166:167], v[8:9]
	s_xor_b32 s37, s36, -1
	s_delay_alu instid0(SALU_CYCLE_1) | instskip(NEXT) | instid1(SALU_CYCLE_1)
	s_or_b32 vcc_lo, s37, vcc_lo
	s_and_b32 vcc_lo, exec_lo, vcc_lo
	s_delay_alu instid0(SALU_CYCLE_1) | instskip(NEXT) | instid1(SALU_CYCLE_1)
	s_or_b32 s31, vcc_lo, s31
	s_and_not1_b32 exec_lo, exec_lo, s31
	s_cbranch_execz .LBB6_17866
.LBB6_17860:                            ;   Parent Loop BB6_51 Depth=1
                                        ;     Parent Loop BB6_17854 Depth=2
                                        ; =>    This Inner Loop Header: Depth=3
	s_sleep 1
	flat_load_b64 v[166:167], v[32:33] glc
	v_and_b32_e32 v10, 64, v30
	s_and_not1_b32 s36, s36, exec_lo
	s_mov_b32 s37, exec_lo
	s_delay_alu instid0(VALU_DEP_1)
	v_cmpx_eq_u32_e32 0, v10
	s_cbranch_execz .LBB6_17859
; %bb.17861:                            ;   in Loop: Header=BB6_17860 Depth=3
	v_add_nc_u32_e32 v10, 1, v2
	s_mov_b32 s39, -1
	s_mov_b32 s38, exec_lo
	v_cmpx_lt_i32_e32 0x270e, v2
	s_cbranch_execz .LBB6_17858
; %bb.17862:                            ;   in Loop: Header=BB6_17860 Depth=3
	s_cbranch_execnz .LBB6_18145
; %bb.17863:                            ;   in Loop: Header=BB6_17860 Depth=3
	ds_load_b64 v[10:11], v0
	s_mov_b32 s40, exec_lo
	s_waitcnt vmcnt(0) lgkmcnt(0)
	s_waitcnt_vscnt null, 0x0
	flat_load_b32 v2, v[10:11] glc
	s_waitcnt vmcnt(0) lgkmcnt(0)
	buffer_gl1_inv
	buffer_gl0_inv
	v_cmpx_ne_u32_e32 0, v2
	s_cbranch_execz .LBB6_17857
; %bb.17864:                            ;   in Loop: Header=BB6_17860 Depth=3
	ds_store_b32 v0, v2
	s_cbranch_execnz .LBB6_18227
; %bb.17865:                            ;   in Loop: Header=BB6_17860 Depth=3
	v_or_b32_e32 v30, 64, v30
	s_xor_b32 s39, exec_lo, -1
	s_branch .LBB6_17857
.LBB6_17866:                            ;   in Loop: Header=BB6_17854 Depth=2
	s_or_b32 exec_lo, exec_lo, s31
	v_and_b32_e32 v2, 4, v30
.LBB6_17867:                            ;   in Loop: Header=BB6_17854 Depth=2
	s_or_b32 exec_lo, exec_lo, s17
	s_delay_alu instid0(VALU_DEP_1)
	v_cmp_eq_u32_e32 vcc_lo, 0, v2
	;;#ASMSTART
	s_wakeup
	;;#ASMEND
	s_or_not1_b32 s17, vcc_lo, exec_lo
.LBB6_17868:                            ;   in Loop: Header=BB6_17854 Depth=2
	s_or_b32 exec_lo, exec_lo, s16
	s_xor_b32 s13, s13, -1
	s_delay_alu instid0(SALU_CYCLE_1) | instskip(NEXT) | instid1(SALU_CYCLE_1)
	s_and_b32 s13, exec_lo, s13
	s_or_b32 s15, s13, s15
	s_xor_b32 s13, s17, -1
	s_delay_alu instid0(SALU_CYCLE_1)
	s_and_saveexec_b32 s16, s13
	s_cbranch_execz .LBB6_17878
; %bb.17869:                            ;   in Loop: Header=BB6_17854 Depth=2
	v_and_b32_e32 v2, 0x100, v30
	s_mov_b32 s13, -1
                                        ; implicit-def: $vgpr8_vgpr9
	s_delay_alu instid0(VALU_DEP_1)
	v_cmp_ne_u32_e32 vcc_lo, 0, v2
	v_and_b32_e32 v2, 7, v34
	s_and_saveexec_b32 s17, vcc_lo
	s_cbranch_execz .LBB6_17873
; %bb.17870:                            ;   in Loop: Header=BB6_17854 Depth=2
	s_delay_alu instid0(VALU_DEP_1) | instskip(SKIP_4) | instid1(VALU_DEP_1)
	v_mad_u64_u32 v[10:11], null, v2, 24, v[6:7]
	flat_load_b32 v8, v[10:11]
	s_waitcnt vmcnt(0) lgkmcnt(0)
	v_cmp_ne_u32_e32 vcc_lo, 1, v8
	v_cmp_eq_u32_e64 s13, 1, v8
                                        ; implicit-def: $vgpr8_vgpr9
	s_and_saveexec_b32 s31, s13
	s_cbranch_execz .LBB6_17872
; %bb.17871:                            ;   in Loop: Header=BB6_17854 Depth=2
	flat_load_b32 v8, v[10:11] offset:4 glc
	s_waitcnt vmcnt(0) lgkmcnt(0)
	v_ashrrev_i32_e32 v9, 31, v8
.LBB6_17872:                            ;   in Loop: Header=BB6_17854 Depth=2
	s_or_b32 exec_lo, exec_lo, s31
	s_delay_alu instid0(SALU_CYCLE_1)
	s_or_not1_b32 s13, vcc_lo, exec_lo
.LBB6_17873:                            ;   in Loop: Header=BB6_17854 Depth=2
	s_or_b32 exec_lo, exec_lo, s17
	s_and_saveexec_b32 s17, s13
; %bb.17874:                            ;   in Loop: Header=BB6_17854 Depth=2
	v_mad_i64_i32 v[8:9], null, v2, v139, 0
; %bb.17875:                            ;   in Loop: Header=BB6_17854 Depth=2
	s_or_b32 exec_lo, exec_lo, s17
	v_mov_b32_e32 v10, v141
	v_dual_mov_b32 v11, v142 :: v_dual_and_b32 v2, 0x2000, v30
	s_mov_b32 s13, exec_lo
	s_delay_alu instid0(VALU_DEP_2) | instskip(NEXT) | instid1(VALU_DEP_2)
	v_add_co_u32 v8, vcc_lo, v10, v8
	v_add_co_ci_u32_e32 v9, vcc_lo, v11, v9, vcc_lo
	ds_store_b64 v0, v[8:9] offset:720
	v_cmpx_ne_u32_e32 0, v2
	s_cbranch_execz .LBB6_17877
; %bb.17876:                            ;   in Loop: Header=BB6_17854 Depth=2
	ds_load_b64 v[8:9], v0 offset:584
	s_waitcnt lgkmcnt(0)
	v_add_co_u32 v8, vcc_lo, v8, 1
	v_add_co_ci_u32_e32 v9, vcc_lo, 0, v9, vcc_lo
	ds_store_b64 v0, v[8:9] offset:584
.LBB6_17877:                            ;   in Loop: Header=BB6_17854 Depth=2
	s_or_b32 exec_lo, exec_lo, s13
	v_add_co_u32 v34, vcc_lo, v34, 2
	v_add_co_ci_u32_e32 v35, vcc_lo, 0, v35, vcc_lo
.LBB6_17878:                            ;   in Loop: Header=BB6_17854 Depth=2
	s_or_b32 exec_lo, exec_lo, s16
	s_and_saveexec_b32 s13, s3
	s_cbranch_execz .LBB6_17900
; %bb.17879:                            ;   in Loop: Header=BB6_17854 Depth=2
	s_and_saveexec_b32 s16, s4
	s_delay_alu instid0(SALU_CYCLE_1)
	s_xor_b32 s16, exec_lo, s16
	s_cbranch_execz .LBB6_17897
; %bb.17880:                            ;   in Loop: Header=BB6_17854 Depth=2
	s_and_saveexec_b32 s17, s1
	s_cbranch_execz .LBB6_17896
; %bb.17881:                            ;   in Loop: Header=BB6_17854 Depth=2
	s_mov_b32 s36, exec_lo
	s_mov_b32 s31, exec_lo
	v_mbcnt_lo_u32_b32 v2, s36, 0
	s_waitcnt lgkmcnt(0)
	s_waitcnt_vscnt null, 0x0
	buffer_gl1_inv
	buffer_gl0_inv
	v_cmpx_eq_u32_e32 0, v2
	s_cbranch_execz .LBB6_17883
; %bb.17882:                            ;   in Loop: Header=BB6_17854 Depth=2
	s_bcnt1_i32_b32 vcc_lo, s36
	s_delay_alu instid0(SALU_CYCLE_1)
	v_mov_b32_e32 v2, vcc_lo
	ds_add_u64 v0, v[2:3]
	s_cbranch_execnz .LBB6_18259
.LBB6_17883:                            ;   in Loop: Header=BB6_17854 Depth=2
	s_or_b32 exec_lo, exec_lo, s31
	s_cbranch_execnz .LBB6_18237
; %bb.17884:                            ;   in Loop: Header=BB6_17854 Depth=2
	ds_load_b64 v[8:9], v0
	v_dual_mov_b32 v10, v154 :: v_dual_mov_b32 v11, v155
	s_mov_b32 s31, exec_lo
	s_delay_alu instid0(VALU_DEP_1) | instskip(NEXT) | instid1(VALU_DEP_2)
	v_add_co_u32 v10, vcc_lo, v10, v176
	v_add_co_ci_u32_e32 v11, vcc_lo, 0, v11, vcc_lo
	s_delay_alu instid0(VALU_DEP_1)
	v_dual_mov_b32 v155, v11 :: v_dual_mov_b32 v154, v10
	s_waitcnt lgkmcnt(0)
	v_cmpx_lt_u64_e64 v[8:9], v[10:11]
	s_cbranch_execz .LBB6_17895
; %bb.17885:                            ;   in Loop: Header=BB6_17854 Depth=2
	s_mov_b32 s36, 0
	s_mov_b32 s39, 0
                                        ; implicit-def: $sgpr37
                                        ; implicit-def: $sgpr38
	s_branch .LBB6_17887
.LBB6_17886:                            ;   in Loop: Header=BB6_17887 Depth=3
	s_or_b32 exec_lo, exec_lo, s41
	s_delay_alu instid0(SALU_CYCLE_1) | instskip(NEXT) | instid1(SALU_CYCLE_1)
	s_and_b32 vcc_lo, exec_lo, vcc_lo
	s_or_b32 s36, vcc_lo, s36
	s_and_not1_b32 vcc_lo, s37, exec_lo
	s_and_b32 s37, s38, exec_lo
	s_delay_alu instid0(SALU_CYCLE_1)
	s_or_b32 s37, vcc_lo, s37
	s_and_not1_b32 exec_lo, exec_lo, s36
	s_cbranch_execz .LBB6_17893
.LBB6_17887:                            ;   Parent Loop BB6_51 Depth=1
                                        ;     Parent Loop BB6_17854 Depth=2
                                        ; =>    This Inner Loop Header: Depth=3
	s_add_i32 s39, s39, 1
                                        ; implicit-def: $sgpr41
	s_delay_alu instid0(SALU_CYCLE_1) | instskip(SKIP_1) | instid1(SALU_CYCLE_1)
	s_cmpk_lg_i32 s39, 0x2710
	s_cselect_b32 s40, -1, 0
	s_and_b32 vcc_lo, exec_lo, s40
	s_cbranch_vccz .LBB6_17891
.LBB6_17888:                            ;   in Loop: Header=BB6_17887 Depth=3
	s_and_not1_b32 s38, s38, exec_lo
	s_and_b32 s41, s41, exec_lo
	s_mov_b32 vcc_lo, -1
	s_or_b32 s38, s38, s41
	s_and_saveexec_b32 s41, s40
	s_cbranch_execz .LBB6_17886
; %bb.17889:                            ;   in Loop: Header=BB6_17887 Depth=3
	s_sleep 1
	s_cbranch_execnz .LBB6_18313
; %bb.17890:                            ;   in Loop: Header=BB6_17887 Depth=3
	ds_load_b64 v[8:9], v0
	s_and_not1_b32 s38, s38, exec_lo
	s_waitcnt lgkmcnt(0)
	v_cmp_ge_u64_e32 vcc_lo, v[8:9], v[154:155]
	s_or_not1_b32 vcc_lo, vcc_lo, exec_lo
	s_branch .LBB6_17886
.LBB6_17891:                            ;   in Loop: Header=BB6_17887 Depth=3
	s_cbranch_execnz .LBB6_18333
; %bb.17892:                            ;   in Loop: Header=BB6_17887 Depth=3
	ds_load_b64 v[8:9], v0
	s_and_not1_b32 s40, s40, exec_lo
	s_mov_b32 s39, 0
	s_mov_b32 s41, -1
	s_waitcnt lgkmcnt(0)
	flat_load_b32 v2, v[8:9] glc
	s_waitcnt vmcnt(0) lgkmcnt(0)
	buffer_gl1_inv
	buffer_gl0_inv
	v_cmp_eq_u32_e32 vcc_lo, 0, v2
	s_and_b32 vcc_lo, vcc_lo, exec_lo
	s_delay_alu instid0(SALU_CYCLE_1)
	s_or_b32 s40, s40, vcc_lo
	s_branch .LBB6_17888
.LBB6_17893:                            ;   in Loop: Header=BB6_17854 Depth=2
	s_or_b32 exec_lo, exec_lo, s36
	s_and_saveexec_b32 vcc_lo, s37
	s_delay_alu instid0(SALU_CYCLE_1)
	s_xor_b32 vcc_lo, exec_lo, vcc_lo
	s_cbranch_execz .LBB6_17895
; %bb.17894:                            ;   in Loop: Header=BB6_17854 Depth=2
	ds_store_b32 v0, v46
	s_cbranch_execnz .LBB6_18463
.LBB6_17895:                            ;   in Loop: Header=BB6_17854 Depth=2
	s_or_b32 exec_lo, exec_lo, s31
	;;#ASMSTART
	s_wakeup
	;;#ASMEND
.LBB6_17896:                            ;   in Loop: Header=BB6_17854 Depth=2
	s_or_b32 exec_lo, exec_lo, s17
.LBB6_17897:                            ;   in Loop: Header=BB6_17854 Depth=2
	s_and_not1_saveexec_b32 s16, s16
	s_cbranch_execz .LBB6_17899
; %bb.17898:                            ;   in Loop: Header=BB6_17854 Depth=2
	s_waitcnt lgkmcnt(0)
	s_waitcnt_vscnt null, 0x0
	buffer_gl1_inv
	buffer_gl0_inv
	s_barrier
.LBB6_17899:                            ;   in Loop: Header=BB6_17854 Depth=2
	s_or_b32 exec_lo, exec_lo, s16
.LBB6_17900:                            ;   in Loop: Header=BB6_17854 Depth=2
	s_delay_alu instid0(SALU_CYCLE_1) | instskip(SKIP_1) | instid1(VALU_DEP_1)
	s_or_b32 exec_lo, exec_lo, s13
	v_sub_nc_u32_e32 v2, v12, v14
	v_min_i32_e32 v13, v13, v2
	s_and_saveexec_b32 s13, s7
	s_delay_alu instid0(SALU_CYCLE_1)
	s_xor_b32 s16, exec_lo, s13
	s_cbranch_execz .LBB6_17905
; %bb.17901:                            ;   in Loop: Header=BB6_17854 Depth=2
	s_cbranch_execnz .LBB6_18141
; %bb.17902:                            ;   in Loop: Header=BB6_17854 Depth=2
	ds_load_b32 v2, v0
	v_cmp_lt_i32_e32 vcc_lo, 0, v13
	s_waitcnt lgkmcnt(0)
	v_readfirstlane_b32 s13, v2
	v_and_b32_e32 v2, 16, v30
	s_delay_alu instid0(VALU_DEP_2) | instskip(NEXT) | instid1(VALU_DEP_1)
	s_cmp_eq_u32 s13, 0
	v_cmp_ne_u32_e64 s13, 0, v2
	s_cselect_b32 s17, -1, 0
	s_delay_alu instid0(SALU_CYCLE_1)
	s_and_b32 s17, vcc_lo, s17
	s_delay_alu instid0(VALU_DEP_1) | instid1(SALU_CYCLE_1)
	s_and_b32 s17, s13, s17
	s_delay_alu instid0(SALU_CYCLE_1)
	s_and_saveexec_b32 s13, s17
	s_cbranch_execz .LBB6_17904
; %bb.17903:                            ;   in Loop: Header=BB6_17854 Depth=2
	s_waitcnt_vscnt null, 0x0
	buffer_gl1_inv
	buffer_gl0_inv
.LBB6_17904:                            ;   in Loop: Header=BB6_17854 Depth=2
	s_or_b32 exec_lo, exec_lo, s13
.LBB6_17905:                            ;   in Loop: Header=BB6_17854 Depth=2
	s_and_not1_saveexec_b32 s13, s16
	s_cbranch_execz .LBB6_17927
; %bb.17906:                            ;   in Loop: Header=BB6_17854 Depth=2
	s_and_saveexec_b32 s16, s4
	s_delay_alu instid0(SALU_CYCLE_1)
	s_xor_b32 s16, exec_lo, s16
	s_cbranch_execz .LBB6_17924
; %bb.17907:                            ;   in Loop: Header=BB6_17854 Depth=2
	s_and_saveexec_b32 s17, s1
	s_cbranch_execz .LBB6_17923
; %bb.17908:                            ;   in Loop: Header=BB6_17854 Depth=2
	s_mov_b32 s36, exec_lo
	s_mov_b32 s31, exec_lo
	v_mbcnt_lo_u32_b32 v2, s36, 0
	;;#ASMSTART
	s_waitcnt lgkmcnt(0) vmcnt(0)
	;;#ASMEND
	s_delay_alu instid0(VALU_DEP_1)
	v_cmpx_eq_u32_e32 0, v2
	s_cbranch_execz .LBB6_17910
; %bb.17909:                            ;   in Loop: Header=BB6_17854 Depth=2
	s_bcnt1_i32_b32 vcc_lo, s36
	s_delay_alu instid0(SALU_CYCLE_1)
	v_mov_b32_e32 v2, vcc_lo
	ds_add_u64 v0, v[2:3]
	s_cbranch_execnz .LBB6_18285
.LBB6_17910:                            ;   in Loop: Header=BB6_17854 Depth=2
	s_or_b32 exec_lo, exec_lo, s31
	s_cbranch_execnz .LBB6_18257
; %bb.17911:                            ;   in Loop: Header=BB6_17854 Depth=2
	ds_load_b64 v[8:9], v0
	v_dual_mov_b32 v10, v154 :: v_dual_mov_b32 v11, v155
	s_mov_b32 s31, exec_lo
	s_delay_alu instid0(VALU_DEP_1) | instskip(NEXT) | instid1(VALU_DEP_2)
	v_add_co_u32 v10, vcc_lo, v10, v176
	v_add_co_ci_u32_e32 v11, vcc_lo, 0, v11, vcc_lo
	s_delay_alu instid0(VALU_DEP_1)
	v_dual_mov_b32 v155, v11 :: v_dual_mov_b32 v154, v10
	s_waitcnt lgkmcnt(0)
	v_cmpx_lt_u64_e64 v[8:9], v[10:11]
	s_cbranch_execz .LBB6_17922
; %bb.17912:                            ;   in Loop: Header=BB6_17854 Depth=2
	s_mov_b32 s36, 0
	s_mov_b32 s39, 0
                                        ; implicit-def: $sgpr37
                                        ; implicit-def: $sgpr38
	s_branch .LBB6_17914
.LBB6_17913:                            ;   in Loop: Header=BB6_17914 Depth=3
	s_or_b32 exec_lo, exec_lo, s41
	s_delay_alu instid0(SALU_CYCLE_1) | instskip(NEXT) | instid1(SALU_CYCLE_1)
	s_and_b32 vcc_lo, exec_lo, vcc_lo
	s_or_b32 s36, vcc_lo, s36
	s_and_not1_b32 vcc_lo, s37, exec_lo
	s_and_b32 s37, s38, exec_lo
	s_delay_alu instid0(SALU_CYCLE_1)
	s_or_b32 s37, vcc_lo, s37
	s_and_not1_b32 exec_lo, exec_lo, s36
	s_cbranch_execz .LBB6_17920
.LBB6_17914:                            ;   Parent Loop BB6_51 Depth=1
                                        ;     Parent Loop BB6_17854 Depth=2
                                        ; =>    This Inner Loop Header: Depth=3
	s_add_i32 s39, s39, 1
                                        ; implicit-def: $sgpr41
	s_delay_alu instid0(SALU_CYCLE_1) | instskip(SKIP_1) | instid1(SALU_CYCLE_1)
	s_cmpk_lg_i32 s39, 0x2710
	s_cselect_b32 s40, -1, 0
	s_and_b32 vcc_lo, exec_lo, s40
	s_cbranch_vccz .LBB6_17918
.LBB6_17915:                            ;   in Loop: Header=BB6_17914 Depth=3
	s_and_not1_b32 s38, s38, exec_lo
	s_and_b32 s41, s41, exec_lo
	s_mov_b32 vcc_lo, -1
	s_or_b32 s38, s38, s41
	s_and_saveexec_b32 s41, s40
	s_cbranch_execz .LBB6_17913
; %bb.17916:                            ;   in Loop: Header=BB6_17914 Depth=3
	s_sleep 1
	s_cbranch_execnz .LBB6_18345
; %bb.17917:                            ;   in Loop: Header=BB6_17914 Depth=3
	ds_load_b64 v[8:9], v0
	s_and_not1_b32 s38, s38, exec_lo
	s_waitcnt lgkmcnt(0)
	v_cmp_ge_u64_e32 vcc_lo, v[8:9], v[154:155]
	s_or_not1_b32 vcc_lo, vcc_lo, exec_lo
	s_branch .LBB6_17913
.LBB6_17918:                            ;   in Loop: Header=BB6_17914 Depth=3
	s_cbranch_execnz .LBB6_18363
; %bb.17919:                            ;   in Loop: Header=BB6_17914 Depth=3
	ds_load_b64 v[8:9], v0
	s_and_not1_b32 s40, s40, exec_lo
	s_mov_b32 s39, 0
	s_mov_b32 s41, -1
	s_waitcnt lgkmcnt(0)
	s_waitcnt_vscnt null, 0x0
	flat_load_b32 v2, v[8:9] glc
	s_waitcnt vmcnt(0) lgkmcnt(0)
	buffer_gl1_inv
	buffer_gl0_inv
	v_cmp_eq_u32_e32 vcc_lo, 0, v2
	s_and_b32 vcc_lo, vcc_lo, exec_lo
	s_delay_alu instid0(SALU_CYCLE_1)
	s_or_b32 s40, s40, vcc_lo
	s_branch .LBB6_17915
.LBB6_17920:                            ;   in Loop: Header=BB6_17854 Depth=2
	s_or_b32 exec_lo, exec_lo, s36
	s_and_saveexec_b32 vcc_lo, s37
	s_delay_alu instid0(SALU_CYCLE_1)
	s_xor_b32 vcc_lo, exec_lo, vcc_lo
	s_cbranch_execz .LBB6_17922
; %bb.17921:                            ;   in Loop: Header=BB6_17854 Depth=2
	ds_store_b32 v0, v46
	s_cbranch_execnz .LBB6_18473
.LBB6_17922:                            ;   in Loop: Header=BB6_17854 Depth=2
	s_or_b32 exec_lo, exec_lo, s31
	;;#ASMSTART
	s_wakeup
	;;#ASMEND
.LBB6_17923:                            ;   in Loop: Header=BB6_17854 Depth=2
	s_or_b32 exec_lo, exec_lo, s17
.LBB6_17924:                            ;   in Loop: Header=BB6_17854 Depth=2
	s_and_not1_saveexec_b32 s16, s16
	s_cbranch_execz .LBB6_17926
; %bb.17925:                            ;   in Loop: Header=BB6_17854 Depth=2
	;;#ASMSTART
	s_waitcnt lgkmcnt(0) vmcnt(0)
	;;#ASMEND
	s_waitcnt lgkmcnt(0)
	s_waitcnt_vscnt null, 0x0
	s_barrier
.LBB6_17926:                            ;   in Loop: Header=BB6_17854 Depth=2
	s_or_b32 exec_lo, exec_lo, s16
.LBB6_17927:                            ;   in Loop: Header=BB6_17854 Depth=2
	s_delay_alu instid0(SALU_CYCLE_1) | instskip(SKIP_2) | instid1(VALU_DEP_1)
	s_or_b32 exec_lo, exec_lo, s13
	v_and_b32_e32 v2, 32, v30
	s_mov_b32 s13, exec_lo
	v_cmpx_ne_u32_e32 0, v2
	s_cbranch_execz .LBB6_17929
; %bb.17928:                            ;   in Loop: Header=BB6_17854 Depth=2
	v_add_co_u32 v34, vcc_lo, v34, 2
	v_add_co_ci_u32_e32 v35, vcc_lo, 0, v35, vcc_lo
	s_waitcnt lgkmcnt(0)
	s_waitcnt_vscnt null, 0x0
	flat_store_b64 v[32:33], v[34:35]
.LBB6_17929:                            ;   in Loop: Header=BB6_17854 Depth=2
	s_or_b32 exec_lo, exec_lo, s13
	v_add_nc_u32_e32 v14, v13, v14
	s_mov_b32 s13, 0
	s_and_not1_b32 exec_lo, exec_lo, s15
	s_cbranch_execnz .LBB6_17854
; %bb.17930:                            ;   in Loop: Header=BB6_51 Depth=1
	s_or_b32 exec_lo, exec_lo, s15
.LBB6_17931:                            ;   in Loop: Header=BB6_51 Depth=1
	s_delay_alu instid0(SALU_CYCLE_1) | instskip(SKIP_4) | instid1(VALU_DEP_4)
	s_or_b32 exec_lo, exec_lo, s14
	v_dual_mov_b32 v19, v180 :: v_dual_mov_b32 v20, v181
	v_readlane_b32 s37, v190, 3
	v_readlane_b32 s39, v190, 1
	v_dual_mov_b32 v118, v166 :: v_dual_mov_b32 v119, v167
	v_add_co_u32 v19, vcc_lo, v19, v168
	v_add_co_ci_u32_e32 v20, vcc_lo, v20, v169, vcc_lo
	v_dual_mov_b32 v114, v176 :: v_dual_mov_b32 v127, v178
	v_dual_mov_b32 v146, v177 :: v_dual_mov_b32 v21, 1
	s_delay_alu instid0(VALU_DEP_3)
	v_cmp_ge_i64_e32 vcc_lo, v[19:20], v[4:5]
	s_mov_b32 s14, s12
	s_mov_b32 s36, s34
	;; [unrolled: 1-line block ×5, first 2 shown]
	s_or_b32 s24, vcc_lo, s24
	s_mov_b32 s34, vcc_hi
	s_mov_b32 vcc_hi, s6
	s_mov_b32 s10, s11
	s_mov_b32 s11, s2
	;; [unrolled: 1-line block ×3, first 2 shown]
	s_and_not1_b32 exec_lo, exec_lo, s24
	s_cbranch_execz .LBB6_17932
; %bb.18789:                            ;   in Loop: Header=BB6_51 Depth=1
	s_getpc_b64 s[48:49]
.Lpost_getpc421:
	s_add_u32 s48, s48, (.LBB6_51-.Lpost_getpc421)&4294967295
	s_addc_u32 s49, s49, (.LBB6_51-.Lpost_getpc421)>>32
	s_setpc_b64 s[48:49]
.LBB6_17932:
	s_or_b32 exec_lo, exec_lo, s24
.LBB6_17933:
	s_delay_alu instid0(SALU_CYCLE_1)
	s_or_b32 exec_lo, exec_lo, s20
; %bb.17934:
	v_and_b32_e32 v0, 0x800, v30
	s_mov_b32 s0, exec_lo
	s_delay_alu instid0(VALU_DEP_1)
	v_cmpx_eq_u32_e32 0, v0
	s_cbranch_execz .LBB6_18191
; %bb.17935:
	v_and_b32_e32 v0, 48, v30
	s_mov_b32 s1, exec_lo
	s_delay_alu instid0(VALU_DEP_1)
	v_cmpx_ne_u32_e32 0, v0
	s_cbranch_execz .LBB6_17937
; %bb.17936:
	flat_store_b64 v[28:29], v[34:35] offset:104
.LBB6_17937:
	s_or_b32 exec_lo, exec_lo, s1
	v_and_b32_e32 v0, 0x88, v30
	s_mov_b32 s1, exec_lo
	s_delay_alu instid0(VALU_DEP_1)
	v_cmpx_eq_u32_e32 0x88, v0
	s_cbranch_execz .LBB6_17987
; %bb.17938:
	v_add_nc_u32_e32 v0, 6, v34
	s_mov_b32 s2, 0
                                        ; implicit-def: $sgpr3
	s_delay_alu instid0(VALU_DEP_1) | instskip(NEXT) | instid1(VALU_DEP_1)
	v_and_b32_e32 v0, 7, v0
	v_mad_u64_u32 v[2:3], null, v0, 24, v[6:7]
	v_mov_b32_e32 v0, 0
	s_delay_alu instid0(VALU_DEP_2) | instskip(NEXT) | instid1(VALU_DEP_3)
	v_add_co_u32 v2, vcc_lo, v2, 8
	v_add_co_ci_u32_e32 v3, vcc_lo, 0, v3, vcc_lo
	s_branch .LBB6_17973
.LBB6_17939:
	s_trap 2
	s_sendmsg_rtn_b32 s0, sendmsg(MSG_RTN_GET_DOORBELL)
	s_mov_b32 ttmp2, m0
	s_waitcnt lgkmcnt(0)
	s_and_b32 s0, s0, 0x3ff
	s_delay_alu instid0(SALU_CYCLE_1) | instskip(NEXT) | instid1(SALU_CYCLE_1)
	s_bitset1_b32 s0, 10
	s_mov_b32 m0, s0
	s_sendmsg sendmsg(MSG_INTERRUPT)
	s_mov_b32 m0, ttmp2
.LBB6_17940:                            ; =>This Inner Loop Header: Depth=1
	s_sethalt 5
	s_branch .LBB6_17940
.LBB6_17941:
	v_bfe_u32 v9, v7, 8, 8
	v_not_b32_e32 v8, v8
	s_mov_b32 s1, exec_lo
                                        ; implicit-def: $vgpr14_vgpr15
                                        ; implicit-def: $vgpr24_vgpr25
                                        ; implicit-def: $vgpr4_vgpr5
	s_delay_alu instid0(VALU_DEP_2)
	v_cmpx_ne_u32_e64 v9, v6
	s_xor_b32 s1, exec_lo, s1
	s_cbranch_execz .LBB6_17943
; %bb.17942:
	s_clause 0x1
	flat_load_b128 v[9:12], v[2:3] offset:72
	flat_load_b64 v[4:5], v[2:3] offset:96
	v_add_nc_u32_e32 v6, v6, v8
                                        ; implicit-def: $vgpr8
	s_waitcnt vmcnt(0) lgkmcnt(0)
	v_lshrrev_b64 v[14:15], 12, v[4:5]
	v_dual_mov_b32 v4, v11 :: v_dual_mov_b32 v5, v12
	s_delay_alu instid0(VALU_DEP_3) | instskip(SKIP_2) | instid1(VALU_DEP_3)
	v_ashrrev_i32_e32 v7, 31, v6
	v_mad_u64_u32 v[24:25], null, v11, v6, v[9:10]
	v_mul_lo_u32 v6, v12, v6
                                        ; implicit-def: $vgpr9
	v_mul_lo_u32 v7, v11, v7
	s_delay_alu instid0(VALU_DEP_1)
	v_add3_u32 v25, v6, v25, v7
.LBB6_17943:
	s_and_not1_saveexec_b32 s1, s1
	s_cbranch_execz .LBB6_17945
; %bb.17944:
	s_clause 0x1
	flat_load_b128 v[10:13], v[2:3] offset:72
	flat_load_b128 v[4:7], v[2:3] offset:88
	s_waitcnt vmcnt(0) lgkmcnt(0)
	v_add_nc_u32_e32 v6, v9, v8
	s_delay_alu instid0(VALU_DEP_1) | instskip(NEXT) | instid1(VALU_DEP_1)
	v_ashrrev_i32_e32 v8, 31, v6
	v_mul_lo_u32 v8, v12, v8
	v_mad_u64_u32 v[24:25], null, v12, v6, v[10:11]
	v_mul_lo_u32 v6, v13, v6
	v_lshrrev_b32_e32 v14, 1, v7
	s_delay_alu instid0(VALU_DEP_2)
	v_add3_u32 v25, v6, v25, v8
.LBB6_17945:
	s_or_b32 exec_lo, exec_lo, s1
	s_and_not1_saveexec_b32 s0, s0
	s_cbranch_execnz .LBB6_17946
; %bb.18791:
	s_getpc_b64 s[48:49]
.Lpost_getpc422:
	s_add_u32 s48, s48, (.LBB6_3-.Lpost_getpc422)&4294967295
	s_addc_u32 s49, s49, (.LBB6_3-.Lpost_getpc422)>>32
	s_setpc_b64 s[48:49]
.LBB6_17946:
	s_clause 0x1
	flat_load_b64 v[6:7], v[2:3] offset:96
	flat_load_b64 v[4:5], v[2:3] offset:72
	v_mov_b32_e32 v24, 0
	v_mov_b32_e32 v25, 0
	s_waitcnt vmcnt(1) lgkmcnt(1)
	v_lshlrev_b64 v[14:15], 9, v[6:7]
	s_or_b32 exec_lo, exec_lo, s0
	s_cbranch_execnz .LBB6_17947
; %bb.18793:
	s_getpc_b64 s[48:49]
.Lpost_getpc423:
	s_add_u32 s48, s48, (.LBB6_4-.Lpost_getpc423)&4294967295
	s_addc_u32 s49, s49, (.LBB6_4-.Lpost_getpc423)>>32
	s_setpc_b64 s[48:49]
.LBB6_17947:
	s_trap 2
	s_sendmsg_rtn_b32 s0, sendmsg(MSG_RTN_GET_DOORBELL)
	s_mov_b32 ttmp2, m0
	s_waitcnt lgkmcnt(0)
	s_and_b32 s0, s0, 0x3ff
	s_delay_alu instid0(SALU_CYCLE_1) | instskip(NEXT) | instid1(SALU_CYCLE_1)
	s_bitset1_b32 s0, 10
	s_mov_b32 m0, s0
	s_sendmsg sendmsg(MSG_INTERRUPT)
	s_mov_b32 m0, ttmp2
.LBB6_17948:                            ; =>This Inner Loop Header: Depth=1
	s_sethalt 5
	s_branch .LBB6_17948
.LBB6_17949:
	s_trap 2
	s_sendmsg_rtn_b32 s0, sendmsg(MSG_RTN_GET_DOORBELL)
	s_mov_b32 ttmp2, m0
	s_waitcnt lgkmcnt(0)
	s_and_b32 s0, s0, 0x3ff
	s_delay_alu instid0(SALU_CYCLE_1) | instskip(NEXT) | instid1(SALU_CYCLE_1)
	s_bitset1_b32 s0, 10
	s_mov_b32 m0, s0
	s_sendmsg sendmsg(MSG_INTERRUPT)
	s_mov_b32 m0, ttmp2
.LBB6_17950:                            ; =>This Inner Loop Header: Depth=1
	s_sethalt 5
	s_branch .LBB6_17950
.LBB6_17951:
	s_trap 2
	s_sendmsg_rtn_b32 s0, sendmsg(MSG_RTN_GET_DOORBELL)
	s_mov_b32 ttmp2, m0
	s_waitcnt lgkmcnt(0)
	s_and_b32 s0, s0, 0x3ff
	s_delay_alu instid0(SALU_CYCLE_1) | instskip(NEXT) | instid1(SALU_CYCLE_1)
	s_bitset1_b32 s0, 10
	s_mov_b32 m0, s0
	s_sendmsg sendmsg(MSG_INTERRUPT)
	s_mov_b32 m0, ttmp2
.LBB6_17952:                            ; =>This Inner Loop Header: Depth=1
	s_sethalt 5
	s_branch .LBB6_17952
.LBB6_17953:
	s_trap 2
	s_sendmsg_rtn_b32 s0, sendmsg(MSG_RTN_GET_DOORBELL)
	s_mov_b32 ttmp2, m0
	s_waitcnt lgkmcnt(0)
	s_and_b32 s0, s0, 0x3ff
	s_delay_alu instid0(SALU_CYCLE_1) | instskip(NEXT) | instid1(SALU_CYCLE_1)
	s_bitset1_b32 s0, 10
	s_mov_b32 m0, s0
	s_sendmsg sendmsg(MSG_INTERRUPT)
	s_mov_b32 m0, ttmp2
.LBB6_17954:                            ; =>This Inner Loop Header: Depth=1
	s_sethalt 5
	s_branch .LBB6_17954
.LBB6_17955:
	s_trap 2
	s_sendmsg_rtn_b32 s0, sendmsg(MSG_RTN_GET_DOORBELL)
	s_mov_b32 ttmp2, m0
	s_waitcnt lgkmcnt(0)
	s_and_b32 s0, s0, 0x3ff
	s_delay_alu instid0(SALU_CYCLE_1) | instskip(NEXT) | instid1(SALU_CYCLE_1)
	s_bitset1_b32 s0, 10
	s_mov_b32 m0, s0
	s_sendmsg sendmsg(MSG_INTERRUPT)
	s_mov_b32 m0, ttmp2
.LBB6_17956:                            ; =>This Inner Loop Header: Depth=1
	s_sethalt 5
	s_branch .LBB6_17956
.LBB6_17957:
	s_trap 2
	s_sendmsg_rtn_b32 s0, sendmsg(MSG_RTN_GET_DOORBELL)
	s_mov_b32 ttmp2, m0
	s_waitcnt lgkmcnt(0)
	s_and_b32 s0, s0, 0x3ff
	s_delay_alu instid0(SALU_CYCLE_1) | instskip(NEXT) | instid1(SALU_CYCLE_1)
	s_bitset1_b32 s0, 10
	s_mov_b32 m0, s0
	s_sendmsg sendmsg(MSG_INTERRUPT)
	s_mov_b32 m0, ttmp2
.LBB6_17958:                            ; =>This Inner Loop Header: Depth=1
	s_sethalt 5
	s_branch .LBB6_17958
.LBB6_17959:
	s_trap 2
	s_sendmsg_rtn_b32 s0, sendmsg(MSG_RTN_GET_DOORBELL)
	s_mov_b32 ttmp2, m0
	s_waitcnt lgkmcnt(0)
	s_and_b32 s0, s0, 0x3ff
	s_delay_alu instid0(SALU_CYCLE_1) | instskip(NEXT) | instid1(SALU_CYCLE_1)
	s_bitset1_b32 s0, 10
	s_mov_b32 m0, s0
	s_sendmsg sendmsg(MSG_INTERRUPT)
	s_mov_b32 m0, ttmp2
.LBB6_17960:                            ; =>This Inner Loop Header: Depth=1
	s_sethalt 5
	s_branch .LBB6_17960
.LBB6_17961:
	s_trap 2
	s_sendmsg_rtn_b32 s0, sendmsg(MSG_RTN_GET_DOORBELL)
	s_mov_b32 ttmp2, m0
	s_waitcnt lgkmcnt(0)
	s_and_b32 s0, s0, 0x3ff
	s_delay_alu instid0(SALU_CYCLE_1) | instskip(NEXT) | instid1(SALU_CYCLE_1)
	s_bitset1_b32 s0, 10
	s_mov_b32 m0, s0
	s_sendmsg sendmsg(MSG_INTERRUPT)
	s_mov_b32 m0, ttmp2
.LBB6_17962:                            ; =>This Inner Loop Header: Depth=1
	s_sethalt 5
	s_branch .LBB6_17962
.LBB6_17963:
	s_trap 2
	s_sendmsg_rtn_b32 s0, sendmsg(MSG_RTN_GET_DOORBELL)
	s_mov_b32 ttmp2, m0
	s_waitcnt lgkmcnt(0)
	s_and_b32 s0, s0, 0x3ff
	s_delay_alu instid0(SALU_CYCLE_1) | instskip(NEXT) | instid1(SALU_CYCLE_1)
	s_bitset1_b32 s0, 10
	s_mov_b32 m0, s0
	s_sendmsg sendmsg(MSG_INTERRUPT)
	s_mov_b32 m0, ttmp2
.LBB6_17964:                            ; =>This Inner Loop Header: Depth=1
	s_sethalt 5
	s_branch .LBB6_17964
.LBB6_17965:
	s_trap 2
	s_sendmsg_rtn_b32 s0, sendmsg(MSG_RTN_GET_DOORBELL)
	s_mov_b32 ttmp2, m0
	s_waitcnt lgkmcnt(0)
	s_and_b32 s0, s0, 0x3ff
	s_delay_alu instid0(SALU_CYCLE_1) | instskip(NEXT) | instid1(SALU_CYCLE_1)
	s_bitset1_b32 s0, 10
	s_mov_b32 m0, s0
	s_sendmsg sendmsg(MSG_INTERRUPT)
	s_mov_b32 m0, ttmp2
.LBB6_17966:                            ; =>This Inner Loop Header: Depth=1
	s_sethalt 5
	s_branch .LBB6_17966
.LBB6_17967:
	s_trap 2
	s_sendmsg_rtn_b32 s0, sendmsg(MSG_RTN_GET_DOORBELL)
	s_mov_b32 ttmp2, m0
	s_waitcnt lgkmcnt(0)
	s_and_b32 s0, s0, 0x3ff
	s_delay_alu instid0(SALU_CYCLE_1) | instskip(NEXT) | instid1(SALU_CYCLE_1)
	s_bitset1_b32 s0, 10
	s_mov_b32 m0, s0
	s_sendmsg sendmsg(MSG_INTERRUPT)
	s_mov_b32 m0, ttmp2
.LBB6_17968:                            ; =>This Inner Loop Header: Depth=1
	s_sethalt 5
	s_branch .LBB6_17968
.LBB6_17969:                            ;   in Loop: Header=BB6_17973 Depth=1
	s_or_b32 exec_lo, exec_lo, s10
	v_mov_b32_e32 v4, 0
	s_or_not1_b32 s7, s7, exec_lo
.LBB6_17970:                            ;   in Loop: Header=BB6_17973 Depth=1
	s_or_b32 exec_lo, exec_lo, s6
	s_delay_alu instid0(VALU_DEP_1)
	v_mov_b32_e32 v0, v4
	s_and_b32 s6, s7, exec_lo
.LBB6_17971:                            ;   in Loop: Header=BB6_17973 Depth=1
	s_or_b32 exec_lo, exec_lo, s5
	s_xor_b32 s5, s6, -1
	s_and_not1_b32 s3, s3, exec_lo
	s_and_b32 s5, s5, exec_lo
	s_delay_alu instid0(SALU_CYCLE_1)
	s_or_b32 s3, s3, s5
.LBB6_17972:                            ;   in Loop: Header=BB6_17973 Depth=1
	s_or_b32 exec_lo, exec_lo, s4
	s_delay_alu instid0(SALU_CYCLE_1) | instskip(NEXT) | instid1(SALU_CYCLE_1)
	s_and_b32 s4, exec_lo, s3
	s_or_b32 s2, s4, s2
	s_delay_alu instid0(SALU_CYCLE_1)
	s_and_not1_b32 exec_lo, exec_lo, s2
	s_cbranch_execz .LBB6_17986
.LBB6_17973:                            ; =>This Inner Loop Header: Depth=1
	flat_load_b64 v[4:5], v[2:3] glc dlc
	s_waitcnt vmcnt(0)
	s_or_b32 s3, s3, exec_lo
	s_mov_b32 s4, exec_lo
	s_waitcnt lgkmcnt(0)
	v_cmpx_ne_u64_e32 -1, v[4:5]
	s_cbranch_execz .LBB6_17972
; %bb.17974:                            ;   in Loop: Header=BB6_17973 Depth=1
	v_and_b32_e32 v4, 64, v30
	s_mov_b32 s6, 0
	s_mov_b32 s5, exec_lo
	s_delay_alu instid0(VALU_DEP_1)
	v_cmpx_eq_u32_e32 0, v4
	s_cbranch_execz .LBB6_17971
; %bb.17975:                            ;   in Loop: Header=BB6_17973 Depth=1
	v_add_nc_u32_e32 v4, 1, v0
	s_mov_b32 s7, -1
	s_mov_b32 s6, exec_lo
	v_cmpx_lt_i32_e32 0x270e, v0
	s_cbranch_execz .LBB6_17970
; %bb.17976:                            ;   in Loop: Header=BB6_17973 Depth=1
	s_cbranch_execnz .LBB6_17980
; %bb.17977:                            ;   in Loop: Header=BB6_17973 Depth=1
	ds_load_b64 v[4:5], v0
	s_mov_b32 s10, exec_lo
	s_waitcnt lgkmcnt(0)
	s_waitcnt_vscnt null, 0x0
	flat_load_b32 v0, v[4:5] glc
	s_waitcnt vmcnt(0) lgkmcnt(0)
	buffer_gl1_inv
	buffer_gl0_inv
	v_cmpx_ne_u32_e32 0, v0
	s_cbranch_execz .LBB6_17969
; %bb.17978:                            ;   in Loop: Header=BB6_17973 Depth=1
	ds_store_b32 v0, v0
	s_cbranch_execnz .LBB6_18004
; %bb.17979:                            ;   in Loop: Header=BB6_17973 Depth=1
	v_or_b32_e32 v30, 64, v30
	s_xor_b32 s7, exec_lo, -1
	s_branch .LBB6_17969
.LBB6_17980:
	s_trap 2
	s_sendmsg_rtn_b32 s0, sendmsg(MSG_RTN_GET_DOORBELL)
	s_mov_b32 ttmp2, m0
	s_waitcnt lgkmcnt(0)
	s_and_b32 s0, s0, 0x3ff
	s_delay_alu instid0(SALU_CYCLE_1) | instskip(NEXT) | instid1(SALU_CYCLE_1)
	s_bitset1_b32 s0, 10
	s_mov_b32 m0, s0
	s_sendmsg sendmsg(MSG_INTERRUPT)
	s_mov_b32 m0, ttmp2
.LBB6_17981:                            ; =>This Inner Loop Header: Depth=1
	s_sethalt 5
	s_branch .LBB6_17981
.LBB6_17982:
	s_trap 2
	s_sendmsg_rtn_b32 s0, sendmsg(MSG_RTN_GET_DOORBELL)
	s_mov_b32 ttmp2, m0
	s_waitcnt lgkmcnt(0)
	s_and_b32 s0, s0, 0x3ff
	s_delay_alu instid0(SALU_CYCLE_1) | instskip(NEXT) | instid1(SALU_CYCLE_1)
	s_bitset1_b32 s0, 10
	s_mov_b32 m0, s0
	s_sendmsg sendmsg(MSG_INTERRUPT)
	s_mov_b32 m0, ttmp2
.LBB6_17983:                            ; =>This Inner Loop Header: Depth=1
	s_sethalt 5
	s_branch .LBB6_17983
.LBB6_17984:
	s_trap 2
	s_sendmsg_rtn_b32 s0, sendmsg(MSG_RTN_GET_DOORBELL)
	s_mov_b32 ttmp2, m0
	s_waitcnt lgkmcnt(0)
	s_and_b32 s0, s0, 0x3ff
	s_delay_alu instid0(SALU_CYCLE_1) | instskip(NEXT) | instid1(SALU_CYCLE_1)
	s_bitset1_b32 s0, 10
	s_mov_b32 m0, s0
	s_sendmsg sendmsg(MSG_INTERRUPT)
	s_mov_b32 m0, ttmp2
.LBB6_17985:                            ; =>This Inner Loop Header: Depth=1
	s_sethalt 5
	s_branch .LBB6_17985
.LBB6_17986:
	s_or_b32 exec_lo, exec_lo, s2
.LBB6_17987:
	s_delay_alu instid0(SALU_CYCLE_1) | instskip(SKIP_2) | instid1(VALU_DEP_1)
	s_or_b32 exec_lo, exec_lo, s1
	v_and_b32_e32 v0, 0x2000, v30
	s_mov_b32 s1, exec_lo
	v_cmpx_ne_u32_e32 0, v0
	s_cbranch_execz .LBB6_17990
; %bb.17988:
	s_cbranch_execnz .LBB6_17998
; %bb.17989:
	ds_load_b64 v[2:3], v0
	s_waitcnt lgkmcnt(0)
	flat_store_b64 v[137:138], v[2:3] offset:16
.LBB6_17990:
	s_or_b32 exec_lo, exec_lo, s1
	v_cmp_ne_u32_e32 vcc_lo, 32, v1
	s_and_b32 exec_lo, exec_lo, vcc_lo
	s_cbranch_execz .LBB6_18191
; %bb.17991:
	s_mov_b32 s1, exec_lo
	v_cmpx_ne_u32_e64 v140, v1
	s_xor_b32 s1, exec_lo, s1
	s_cbranch_execz .LBB6_18189
; %bb.17992:
	v_and_b32_e32 v0, 31, v31
	s_mov_b32 s2, exec_lo
	s_delay_alu instid0(VALU_DEP_1)
	v_cmpx_eq_u32_e32 0, v0
	s_cbranch_execz .LBB6_18188
; %bb.17993:
	s_mov_b32 s4, exec_lo
	s_mov_b32 s3, exec_lo
	v_mbcnt_lo_u32_b32 v0, s4, 0
	s_waitcnt lgkmcnt(0)
	s_waitcnt_vscnt null, 0x0
	buffer_gl1_inv
	buffer_gl0_inv
	v_cmpx_eq_u32_e32 0, v0
	s_cbranch_execz .LBB6_17995
; %bb.17994:
	s_bcnt1_i32_b32 s4, s4
	s_delay_alu instid0(SALU_CYCLE_1)
	v_dual_mov_b32 v3, 0 :: v_dual_mov_b32 v2, s4
	ds_add_u64 v0, v[2:3]
	s_cbranch_execnz .LBB6_18033
.LBB6_17995:
	s_or_b32 exec_lo, exec_lo, s3
	s_cbranch_execnz .LBB6_18012
; %bb.17996:
	v_ashrrev_i32_e32 v0, 31, v1
	s_mov_b32 s3, exec_lo
	s_delay_alu instid0(VALU_DEP_1) | instskip(NEXT) | instid1(VALU_DEP_1)
	v_lshrrev_b32_e32 v0, 27, v0
	v_add_nc_u32_e32 v0, v1, v0
	ds_load_b64 v[2:3], v0
	v_ashrrev_i32_e32 v0, 5, v0
	s_delay_alu instid0(VALU_DEP_1) | instskip(SKIP_1) | instid1(VALU_DEP_2)
	v_ashrrev_i32_e32 v1, 31, v0
	v_add_co_u32 v0, vcc_lo, v154, v0
	v_add_co_ci_u32_e32 v1, vcc_lo, v155, v1, vcc_lo
	s_waitcnt lgkmcnt(0)
	s_delay_alu instid0(VALU_DEP_1)
	v_cmpx_lt_u64_e64 v[2:3], v[0:1]
	s_cbranch_execz .LBB6_18187
; %bb.17997:
	s_mov_b32 s4, 0
	s_mov_b32 s7, 0
                                        ; implicit-def: $sgpr5
                                        ; implicit-def: $sgpr6
	s_branch .LBB6_18019
.LBB6_17998:
	s_trap 2
	s_sendmsg_rtn_b32 s0, sendmsg(MSG_RTN_GET_DOORBELL)
	s_mov_b32 ttmp2, m0
	s_waitcnt lgkmcnt(0)
	s_and_b32 s0, s0, 0x3ff
	s_delay_alu instid0(SALU_CYCLE_1) | instskip(NEXT) | instid1(SALU_CYCLE_1)
	s_bitset1_b32 s0, 10
	s_mov_b32 m0, s0
	s_sendmsg sendmsg(MSG_INTERRUPT)
	s_mov_b32 m0, ttmp2
.LBB6_17999:                            ; =>This Inner Loop Header: Depth=1
	s_sethalt 5
	s_branch .LBB6_17999
.LBB6_18000:
	s_trap 2
	s_sendmsg_rtn_b32 s0, sendmsg(MSG_RTN_GET_DOORBELL)
	s_mov_b32 ttmp2, m0
	s_waitcnt lgkmcnt(0)
	s_and_b32 s0, s0, 0x3ff
	s_delay_alu instid0(SALU_CYCLE_1) | instskip(NEXT) | instid1(SALU_CYCLE_1)
	s_bitset1_b32 s0, 10
	s_mov_b32 m0, s0
	s_sendmsg sendmsg(MSG_INTERRUPT)
	s_mov_b32 m0, ttmp2
.LBB6_18001:                            ; =>This Inner Loop Header: Depth=1
	s_sethalt 5
	s_branch .LBB6_18001
.LBB6_18002:
	s_trap 2
	s_sendmsg_rtn_b32 s0, sendmsg(MSG_RTN_GET_DOORBELL)
	s_mov_b32 ttmp2, m0
	s_waitcnt lgkmcnt(0)
	s_and_b32 s0, s0, 0x3ff
	s_delay_alu instid0(SALU_CYCLE_1) | instskip(NEXT) | instid1(SALU_CYCLE_1)
	s_bitset1_b32 s0, 10
	s_mov_b32 m0, s0
	s_sendmsg sendmsg(MSG_INTERRUPT)
	s_mov_b32 m0, ttmp2
.LBB6_18003:                            ; =>This Inner Loop Header: Depth=1
	s_sethalt 5
	s_branch .LBB6_18003
.LBB6_18004:
	s_trap 2
	s_sendmsg_rtn_b32 s0, sendmsg(MSG_RTN_GET_DOORBELL)
	s_mov_b32 ttmp2, m0
	s_waitcnt lgkmcnt(0)
	s_and_b32 s0, s0, 0x3ff
	s_delay_alu instid0(SALU_CYCLE_1) | instskip(NEXT) | instid1(SALU_CYCLE_1)
	s_bitset1_b32 s0, 10
	s_mov_b32 m0, s0
	s_sendmsg sendmsg(MSG_INTERRUPT)
	s_mov_b32 m0, ttmp2
.LBB6_18005:                            ; =>This Inner Loop Header: Depth=1
	s_sethalt 5
	s_branch .LBB6_18005
.LBB6_18006:
	s_trap 2
	s_sendmsg_rtn_b32 s0, sendmsg(MSG_RTN_GET_DOORBELL)
	s_mov_b32 ttmp2, m0
	s_waitcnt lgkmcnt(0)
	s_and_b32 s0, s0, 0x3ff
	s_delay_alu instid0(SALU_CYCLE_1) | instskip(NEXT) | instid1(SALU_CYCLE_1)
	s_bitset1_b32 s0, 10
	s_mov_b32 m0, s0
	s_sendmsg sendmsg(MSG_INTERRUPT)
	s_mov_b32 m0, ttmp2
.LBB6_18007:                            ; =>This Inner Loop Header: Depth=1
	s_sethalt 5
	s_branch .LBB6_18007
.LBB6_18008:
	s_trap 2
	s_sendmsg_rtn_b32 s0, sendmsg(MSG_RTN_GET_DOORBELL)
	s_mov_b32 ttmp2, m0
	s_waitcnt lgkmcnt(0)
	s_and_b32 s0, s0, 0x3ff
	s_delay_alu instid0(SALU_CYCLE_1) | instskip(NEXT) | instid1(SALU_CYCLE_1)
	s_bitset1_b32 s0, 10
	s_mov_b32 m0, s0
	s_sendmsg sendmsg(MSG_INTERRUPT)
	s_mov_b32 m0, ttmp2
.LBB6_18009:                            ; =>This Inner Loop Header: Depth=1
	s_sethalt 5
	s_branch .LBB6_18009
.LBB6_18010:
	s_trap 2
	s_sendmsg_rtn_b32 s0, sendmsg(MSG_RTN_GET_DOORBELL)
	s_mov_b32 ttmp2, m0
	s_waitcnt lgkmcnt(0)
	s_and_b32 s0, s0, 0x3ff
	s_delay_alu instid0(SALU_CYCLE_1) | instskip(NEXT) | instid1(SALU_CYCLE_1)
	s_bitset1_b32 s0, 10
	s_mov_b32 m0, s0
	s_sendmsg sendmsg(MSG_INTERRUPT)
	s_mov_b32 m0, ttmp2
.LBB6_18011:                            ; =>This Inner Loop Header: Depth=1
	s_sethalt 5
	s_branch .LBB6_18011
.LBB6_18012:
	s_trap 2
	s_sendmsg_rtn_b32 s0, sendmsg(MSG_RTN_GET_DOORBELL)
	s_mov_b32 ttmp2, m0
	s_waitcnt lgkmcnt(0)
	s_and_b32 s0, s0, 0x3ff
	s_delay_alu instid0(SALU_CYCLE_1) | instskip(NEXT) | instid1(SALU_CYCLE_1)
	s_bitset1_b32 s0, 10
	s_mov_b32 m0, s0
	s_sendmsg sendmsg(MSG_INTERRUPT)
	s_mov_b32 m0, ttmp2
.LBB6_18013:                            ; =>This Inner Loop Header: Depth=1
	s_sethalt 5
	s_branch .LBB6_18013
.LBB6_18014:
	s_trap 2
	s_sendmsg_rtn_b32 s0, sendmsg(MSG_RTN_GET_DOORBELL)
	s_mov_b32 ttmp2, m0
	s_waitcnt lgkmcnt(0)
	s_and_b32 s0, s0, 0x3ff
	s_delay_alu instid0(SALU_CYCLE_1) | instskip(NEXT) | instid1(SALU_CYCLE_1)
	s_bitset1_b32 s0, 10
	s_mov_b32 m0, s0
	s_sendmsg sendmsg(MSG_INTERRUPT)
	s_mov_b32 m0, ttmp2
.LBB6_18015:                            ; =>This Inner Loop Header: Depth=1
	s_sethalt 5
	s_branch .LBB6_18015
.LBB6_18016:
	s_trap 2
	s_sendmsg_rtn_b32 s0, sendmsg(MSG_RTN_GET_DOORBELL)
	s_mov_b32 ttmp2, m0
	s_waitcnt lgkmcnt(0)
	s_and_b32 s0, s0, 0x3ff
	s_delay_alu instid0(SALU_CYCLE_1) | instskip(NEXT) | instid1(SALU_CYCLE_1)
	s_bitset1_b32 s0, 10
	s_mov_b32 m0, s0
	s_sendmsg sendmsg(MSG_INTERRUPT)
	s_mov_b32 m0, ttmp2
.LBB6_18017:                            ; =>This Inner Loop Header: Depth=1
	s_sethalt 5
	s_branch .LBB6_18017
.LBB6_18018:                            ;   in Loop: Header=BB6_18019 Depth=1
	s_or_b32 exec_lo, exec_lo, s12
	s_delay_alu instid0(SALU_CYCLE_1) | instskip(NEXT) | instid1(SALU_CYCLE_1)
	s_and_b32 s10, exec_lo, s11
	s_or_b32 s4, s10, s4
	s_and_not1_b32 s5, s5, exec_lo
	s_and_b32 s10, s6, exec_lo
	s_delay_alu instid0(SALU_CYCLE_1)
	s_or_b32 s5, s5, s10
	s_and_not1_b32 exec_lo, exec_lo, s4
	s_cbranch_execz .LBB6_18185
.LBB6_18019:                            ; =>This Inner Loop Header: Depth=1
	s_add_i32 s7, s7, 1
                                        ; implicit-def: $sgpr11
	s_delay_alu instid0(SALU_CYCLE_1) | instskip(SKIP_1) | instid1(SALU_CYCLE_1)
	s_cmpk_lg_i32 s7, 0x2710
	s_cselect_b32 s10, -1, 0
	s_and_b32 vcc_lo, exec_lo, s10
	s_cbranch_vccz .LBB6_18023
.LBB6_18020:                            ;   in Loop: Header=BB6_18019 Depth=1
	s_and_not1_b32 s6, s6, exec_lo
	s_and_b32 s12, s11, exec_lo
	s_mov_b32 s11, -1
	s_or_b32 s6, s6, s12
	s_and_saveexec_b32 s12, s10
	s_cbranch_execz .LBB6_18018
; %bb.18021:                            ;   in Loop: Header=BB6_18019 Depth=1
	s_sleep 1
	s_cbranch_execnz .LBB6_18071
; %bb.18022:                            ;   in Loop: Header=BB6_18019 Depth=1
	ds_load_b64 v[2:3], v0
	s_and_not1_b32 s6, s6, exec_lo
	s_waitcnt lgkmcnt(0)
	v_cmp_ge_u64_e32 vcc_lo, v[2:3], v[0:1]
	s_or_not1_b32 s11, vcc_lo, exec_lo
	s_branch .LBB6_18018
.LBB6_18023:                            ;   in Loop: Header=BB6_18019 Depth=1
	s_cbranch_execnz .LBB6_18073
; %bb.18024:                            ;   in Loop: Header=BB6_18019 Depth=1
	ds_load_b64 v[2:3], v0
	s_and_not1_b32 s10, s10, exec_lo
	s_mov_b32 s7, 0
	s_mov_b32 s11, -1
	s_waitcnt lgkmcnt(0)
	flat_load_b32 v2, v[2:3] glc
	s_waitcnt vmcnt(0) lgkmcnt(0)
	buffer_gl1_inv
	buffer_gl0_inv
	v_cmp_eq_u32_e32 vcc_lo, 0, v2
	s_and_b32 s12, vcc_lo, exec_lo
	s_delay_alu instid0(SALU_CYCLE_1)
	s_or_b32 s10, s10, s12
	s_branch .LBB6_18020
.LBB6_18025:
	s_trap 2
	s_sendmsg_rtn_b32 s0, sendmsg(MSG_RTN_GET_DOORBELL)
	s_mov_b32 ttmp2, m0
	s_waitcnt lgkmcnt(0)
	s_and_b32 s0, s0, 0x3ff
	s_delay_alu instid0(SALU_CYCLE_1) | instskip(NEXT) | instid1(SALU_CYCLE_1)
	s_bitset1_b32 s0, 10
	s_mov_b32 m0, s0
	s_sendmsg sendmsg(MSG_INTERRUPT)
	s_mov_b32 m0, ttmp2
.LBB6_18026:                            ; =>This Inner Loop Header: Depth=1
	s_sethalt 5
	s_branch .LBB6_18026
.LBB6_18027:
	s_trap 2
	s_sendmsg_rtn_b32 s0, sendmsg(MSG_RTN_GET_DOORBELL)
	s_mov_b32 ttmp2, m0
	s_waitcnt lgkmcnt(0)
	s_and_b32 s0, s0, 0x3ff
	s_delay_alu instid0(SALU_CYCLE_1) | instskip(NEXT) | instid1(SALU_CYCLE_1)
	s_bitset1_b32 s0, 10
	s_mov_b32 m0, s0
	s_sendmsg sendmsg(MSG_INTERRUPT)
	s_mov_b32 m0, ttmp2
.LBB6_18028:                            ; =>This Inner Loop Header: Depth=1
	s_sethalt 5
	s_branch .LBB6_18028
.LBB6_18029:
	s_trap 2
	s_sendmsg_rtn_b32 s0, sendmsg(MSG_RTN_GET_DOORBELL)
	s_mov_b32 ttmp2, m0
	s_waitcnt lgkmcnt(0)
	s_and_b32 s0, s0, 0x3ff
	s_delay_alu instid0(SALU_CYCLE_1) | instskip(NEXT) | instid1(SALU_CYCLE_1)
	s_bitset1_b32 s0, 10
	s_mov_b32 m0, s0
	s_sendmsg sendmsg(MSG_INTERRUPT)
	s_mov_b32 m0, ttmp2
.LBB6_18030:                            ; =>This Inner Loop Header: Depth=1
	s_sethalt 5
	s_branch .LBB6_18030
.LBB6_18031:
	s_trap 2
	s_sendmsg_rtn_b32 s0, sendmsg(MSG_RTN_GET_DOORBELL)
	s_mov_b32 ttmp2, m0
	s_waitcnt lgkmcnt(0)
	s_and_b32 s0, s0, 0x3ff
	s_delay_alu instid0(SALU_CYCLE_1) | instskip(NEXT) | instid1(SALU_CYCLE_1)
	s_bitset1_b32 s0, 10
	s_mov_b32 m0, s0
	s_sendmsg sendmsg(MSG_INTERRUPT)
	s_mov_b32 m0, ttmp2
.LBB6_18032:                            ; =>This Inner Loop Header: Depth=1
	s_sethalt 5
	s_branch .LBB6_18032
.LBB6_18033:
	s_trap 2
	s_sendmsg_rtn_b32 s0, sendmsg(MSG_RTN_GET_DOORBELL)
	s_mov_b32 ttmp2, m0
	s_waitcnt lgkmcnt(0)
	s_and_b32 s0, s0, 0x3ff
	s_delay_alu instid0(SALU_CYCLE_1) | instskip(NEXT) | instid1(SALU_CYCLE_1)
	s_bitset1_b32 s0, 10
	s_mov_b32 m0, s0
	s_sendmsg sendmsg(MSG_INTERRUPT)
	s_mov_b32 m0, ttmp2
.LBB6_18034:                            ; =>This Inner Loop Header: Depth=1
	s_sethalt 5
	s_branch .LBB6_18034
.LBB6_18035:
	s_trap 2
	s_sendmsg_rtn_b32 s0, sendmsg(MSG_RTN_GET_DOORBELL)
	s_mov_b32 ttmp2, m0
	s_waitcnt lgkmcnt(0)
	s_and_b32 s0, s0, 0x3ff
	s_delay_alu instid0(SALU_CYCLE_1) | instskip(NEXT) | instid1(SALU_CYCLE_1)
	s_bitset1_b32 s0, 10
	s_mov_b32 m0, s0
	s_sendmsg sendmsg(MSG_INTERRUPT)
	s_mov_b32 m0, ttmp2
.LBB6_18036:                            ; =>This Inner Loop Header: Depth=1
	s_sethalt 5
	s_branch .LBB6_18036
.LBB6_18037:
	s_trap 2
	s_sendmsg_rtn_b32 s0, sendmsg(MSG_RTN_GET_DOORBELL)
	s_mov_b32 ttmp2, m0
	s_waitcnt lgkmcnt(0)
	s_and_b32 s0, s0, 0x3ff
	s_delay_alu instid0(SALU_CYCLE_1) | instskip(NEXT) | instid1(SALU_CYCLE_1)
	s_bitset1_b32 s0, 10
	s_mov_b32 m0, s0
	s_sendmsg sendmsg(MSG_INTERRUPT)
	s_mov_b32 m0, ttmp2
.LBB6_18038:                            ; =>This Inner Loop Header: Depth=1
	s_sethalt 5
	s_branch .LBB6_18038
.LBB6_18039:
	s_trap 2
	s_sendmsg_rtn_b32 s0, sendmsg(MSG_RTN_GET_DOORBELL)
	s_mov_b32 ttmp2, m0
	s_waitcnt lgkmcnt(0)
	s_and_b32 s0, s0, 0x3ff
	s_delay_alu instid0(SALU_CYCLE_1) | instskip(NEXT) | instid1(SALU_CYCLE_1)
	s_bitset1_b32 s0, 10
	s_mov_b32 m0, s0
	s_sendmsg sendmsg(MSG_INTERRUPT)
	s_mov_b32 m0, ttmp2
.LBB6_18040:                            ; =>This Inner Loop Header: Depth=1
	s_sethalt 5
	s_branch .LBB6_18040
.LBB6_18041:
	s_trap 2
	s_sendmsg_rtn_b32 s0, sendmsg(MSG_RTN_GET_DOORBELL)
	s_mov_b32 ttmp2, m0
	s_waitcnt lgkmcnt(0)
	s_and_b32 s0, s0, 0x3ff
	s_delay_alu instid0(SALU_CYCLE_1) | instskip(NEXT) | instid1(SALU_CYCLE_1)
	s_bitset1_b32 s0, 10
	s_mov_b32 m0, s0
	s_sendmsg sendmsg(MSG_INTERRUPT)
	s_mov_b32 m0, ttmp2
.LBB6_18042:                            ; =>This Inner Loop Header: Depth=1
	s_sethalt 5
	s_branch .LBB6_18042
.LBB6_18043:
	s_trap 2
	s_sendmsg_rtn_b32 s0, sendmsg(MSG_RTN_GET_DOORBELL)
	s_mov_b32 ttmp2, m0
	s_waitcnt lgkmcnt(0)
	s_and_b32 s0, s0, 0x3ff
	s_delay_alu instid0(SALU_CYCLE_1) | instskip(NEXT) | instid1(SALU_CYCLE_1)
	s_bitset1_b32 s0, 10
	s_mov_b32 m0, s0
	s_sendmsg sendmsg(MSG_INTERRUPT)
	s_mov_b32 m0, ttmp2
.LBB6_18044:                            ; =>This Inner Loop Header: Depth=1
	s_sethalt 5
	s_branch .LBB6_18044
.LBB6_18045:
	s_trap 2
	s_sendmsg_rtn_b32 s0, sendmsg(MSG_RTN_GET_DOORBELL)
	s_mov_b32 ttmp2, m0
	s_waitcnt lgkmcnt(0)
	s_and_b32 s0, s0, 0x3ff
	s_delay_alu instid0(SALU_CYCLE_1) | instskip(NEXT) | instid1(SALU_CYCLE_1)
	s_bitset1_b32 s0, 10
	s_mov_b32 m0, s0
	s_sendmsg sendmsg(MSG_INTERRUPT)
	s_mov_b32 m0, ttmp2
.LBB6_18046:                            ; =>This Inner Loop Header: Depth=1
	s_sethalt 5
	s_branch .LBB6_18046
.LBB6_18047:
	s_trap 2
	s_sendmsg_rtn_b32 s0, sendmsg(MSG_RTN_GET_DOORBELL)
	s_mov_b32 ttmp2, m0
	s_waitcnt lgkmcnt(0)
	s_and_b32 s0, s0, 0x3ff
	s_delay_alu instid0(SALU_CYCLE_1) | instskip(NEXT) | instid1(SALU_CYCLE_1)
	s_bitset1_b32 s0, 10
	s_mov_b32 m0, s0
	s_sendmsg sendmsg(MSG_INTERRUPT)
	s_mov_b32 m0, ttmp2
.LBB6_18048:                            ; =>This Inner Loop Header: Depth=1
	s_sethalt 5
	s_branch .LBB6_18048
.LBB6_18049:
	s_trap 2
	s_sendmsg_rtn_b32 s0, sendmsg(MSG_RTN_GET_DOORBELL)
	s_mov_b32 ttmp2, m0
	s_waitcnt lgkmcnt(0)
	s_and_b32 s0, s0, 0x3ff
	s_delay_alu instid0(SALU_CYCLE_1) | instskip(NEXT) | instid1(SALU_CYCLE_1)
	s_bitset1_b32 s0, 10
	s_mov_b32 m0, s0
	s_sendmsg sendmsg(MSG_INTERRUPT)
	s_mov_b32 m0, ttmp2
.LBB6_18050:                            ; =>This Inner Loop Header: Depth=1
	s_sethalt 5
	s_branch .LBB6_18050
.LBB6_18051:
	s_trap 2
	s_sendmsg_rtn_b32 s0, sendmsg(MSG_RTN_GET_DOORBELL)
	s_mov_b32 ttmp2, m0
	s_waitcnt lgkmcnt(0)
	s_and_b32 s0, s0, 0x3ff
	s_delay_alu instid0(SALU_CYCLE_1) | instskip(NEXT) | instid1(SALU_CYCLE_1)
	s_bitset1_b32 s0, 10
	s_mov_b32 m0, s0
	s_sendmsg sendmsg(MSG_INTERRUPT)
	s_mov_b32 m0, ttmp2
.LBB6_18052:                            ; =>This Inner Loop Header: Depth=1
	s_sethalt 5
	s_branch .LBB6_18052
.LBB6_18053:
	s_trap 2
	s_sendmsg_rtn_b32 s0, sendmsg(MSG_RTN_GET_DOORBELL)
	s_mov_b32 ttmp2, m0
	s_waitcnt lgkmcnt(0)
	s_and_b32 s0, s0, 0x3ff
	s_delay_alu instid0(SALU_CYCLE_1) | instskip(NEXT) | instid1(SALU_CYCLE_1)
	s_bitset1_b32 s0, 10
	s_mov_b32 m0, s0
	s_sendmsg sendmsg(MSG_INTERRUPT)
	s_mov_b32 m0, ttmp2
.LBB6_18054:                            ; =>This Inner Loop Header: Depth=1
	s_sethalt 5
	s_branch .LBB6_18054
.LBB6_18055:
	s_trap 2
	s_sendmsg_rtn_b32 s0, sendmsg(MSG_RTN_GET_DOORBELL)
	s_mov_b32 ttmp2, m0
	s_waitcnt lgkmcnt(0)
	s_and_b32 s0, s0, 0x3ff
	s_delay_alu instid0(SALU_CYCLE_1) | instskip(NEXT) | instid1(SALU_CYCLE_1)
	s_bitset1_b32 s0, 10
	s_mov_b32 m0, s0
	s_sendmsg sendmsg(MSG_INTERRUPT)
	s_mov_b32 m0, ttmp2
.LBB6_18056:                            ; =>This Inner Loop Header: Depth=1
	s_sethalt 5
	s_branch .LBB6_18056
.LBB6_18057:
	s_trap 2
	s_sendmsg_rtn_b32 s0, sendmsg(MSG_RTN_GET_DOORBELL)
	s_mov_b32 ttmp2, m0
	s_waitcnt lgkmcnt(0)
	s_and_b32 s0, s0, 0x3ff
	s_delay_alu instid0(SALU_CYCLE_1) | instskip(NEXT) | instid1(SALU_CYCLE_1)
	s_bitset1_b32 s0, 10
	s_mov_b32 m0, s0
	s_sendmsg sendmsg(MSG_INTERRUPT)
	s_mov_b32 m0, ttmp2
.LBB6_18058:                            ; =>This Inner Loop Header: Depth=1
	s_sethalt 5
	s_branch .LBB6_18058
.LBB6_18059:
	s_trap 2
	s_sendmsg_rtn_b32 s0, sendmsg(MSG_RTN_GET_DOORBELL)
	s_mov_b32 ttmp2, m0
	s_waitcnt lgkmcnt(0)
	s_and_b32 s0, s0, 0x3ff
	s_delay_alu instid0(SALU_CYCLE_1) | instskip(NEXT) | instid1(SALU_CYCLE_1)
	s_bitset1_b32 s0, 10
	s_mov_b32 m0, s0
	s_sendmsg sendmsg(MSG_INTERRUPT)
	s_mov_b32 m0, ttmp2
.LBB6_18060:                            ; =>This Inner Loop Header: Depth=1
	s_sethalt 5
	s_branch .LBB6_18060
.LBB6_18061:
	s_trap 2
	s_sendmsg_rtn_b32 s0, sendmsg(MSG_RTN_GET_DOORBELL)
	s_mov_b32 ttmp2, m0
	s_waitcnt lgkmcnt(0)
	s_and_b32 s0, s0, 0x3ff
	s_delay_alu instid0(SALU_CYCLE_1) | instskip(NEXT) | instid1(SALU_CYCLE_1)
	s_bitset1_b32 s0, 10
	s_mov_b32 m0, s0
	s_sendmsg sendmsg(MSG_INTERRUPT)
	s_mov_b32 m0, ttmp2
.LBB6_18062:                            ; =>This Inner Loop Header: Depth=1
	s_sethalt 5
	s_branch .LBB6_18062
.LBB6_18063:
	s_trap 2
	s_sendmsg_rtn_b32 s0, sendmsg(MSG_RTN_GET_DOORBELL)
	s_mov_b32 ttmp2, m0
	s_waitcnt lgkmcnt(0)
	s_and_b32 s0, s0, 0x3ff
	s_delay_alu instid0(SALU_CYCLE_1) | instskip(NEXT) | instid1(SALU_CYCLE_1)
	s_bitset1_b32 s0, 10
	s_mov_b32 m0, s0
	s_sendmsg sendmsg(MSG_INTERRUPT)
	s_mov_b32 m0, ttmp2
.LBB6_18064:                            ; =>This Inner Loop Header: Depth=1
	s_sethalt 5
	s_branch .LBB6_18064
.LBB6_18065:
	s_trap 2
	s_sendmsg_rtn_b32 s0, sendmsg(MSG_RTN_GET_DOORBELL)
	s_mov_b32 ttmp2, m0
	s_waitcnt lgkmcnt(0)
	s_and_b32 s0, s0, 0x3ff
	s_delay_alu instid0(SALU_CYCLE_1) | instskip(NEXT) | instid1(SALU_CYCLE_1)
	s_bitset1_b32 s0, 10
	s_mov_b32 m0, s0
	s_sendmsg sendmsg(MSG_INTERRUPT)
	s_mov_b32 m0, ttmp2
.LBB6_18066:                            ; =>This Inner Loop Header: Depth=1
	s_sethalt 5
	s_branch .LBB6_18066
.LBB6_18067:
	s_trap 2
	s_sendmsg_rtn_b32 s0, sendmsg(MSG_RTN_GET_DOORBELL)
	s_mov_b32 ttmp2, m0
	s_waitcnt lgkmcnt(0)
	s_and_b32 s0, s0, 0x3ff
	s_delay_alu instid0(SALU_CYCLE_1) | instskip(NEXT) | instid1(SALU_CYCLE_1)
	s_bitset1_b32 s0, 10
	s_mov_b32 m0, s0
	s_sendmsg sendmsg(MSG_INTERRUPT)
	s_mov_b32 m0, ttmp2
.LBB6_18068:                            ; =>This Inner Loop Header: Depth=1
	s_sethalt 5
	s_branch .LBB6_18068
.LBB6_18069:
	s_trap 2
	s_sendmsg_rtn_b32 s0, sendmsg(MSG_RTN_GET_DOORBELL)
	s_mov_b32 ttmp2, m0
	s_waitcnt lgkmcnt(0)
	s_and_b32 s0, s0, 0x3ff
	s_delay_alu instid0(SALU_CYCLE_1) | instskip(NEXT) | instid1(SALU_CYCLE_1)
	s_bitset1_b32 s0, 10
	s_mov_b32 m0, s0
	s_sendmsg sendmsg(MSG_INTERRUPT)
	s_mov_b32 m0, ttmp2
.LBB6_18070:                            ; =>This Inner Loop Header: Depth=1
	s_sethalt 5
	s_branch .LBB6_18070
.LBB6_18071:
	s_trap 2
	s_sendmsg_rtn_b32 s0, sendmsg(MSG_RTN_GET_DOORBELL)
	s_mov_b32 ttmp2, m0
	s_waitcnt lgkmcnt(0)
	s_and_b32 s0, s0, 0x3ff
	s_delay_alu instid0(SALU_CYCLE_1) | instskip(NEXT) | instid1(SALU_CYCLE_1)
	s_bitset1_b32 s0, 10
	s_mov_b32 m0, s0
	s_sendmsg sendmsg(MSG_INTERRUPT)
	s_mov_b32 m0, ttmp2
.LBB6_18072:                            ; =>This Inner Loop Header: Depth=1
	s_sethalt 5
	s_branch .LBB6_18072
.LBB6_18073:
	s_trap 2
	s_sendmsg_rtn_b32 s0, sendmsg(MSG_RTN_GET_DOORBELL)
	s_mov_b32 ttmp2, m0
	s_waitcnt lgkmcnt(0)
	s_and_b32 s0, s0, 0x3ff
	s_delay_alu instid0(SALU_CYCLE_1) | instskip(NEXT) | instid1(SALU_CYCLE_1)
	s_bitset1_b32 s0, 10
	s_mov_b32 m0, s0
	s_sendmsg sendmsg(MSG_INTERRUPT)
	s_mov_b32 m0, ttmp2
.LBB6_18074:                            ; =>This Inner Loop Header: Depth=1
	s_sethalt 5
	s_branch .LBB6_18074
.LBB6_18075:
	s_trap 2
	s_sendmsg_rtn_b32 s0, sendmsg(MSG_RTN_GET_DOORBELL)
	s_mov_b32 ttmp2, m0
	s_waitcnt lgkmcnt(0)
	s_and_b32 s0, s0, 0x3ff
	s_delay_alu instid0(SALU_CYCLE_1) | instskip(NEXT) | instid1(SALU_CYCLE_1)
	s_bitset1_b32 s0, 10
	s_mov_b32 m0, s0
	s_sendmsg sendmsg(MSG_INTERRUPT)
	s_mov_b32 m0, ttmp2
.LBB6_18076:                            ; =>This Inner Loop Header: Depth=1
	s_sethalt 5
	s_branch .LBB6_18076
.LBB6_18077:
	s_trap 2
	s_sendmsg_rtn_b32 s0, sendmsg(MSG_RTN_GET_DOORBELL)
	s_mov_b32 ttmp2, m0
	s_waitcnt lgkmcnt(0)
	s_and_b32 s0, s0, 0x3ff
	s_delay_alu instid0(SALU_CYCLE_1) | instskip(NEXT) | instid1(SALU_CYCLE_1)
	s_bitset1_b32 s0, 10
	s_mov_b32 m0, s0
	s_sendmsg sendmsg(MSG_INTERRUPT)
	s_mov_b32 m0, ttmp2
.LBB6_18078:                            ; =>This Inner Loop Header: Depth=1
	s_sethalt 5
	s_branch .LBB6_18078
.LBB6_18079:
	s_trap 2
	s_sendmsg_rtn_b32 s0, sendmsg(MSG_RTN_GET_DOORBELL)
	s_mov_b32 ttmp2, m0
	s_waitcnt lgkmcnt(0)
	s_and_b32 s0, s0, 0x3ff
	s_delay_alu instid0(SALU_CYCLE_1) | instskip(NEXT) | instid1(SALU_CYCLE_1)
	s_bitset1_b32 s0, 10
	s_mov_b32 m0, s0
	s_sendmsg sendmsg(MSG_INTERRUPT)
	s_mov_b32 m0, ttmp2
.LBB6_18080:                            ; =>This Inner Loop Header: Depth=1
	s_sethalt 5
	s_branch .LBB6_18080
.LBB6_18081:
	s_trap 2
	s_sendmsg_rtn_b32 s0, sendmsg(MSG_RTN_GET_DOORBELL)
	s_mov_b32 ttmp2, m0
	s_waitcnt lgkmcnt(0)
	s_and_b32 s0, s0, 0x3ff
	s_delay_alu instid0(SALU_CYCLE_1) | instskip(NEXT) | instid1(SALU_CYCLE_1)
	s_bitset1_b32 s0, 10
	s_mov_b32 m0, s0
	s_sendmsg sendmsg(MSG_INTERRUPT)
	s_mov_b32 m0, ttmp2
.LBB6_18082:                            ; =>This Inner Loop Header: Depth=1
	s_sethalt 5
	s_branch .LBB6_18082
.LBB6_18083:
	s_trap 2
	s_sendmsg_rtn_b32 s0, sendmsg(MSG_RTN_GET_DOORBELL)
	s_mov_b32 ttmp2, m0
	s_waitcnt lgkmcnt(0)
	s_and_b32 s0, s0, 0x3ff
	s_delay_alu instid0(SALU_CYCLE_1) | instskip(NEXT) | instid1(SALU_CYCLE_1)
	s_bitset1_b32 s0, 10
	s_mov_b32 m0, s0
	s_sendmsg sendmsg(MSG_INTERRUPT)
	s_mov_b32 m0, ttmp2
.LBB6_18084:                            ; =>This Inner Loop Header: Depth=1
	s_sethalt 5
	s_branch .LBB6_18084
.LBB6_18085:
	s_trap 2
	s_sendmsg_rtn_b32 s0, sendmsg(MSG_RTN_GET_DOORBELL)
	s_mov_b32 ttmp2, m0
	s_waitcnt lgkmcnt(0)
	s_and_b32 s0, s0, 0x3ff
	s_delay_alu instid0(SALU_CYCLE_1) | instskip(NEXT) | instid1(SALU_CYCLE_1)
	s_bitset1_b32 s0, 10
	s_mov_b32 m0, s0
	s_sendmsg sendmsg(MSG_INTERRUPT)
	s_mov_b32 m0, ttmp2
.LBB6_18086:                            ; =>This Inner Loop Header: Depth=1
	s_sethalt 5
	s_branch .LBB6_18086
.LBB6_18087:
	s_trap 2
	s_sendmsg_rtn_b32 s0, sendmsg(MSG_RTN_GET_DOORBELL)
	s_mov_b32 ttmp2, m0
	s_waitcnt lgkmcnt(0)
	s_and_b32 s0, s0, 0x3ff
	s_delay_alu instid0(SALU_CYCLE_1) | instskip(NEXT) | instid1(SALU_CYCLE_1)
	s_bitset1_b32 s0, 10
	s_mov_b32 m0, s0
	s_sendmsg sendmsg(MSG_INTERRUPT)
	s_mov_b32 m0, ttmp2
.LBB6_18088:                            ; =>This Inner Loop Header: Depth=1
	s_sethalt 5
	s_branch .LBB6_18088
.LBB6_18089:
	s_trap 2
	s_sendmsg_rtn_b32 s0, sendmsg(MSG_RTN_GET_DOORBELL)
	s_mov_b32 ttmp2, m0
	s_waitcnt lgkmcnt(0)
	s_and_b32 s0, s0, 0x3ff
	s_delay_alu instid0(SALU_CYCLE_1) | instskip(NEXT) | instid1(SALU_CYCLE_1)
	s_bitset1_b32 s0, 10
	s_mov_b32 m0, s0
	s_sendmsg sendmsg(MSG_INTERRUPT)
	s_mov_b32 m0, ttmp2
.LBB6_18090:                            ; =>This Inner Loop Header: Depth=1
	s_sethalt 5
	s_branch .LBB6_18090
.LBB6_18091:
	s_trap 2
	s_sendmsg_rtn_b32 s0, sendmsg(MSG_RTN_GET_DOORBELL)
	s_mov_b32 ttmp2, m0
	s_waitcnt lgkmcnt(0)
	s_and_b32 s0, s0, 0x3ff
	s_delay_alu instid0(SALU_CYCLE_1) | instskip(NEXT) | instid1(SALU_CYCLE_1)
	s_bitset1_b32 s0, 10
	s_mov_b32 m0, s0
	s_sendmsg sendmsg(MSG_INTERRUPT)
	s_mov_b32 m0, ttmp2
.LBB6_18092:                            ; =>This Inner Loop Header: Depth=1
	s_sethalt 5
	s_branch .LBB6_18092
.LBB6_18093:
	s_trap 2
	s_sendmsg_rtn_b32 s0, sendmsg(MSG_RTN_GET_DOORBELL)
	s_mov_b32 ttmp2, m0
	s_waitcnt lgkmcnt(0)
	s_and_b32 s0, s0, 0x3ff
	s_delay_alu instid0(SALU_CYCLE_1) | instskip(NEXT) | instid1(SALU_CYCLE_1)
	s_bitset1_b32 s0, 10
	s_mov_b32 m0, s0
	s_sendmsg sendmsg(MSG_INTERRUPT)
	s_mov_b32 m0, ttmp2
.LBB6_18094:                            ; =>This Inner Loop Header: Depth=1
	s_sethalt 5
	s_branch .LBB6_18094
.LBB6_18095:
	s_trap 2
	s_sendmsg_rtn_b32 s0, sendmsg(MSG_RTN_GET_DOORBELL)
	s_mov_b32 ttmp2, m0
	s_waitcnt lgkmcnt(0)
	s_and_b32 s0, s0, 0x3ff
	s_delay_alu instid0(SALU_CYCLE_1) | instskip(NEXT) | instid1(SALU_CYCLE_1)
	s_bitset1_b32 s0, 10
	s_mov_b32 m0, s0
	s_sendmsg sendmsg(MSG_INTERRUPT)
	s_mov_b32 m0, ttmp2
.LBB6_18096:                            ; =>This Inner Loop Header: Depth=1
	s_sethalt 5
	s_branch .LBB6_18096
.LBB6_18097:
	s_trap 2
	s_sendmsg_rtn_b32 s0, sendmsg(MSG_RTN_GET_DOORBELL)
	s_mov_b32 ttmp2, m0
	s_waitcnt lgkmcnt(0)
	s_and_b32 s0, s0, 0x3ff
	s_delay_alu instid0(SALU_CYCLE_1) | instskip(NEXT) | instid1(SALU_CYCLE_1)
	s_bitset1_b32 s0, 10
	s_mov_b32 m0, s0
	s_sendmsg sendmsg(MSG_INTERRUPT)
	s_mov_b32 m0, ttmp2
.LBB6_18098:                            ; =>This Inner Loop Header: Depth=1
	s_sethalt 5
	s_branch .LBB6_18098
.LBB6_18099:
	s_trap 2
	s_sendmsg_rtn_b32 s0, sendmsg(MSG_RTN_GET_DOORBELL)
	s_mov_b32 ttmp2, m0
	s_waitcnt lgkmcnt(0)
	s_and_b32 s0, s0, 0x3ff
	s_delay_alu instid0(SALU_CYCLE_1) | instskip(NEXT) | instid1(SALU_CYCLE_1)
	s_bitset1_b32 s0, 10
	s_mov_b32 m0, s0
	s_sendmsg sendmsg(MSG_INTERRUPT)
	s_mov_b32 m0, ttmp2
.LBB6_18100:                            ; =>This Inner Loop Header: Depth=1
	s_sethalt 5
	s_branch .LBB6_18100
.LBB6_18101:
	s_trap 2
	s_sendmsg_rtn_b32 s0, sendmsg(MSG_RTN_GET_DOORBELL)
	s_mov_b32 ttmp2, m0
	s_waitcnt lgkmcnt(0)
	s_and_b32 s0, s0, 0x3ff
	s_delay_alu instid0(SALU_CYCLE_1) | instskip(NEXT) | instid1(SALU_CYCLE_1)
	s_bitset1_b32 s0, 10
	s_mov_b32 m0, s0
	s_sendmsg sendmsg(MSG_INTERRUPT)
	s_mov_b32 m0, ttmp2
.LBB6_18102:                            ; =>This Inner Loop Header: Depth=1
	s_sethalt 5
	s_branch .LBB6_18102
.LBB6_18103:
	s_trap 2
	s_sendmsg_rtn_b32 s0, sendmsg(MSG_RTN_GET_DOORBELL)
	s_mov_b32 ttmp2, m0
	s_waitcnt lgkmcnt(0)
	s_and_b32 s0, s0, 0x3ff
	s_delay_alu instid0(SALU_CYCLE_1) | instskip(NEXT) | instid1(SALU_CYCLE_1)
	s_bitset1_b32 s0, 10
	s_mov_b32 m0, s0
	s_sendmsg sendmsg(MSG_INTERRUPT)
	s_mov_b32 m0, ttmp2
.LBB6_18104:                            ; =>This Inner Loop Header: Depth=1
	s_sethalt 5
	s_branch .LBB6_18104
.LBB6_18105:
	s_trap 2
	s_sendmsg_rtn_b32 s0, sendmsg(MSG_RTN_GET_DOORBELL)
	s_mov_b32 ttmp2, m0
	s_waitcnt lgkmcnt(0)
	s_and_b32 s0, s0, 0x3ff
	s_delay_alu instid0(SALU_CYCLE_1) | instskip(NEXT) | instid1(SALU_CYCLE_1)
	s_bitset1_b32 s0, 10
	s_mov_b32 m0, s0
	s_sendmsg sendmsg(MSG_INTERRUPT)
	s_mov_b32 m0, ttmp2
.LBB6_18106:                            ; =>This Inner Loop Header: Depth=1
	s_sethalt 5
	s_branch .LBB6_18106
.LBB6_18107:
	s_trap 2
	s_sendmsg_rtn_b32 s0, sendmsg(MSG_RTN_GET_DOORBELL)
	s_mov_b32 ttmp2, m0
	s_waitcnt lgkmcnt(0)
	s_and_b32 s0, s0, 0x3ff
	s_delay_alu instid0(SALU_CYCLE_1) | instskip(NEXT) | instid1(SALU_CYCLE_1)
	s_bitset1_b32 s0, 10
	s_mov_b32 m0, s0
	s_sendmsg sendmsg(MSG_INTERRUPT)
	s_mov_b32 m0, ttmp2
.LBB6_18108:                            ; =>This Inner Loop Header: Depth=1
	s_sethalt 5
	s_branch .LBB6_18108
.LBB6_18109:
	s_trap 2
	s_sendmsg_rtn_b32 s0, sendmsg(MSG_RTN_GET_DOORBELL)
	s_mov_b32 ttmp2, m0
	s_waitcnt lgkmcnt(0)
	s_and_b32 s0, s0, 0x3ff
	s_delay_alu instid0(SALU_CYCLE_1) | instskip(NEXT) | instid1(SALU_CYCLE_1)
	s_bitset1_b32 s0, 10
	s_mov_b32 m0, s0
	s_sendmsg sendmsg(MSG_INTERRUPT)
	s_mov_b32 m0, ttmp2
.LBB6_18110:                            ; =>This Inner Loop Header: Depth=1
	s_sethalt 5
	s_branch .LBB6_18110
.LBB6_18111:
	s_trap 2
	s_sendmsg_rtn_b32 s0, sendmsg(MSG_RTN_GET_DOORBELL)
	s_mov_b32 ttmp2, m0
	s_waitcnt lgkmcnt(0)
	s_and_b32 s0, s0, 0x3ff
	s_delay_alu instid0(SALU_CYCLE_1) | instskip(NEXT) | instid1(SALU_CYCLE_1)
	s_bitset1_b32 s0, 10
	s_mov_b32 m0, s0
	s_sendmsg sendmsg(MSG_INTERRUPT)
	s_mov_b32 m0, ttmp2
.LBB6_18112:                            ; =>This Inner Loop Header: Depth=1
	s_sethalt 5
	s_branch .LBB6_18112
.LBB6_18113:
	s_trap 2
	s_sendmsg_rtn_b32 s0, sendmsg(MSG_RTN_GET_DOORBELL)
	s_mov_b32 ttmp2, m0
	s_waitcnt lgkmcnt(0)
	s_and_b32 s0, s0, 0x3ff
	s_delay_alu instid0(SALU_CYCLE_1) | instskip(NEXT) | instid1(SALU_CYCLE_1)
	s_bitset1_b32 s0, 10
	s_mov_b32 m0, s0
	s_sendmsg sendmsg(MSG_INTERRUPT)
	s_mov_b32 m0, ttmp2
.LBB6_18114:                            ; =>This Inner Loop Header: Depth=1
	s_sethalt 5
	s_branch .LBB6_18114
.LBB6_18115:
	s_trap 2
	s_sendmsg_rtn_b32 s0, sendmsg(MSG_RTN_GET_DOORBELL)
	s_mov_b32 ttmp2, m0
	s_waitcnt lgkmcnt(0)
	s_and_b32 s0, s0, 0x3ff
	s_delay_alu instid0(SALU_CYCLE_1) | instskip(NEXT) | instid1(SALU_CYCLE_1)
	s_bitset1_b32 s0, 10
	s_mov_b32 m0, s0
	s_sendmsg sendmsg(MSG_INTERRUPT)
	s_mov_b32 m0, ttmp2
.LBB6_18116:                            ; =>This Inner Loop Header: Depth=1
	s_sethalt 5
	s_branch .LBB6_18116
.LBB6_18117:
	s_trap 2
	s_sendmsg_rtn_b32 s0, sendmsg(MSG_RTN_GET_DOORBELL)
	s_mov_b32 ttmp2, m0
	s_waitcnt lgkmcnt(0)
	s_and_b32 s0, s0, 0x3ff
	s_delay_alu instid0(SALU_CYCLE_1) | instskip(NEXT) | instid1(SALU_CYCLE_1)
	s_bitset1_b32 s0, 10
	s_mov_b32 m0, s0
	s_sendmsg sendmsg(MSG_INTERRUPT)
	s_mov_b32 m0, ttmp2
.LBB6_18118:                            ; =>This Inner Loop Header: Depth=1
	s_sethalt 5
	s_branch .LBB6_18118
.LBB6_18119:
	s_trap 2
	s_sendmsg_rtn_b32 s0, sendmsg(MSG_RTN_GET_DOORBELL)
	s_mov_b32 ttmp2, m0
	s_waitcnt lgkmcnt(0)
	s_and_b32 s0, s0, 0x3ff
	s_delay_alu instid0(SALU_CYCLE_1) | instskip(NEXT) | instid1(SALU_CYCLE_1)
	s_bitset1_b32 s0, 10
	s_mov_b32 m0, s0
	s_sendmsg sendmsg(MSG_INTERRUPT)
	s_mov_b32 m0, ttmp2
.LBB6_18120:                            ; =>This Inner Loop Header: Depth=1
	s_sethalt 5
	s_branch .LBB6_18120
.LBB6_18121:
	s_trap 2
	s_sendmsg_rtn_b32 s0, sendmsg(MSG_RTN_GET_DOORBELL)
	s_mov_b32 ttmp2, m0
	s_waitcnt lgkmcnt(0)
	s_and_b32 s0, s0, 0x3ff
	s_delay_alu instid0(SALU_CYCLE_1) | instskip(NEXT) | instid1(SALU_CYCLE_1)
	s_bitset1_b32 s0, 10
	s_mov_b32 m0, s0
	s_sendmsg sendmsg(MSG_INTERRUPT)
	s_mov_b32 m0, ttmp2
.LBB6_18122:                            ; =>This Inner Loop Header: Depth=1
	s_sethalt 5
	s_branch .LBB6_18122
.LBB6_18123:
	s_trap 2
	s_sendmsg_rtn_b32 s0, sendmsg(MSG_RTN_GET_DOORBELL)
	s_mov_b32 ttmp2, m0
	s_waitcnt lgkmcnt(0)
	s_and_b32 s0, s0, 0x3ff
	s_delay_alu instid0(SALU_CYCLE_1) | instskip(NEXT) | instid1(SALU_CYCLE_1)
	s_bitset1_b32 s0, 10
	s_mov_b32 m0, s0
	s_sendmsg sendmsg(MSG_INTERRUPT)
	s_mov_b32 m0, ttmp2
.LBB6_18124:                            ; =>This Inner Loop Header: Depth=1
	s_sethalt 5
	s_branch .LBB6_18124
.LBB6_18125:
	s_trap 2
	s_sendmsg_rtn_b32 s0, sendmsg(MSG_RTN_GET_DOORBELL)
	s_mov_b32 ttmp2, m0
	s_waitcnt lgkmcnt(0)
	s_and_b32 s0, s0, 0x3ff
	s_delay_alu instid0(SALU_CYCLE_1) | instskip(NEXT) | instid1(SALU_CYCLE_1)
	s_bitset1_b32 s0, 10
	s_mov_b32 m0, s0
	s_sendmsg sendmsg(MSG_INTERRUPT)
	s_mov_b32 m0, ttmp2
.LBB6_18126:                            ; =>This Inner Loop Header: Depth=1
	s_sethalt 5
	s_branch .LBB6_18126
.LBB6_18127:
	s_trap 2
	s_sendmsg_rtn_b32 s0, sendmsg(MSG_RTN_GET_DOORBELL)
	s_mov_b32 ttmp2, m0
	s_waitcnt lgkmcnt(0)
	s_and_b32 s0, s0, 0x3ff
	s_delay_alu instid0(SALU_CYCLE_1) | instskip(NEXT) | instid1(SALU_CYCLE_1)
	s_bitset1_b32 s0, 10
	s_mov_b32 m0, s0
	s_sendmsg sendmsg(MSG_INTERRUPT)
	s_mov_b32 m0, ttmp2
.LBB6_18128:                            ; =>This Inner Loop Header: Depth=1
	s_sethalt 5
	s_branch .LBB6_18128
.LBB6_18129:
	s_trap 2
	s_sendmsg_rtn_b32 s0, sendmsg(MSG_RTN_GET_DOORBELL)
	s_mov_b32 ttmp2, m0
	s_waitcnt lgkmcnt(0)
	s_and_b32 s0, s0, 0x3ff
	s_delay_alu instid0(SALU_CYCLE_1) | instskip(NEXT) | instid1(SALU_CYCLE_1)
	s_bitset1_b32 s0, 10
	s_mov_b32 m0, s0
	s_sendmsg sendmsg(MSG_INTERRUPT)
	s_mov_b32 m0, ttmp2
.LBB6_18130:                            ; =>This Inner Loop Header: Depth=1
	s_sethalt 5
	s_branch .LBB6_18130
.LBB6_18131:
	s_trap 2
	s_sendmsg_rtn_b32 s0, sendmsg(MSG_RTN_GET_DOORBELL)
	s_mov_b32 ttmp2, m0
	s_waitcnt lgkmcnt(0)
	s_and_b32 s0, s0, 0x3ff
	s_delay_alu instid0(SALU_CYCLE_1) | instskip(NEXT) | instid1(SALU_CYCLE_1)
	s_bitset1_b32 s0, 10
	s_mov_b32 m0, s0
	s_sendmsg sendmsg(MSG_INTERRUPT)
	s_mov_b32 m0, ttmp2
.LBB6_18132:                            ; =>This Inner Loop Header: Depth=1
	s_sethalt 5
	s_branch .LBB6_18132
.LBB6_18133:
	s_trap 2
	s_sendmsg_rtn_b32 s0, sendmsg(MSG_RTN_GET_DOORBELL)
	s_mov_b32 ttmp2, m0
	s_waitcnt lgkmcnt(0)
	s_and_b32 s0, s0, 0x3ff
	s_delay_alu instid0(SALU_CYCLE_1) | instskip(NEXT) | instid1(SALU_CYCLE_1)
	s_bitset1_b32 s0, 10
	s_mov_b32 m0, s0
	s_sendmsg sendmsg(MSG_INTERRUPT)
	s_mov_b32 m0, ttmp2
.LBB6_18134:                            ; =>This Inner Loop Header: Depth=1
	s_sethalt 5
	s_branch .LBB6_18134
.LBB6_18135:
	s_trap 2
	s_sendmsg_rtn_b32 s0, sendmsg(MSG_RTN_GET_DOORBELL)
	s_mov_b32 ttmp2, m0
	s_waitcnt lgkmcnt(0)
	s_and_b32 s0, s0, 0x3ff
	s_delay_alu instid0(SALU_CYCLE_1) | instskip(NEXT) | instid1(SALU_CYCLE_1)
	s_bitset1_b32 s0, 10
	s_mov_b32 m0, s0
	s_sendmsg sendmsg(MSG_INTERRUPT)
	s_mov_b32 m0, ttmp2
.LBB6_18136:                            ; =>This Inner Loop Header: Depth=1
	s_sethalt 5
	s_branch .LBB6_18136
.LBB6_18137:
	s_trap 2
	s_sendmsg_rtn_b32 s0, sendmsg(MSG_RTN_GET_DOORBELL)
	s_mov_b32 ttmp2, m0
	s_waitcnt lgkmcnt(0)
	s_and_b32 s0, s0, 0x3ff
	s_delay_alu instid0(SALU_CYCLE_1) | instskip(NEXT) | instid1(SALU_CYCLE_1)
	s_bitset1_b32 s0, 10
	s_mov_b32 m0, s0
	s_sendmsg sendmsg(MSG_INTERRUPT)
	s_mov_b32 m0, ttmp2
.LBB6_18138:                            ; =>This Inner Loop Header: Depth=1
	s_sethalt 5
	s_branch .LBB6_18138
.LBB6_18139:
	s_trap 2
	s_sendmsg_rtn_b32 s0, sendmsg(MSG_RTN_GET_DOORBELL)
	s_mov_b32 ttmp2, m0
	s_waitcnt lgkmcnt(0)
	s_and_b32 s0, s0, 0x3ff
	s_delay_alu instid0(SALU_CYCLE_1) | instskip(NEXT) | instid1(SALU_CYCLE_1)
	s_bitset1_b32 s0, 10
	s_mov_b32 m0, s0
	s_sendmsg sendmsg(MSG_INTERRUPT)
	s_mov_b32 m0, ttmp2
.LBB6_18140:                            ; =>This Inner Loop Header: Depth=1
	s_sethalt 5
	s_branch .LBB6_18140
.LBB6_18141:
	s_trap 2
	s_sendmsg_rtn_b32 s0, sendmsg(MSG_RTN_GET_DOORBELL)
	s_mov_b32 ttmp2, m0
	s_waitcnt lgkmcnt(0)
	s_and_b32 s0, s0, 0x3ff
	s_delay_alu instid0(SALU_CYCLE_1) | instskip(NEXT) | instid1(SALU_CYCLE_1)
	s_bitset1_b32 s0, 10
	s_mov_b32 m0, s0
	s_sendmsg sendmsg(MSG_INTERRUPT)
	s_mov_b32 m0, ttmp2
.LBB6_18142:                            ; =>This Inner Loop Header: Depth=1
	s_sethalt 5
	s_branch .LBB6_18142
.LBB6_18143:
	s_trap 2
	s_sendmsg_rtn_b32 s0, sendmsg(MSG_RTN_GET_DOORBELL)
	s_mov_b32 ttmp2, m0
	s_waitcnt lgkmcnt(0)
	s_and_b32 s0, s0, 0x3ff
	s_delay_alu instid0(SALU_CYCLE_1) | instskip(NEXT) | instid1(SALU_CYCLE_1)
	s_bitset1_b32 s0, 10
	s_mov_b32 m0, s0
	s_sendmsg sendmsg(MSG_INTERRUPT)
	s_mov_b32 m0, ttmp2
.LBB6_18144:                            ; =>This Inner Loop Header: Depth=1
	s_sethalt 5
	s_branch .LBB6_18144
.LBB6_18145:
	s_trap 2
	s_sendmsg_rtn_b32 s0, sendmsg(MSG_RTN_GET_DOORBELL)
	s_mov_b32 ttmp2, m0
	s_waitcnt lgkmcnt(0)
	s_and_b32 s0, s0, 0x3ff
	s_delay_alu instid0(SALU_CYCLE_1) | instskip(NEXT) | instid1(SALU_CYCLE_1)
	s_bitset1_b32 s0, 10
	s_mov_b32 m0, s0
	s_sendmsg sendmsg(MSG_INTERRUPT)
	s_mov_b32 m0, ttmp2
.LBB6_18146:                            ; =>This Inner Loop Header: Depth=1
	s_sethalt 5
	s_branch .LBB6_18146
.LBB6_18147:
	s_trap 2
	s_sendmsg_rtn_b32 s0, sendmsg(MSG_RTN_GET_DOORBELL)
	s_mov_b32 ttmp2, m0
	s_waitcnt lgkmcnt(0)
	s_and_b32 s0, s0, 0x3ff
	s_delay_alu instid0(SALU_CYCLE_1) | instskip(NEXT) | instid1(SALU_CYCLE_1)
	s_bitset1_b32 s0, 10
	s_mov_b32 m0, s0
	s_sendmsg sendmsg(MSG_INTERRUPT)
	s_mov_b32 m0, ttmp2
.LBB6_18148:                            ; =>This Inner Loop Header: Depth=1
	s_sethalt 5
	s_branch .LBB6_18148
.LBB6_18149:
	s_trap 2
	s_sendmsg_rtn_b32 s0, sendmsg(MSG_RTN_GET_DOORBELL)
	s_mov_b32 ttmp2, m0
	s_waitcnt lgkmcnt(0)
	s_and_b32 s0, s0, 0x3ff
	s_delay_alu instid0(SALU_CYCLE_1) | instskip(NEXT) | instid1(SALU_CYCLE_1)
	s_bitset1_b32 s0, 10
	s_mov_b32 m0, s0
	s_sendmsg sendmsg(MSG_INTERRUPT)
	s_mov_b32 m0, ttmp2
.LBB6_18150:                            ; =>This Inner Loop Header: Depth=1
	s_sethalt 5
	s_branch .LBB6_18150
.LBB6_18151:
	s_trap 2
	s_sendmsg_rtn_b32 s0, sendmsg(MSG_RTN_GET_DOORBELL)
	s_mov_b32 ttmp2, m0
	s_waitcnt lgkmcnt(0)
	s_and_b32 s0, s0, 0x3ff
	s_delay_alu instid0(SALU_CYCLE_1) | instskip(NEXT) | instid1(SALU_CYCLE_1)
	s_bitset1_b32 s0, 10
	s_mov_b32 m0, s0
	s_sendmsg sendmsg(MSG_INTERRUPT)
	s_mov_b32 m0, ttmp2
.LBB6_18152:                            ; =>This Inner Loop Header: Depth=1
	s_sethalt 5
	s_branch .LBB6_18152
.LBB6_18153:
	s_trap 2
	s_sendmsg_rtn_b32 s0, sendmsg(MSG_RTN_GET_DOORBELL)
	s_mov_b32 ttmp2, m0
	s_waitcnt lgkmcnt(0)
	s_and_b32 s0, s0, 0x3ff
	s_delay_alu instid0(SALU_CYCLE_1) | instskip(NEXT) | instid1(SALU_CYCLE_1)
	s_bitset1_b32 s0, 10
	s_mov_b32 m0, s0
	s_sendmsg sendmsg(MSG_INTERRUPT)
	s_mov_b32 m0, ttmp2
.LBB6_18154:                            ; =>This Inner Loop Header: Depth=1
	s_sethalt 5
	s_branch .LBB6_18154
.LBB6_18155:
	s_trap 2
	s_sendmsg_rtn_b32 s0, sendmsg(MSG_RTN_GET_DOORBELL)
	s_mov_b32 ttmp2, m0
	s_waitcnt lgkmcnt(0)
	s_and_b32 s0, s0, 0x3ff
	s_delay_alu instid0(SALU_CYCLE_1) | instskip(NEXT) | instid1(SALU_CYCLE_1)
	s_bitset1_b32 s0, 10
	s_mov_b32 m0, s0
	s_sendmsg sendmsg(MSG_INTERRUPT)
	s_mov_b32 m0, ttmp2
.LBB6_18156:                            ; =>This Inner Loop Header: Depth=1
	s_sethalt 5
	s_branch .LBB6_18156
.LBB6_18157:
	s_trap 2
	s_sendmsg_rtn_b32 s0, sendmsg(MSG_RTN_GET_DOORBELL)
	s_mov_b32 ttmp2, m0
	s_waitcnt lgkmcnt(0)
	s_and_b32 s0, s0, 0x3ff
	s_delay_alu instid0(SALU_CYCLE_1) | instskip(NEXT) | instid1(SALU_CYCLE_1)
	s_bitset1_b32 s0, 10
	s_mov_b32 m0, s0
	s_sendmsg sendmsg(MSG_INTERRUPT)
	s_mov_b32 m0, ttmp2
.LBB6_18158:                            ; =>This Inner Loop Header: Depth=1
	s_sethalt 5
	s_branch .LBB6_18158
.LBB6_18159:
	s_trap 2
	s_sendmsg_rtn_b32 s0, sendmsg(MSG_RTN_GET_DOORBELL)
	s_mov_b32 ttmp2, m0
	s_waitcnt lgkmcnt(0)
	s_and_b32 s0, s0, 0x3ff
	s_delay_alu instid0(SALU_CYCLE_1) | instskip(NEXT) | instid1(SALU_CYCLE_1)
	s_bitset1_b32 s0, 10
	s_mov_b32 m0, s0
	s_sendmsg sendmsg(MSG_INTERRUPT)
	s_mov_b32 m0, ttmp2
.LBB6_18160:                            ; =>This Inner Loop Header: Depth=1
	s_sethalt 5
	s_branch .LBB6_18160
.LBB6_18161:
	s_trap 2
	s_sendmsg_rtn_b32 s0, sendmsg(MSG_RTN_GET_DOORBELL)
	s_mov_b32 ttmp2, m0
	s_waitcnt lgkmcnt(0)
	s_and_b32 s0, s0, 0x3ff
	s_delay_alu instid0(SALU_CYCLE_1) | instskip(NEXT) | instid1(SALU_CYCLE_1)
	s_bitset1_b32 s0, 10
	s_mov_b32 m0, s0
	s_sendmsg sendmsg(MSG_INTERRUPT)
	s_mov_b32 m0, ttmp2
.LBB6_18162:                            ; =>This Inner Loop Header: Depth=1
	s_sethalt 5
	s_branch .LBB6_18162
.LBB6_18163:
	s_trap 2
	s_sendmsg_rtn_b32 s0, sendmsg(MSG_RTN_GET_DOORBELL)
	s_mov_b32 ttmp2, m0
	s_waitcnt lgkmcnt(0)
	s_and_b32 s0, s0, 0x3ff
	s_delay_alu instid0(SALU_CYCLE_1) | instskip(NEXT) | instid1(SALU_CYCLE_1)
	s_bitset1_b32 s0, 10
	s_mov_b32 m0, s0
	s_sendmsg sendmsg(MSG_INTERRUPT)
	s_mov_b32 m0, ttmp2
.LBB6_18164:                            ; =>This Inner Loop Header: Depth=1
	s_sethalt 5
	s_branch .LBB6_18164
.LBB6_18165:
	s_trap 2
	s_sendmsg_rtn_b32 s0, sendmsg(MSG_RTN_GET_DOORBELL)
	s_mov_b32 ttmp2, m0
	s_waitcnt lgkmcnt(0)
	s_and_b32 s0, s0, 0x3ff
	s_delay_alu instid0(SALU_CYCLE_1) | instskip(NEXT) | instid1(SALU_CYCLE_1)
	s_bitset1_b32 s0, 10
	s_mov_b32 m0, s0
	s_sendmsg sendmsg(MSG_INTERRUPT)
	s_mov_b32 m0, ttmp2
.LBB6_18166:                            ; =>This Inner Loop Header: Depth=1
	s_sethalt 5
	s_branch .LBB6_18166
.LBB6_18167:
	s_trap 2
	s_sendmsg_rtn_b32 s0, sendmsg(MSG_RTN_GET_DOORBELL)
	s_mov_b32 ttmp2, m0
	s_waitcnt lgkmcnt(0)
	s_and_b32 s0, s0, 0x3ff
	s_delay_alu instid0(SALU_CYCLE_1) | instskip(NEXT) | instid1(SALU_CYCLE_1)
	s_bitset1_b32 s0, 10
	s_mov_b32 m0, s0
	s_sendmsg sendmsg(MSG_INTERRUPT)
	s_mov_b32 m0, ttmp2
.LBB6_18168:                            ; =>This Inner Loop Header: Depth=1
	s_sethalt 5
	s_branch .LBB6_18168
.LBB6_18169:
	s_trap 2
	s_sendmsg_rtn_b32 s0, sendmsg(MSG_RTN_GET_DOORBELL)
	s_mov_b32 ttmp2, m0
	s_waitcnt lgkmcnt(0)
	s_and_b32 s0, s0, 0x3ff
	s_delay_alu instid0(SALU_CYCLE_1) | instskip(NEXT) | instid1(SALU_CYCLE_1)
	s_bitset1_b32 s0, 10
	s_mov_b32 m0, s0
	s_sendmsg sendmsg(MSG_INTERRUPT)
	s_mov_b32 m0, ttmp2
.LBB6_18170:                            ; =>This Inner Loop Header: Depth=1
	s_sethalt 5
	s_branch .LBB6_18170
.LBB6_18171:
	s_trap 2
	s_sendmsg_rtn_b32 s0, sendmsg(MSG_RTN_GET_DOORBELL)
	s_mov_b32 ttmp2, m0
	s_waitcnt lgkmcnt(0)
	s_and_b32 s0, s0, 0x3ff
	s_delay_alu instid0(SALU_CYCLE_1) | instskip(NEXT) | instid1(SALU_CYCLE_1)
	s_bitset1_b32 s0, 10
	s_mov_b32 m0, s0
	s_sendmsg sendmsg(MSG_INTERRUPT)
	s_mov_b32 m0, ttmp2
.LBB6_18172:                            ; =>This Inner Loop Header: Depth=1
	s_sethalt 5
	s_branch .LBB6_18172
.LBB6_18173:
	s_trap 2
	s_sendmsg_rtn_b32 s0, sendmsg(MSG_RTN_GET_DOORBELL)
	s_mov_b32 ttmp2, m0
	s_waitcnt lgkmcnt(0)
	s_and_b32 s0, s0, 0x3ff
	s_delay_alu instid0(SALU_CYCLE_1) | instskip(NEXT) | instid1(SALU_CYCLE_1)
	s_bitset1_b32 s0, 10
	s_mov_b32 m0, s0
	s_sendmsg sendmsg(MSG_INTERRUPT)
	s_mov_b32 m0, ttmp2
.LBB6_18174:                            ; =>This Inner Loop Header: Depth=1
	s_sethalt 5
	s_branch .LBB6_18174
.LBB6_18175:
	s_trap 2
	s_sendmsg_rtn_b32 s0, sendmsg(MSG_RTN_GET_DOORBELL)
	s_mov_b32 ttmp2, m0
	s_waitcnt lgkmcnt(0)
	s_and_b32 s0, s0, 0x3ff
	s_delay_alu instid0(SALU_CYCLE_1) | instskip(NEXT) | instid1(SALU_CYCLE_1)
	s_bitset1_b32 s0, 10
	s_mov_b32 m0, s0
	s_sendmsg sendmsg(MSG_INTERRUPT)
	s_mov_b32 m0, ttmp2
.LBB6_18176:                            ; =>This Inner Loop Header: Depth=1
	s_sethalt 5
	s_branch .LBB6_18176
.LBB6_18177:
	s_trap 2
	s_sendmsg_rtn_b32 s0, sendmsg(MSG_RTN_GET_DOORBELL)
	s_mov_b32 ttmp2, m0
	s_waitcnt lgkmcnt(0)
	s_and_b32 s0, s0, 0x3ff
	s_delay_alu instid0(SALU_CYCLE_1) | instskip(NEXT) | instid1(SALU_CYCLE_1)
	s_bitset1_b32 s0, 10
	s_mov_b32 m0, s0
	s_sendmsg sendmsg(MSG_INTERRUPT)
	s_mov_b32 m0, ttmp2
.LBB6_18178:                            ; =>This Inner Loop Header: Depth=1
	s_sethalt 5
	s_branch .LBB6_18178
.LBB6_18179:
	s_trap 2
	s_sendmsg_rtn_b32 s0, sendmsg(MSG_RTN_GET_DOORBELL)
	s_mov_b32 ttmp2, m0
	s_waitcnt lgkmcnt(0)
	s_and_b32 s0, s0, 0x3ff
	s_delay_alu instid0(SALU_CYCLE_1) | instskip(NEXT) | instid1(SALU_CYCLE_1)
	s_bitset1_b32 s0, 10
	s_mov_b32 m0, s0
	s_sendmsg sendmsg(MSG_INTERRUPT)
	s_mov_b32 m0, ttmp2
.LBB6_18180:                            ; =>This Inner Loop Header: Depth=1
	s_sethalt 5
	s_branch .LBB6_18180
.LBB6_18181:
	s_trap 2
	s_sendmsg_rtn_b32 s0, sendmsg(MSG_RTN_GET_DOORBELL)
	s_mov_b32 ttmp2, m0
	s_waitcnt lgkmcnt(0)
	s_and_b32 s0, s0, 0x3ff
	s_delay_alu instid0(SALU_CYCLE_1) | instskip(NEXT) | instid1(SALU_CYCLE_1)
	s_bitset1_b32 s0, 10
	s_mov_b32 m0, s0
	s_sendmsg sendmsg(MSG_INTERRUPT)
	s_mov_b32 m0, ttmp2
.LBB6_18182:                            ; =>This Inner Loop Header: Depth=1
	s_sethalt 5
	s_branch .LBB6_18182
.LBB6_18183:
	s_trap 2
	s_sendmsg_rtn_b32 s0, sendmsg(MSG_RTN_GET_DOORBELL)
	s_mov_b32 ttmp2, m0
	s_waitcnt lgkmcnt(0)
	s_and_b32 s0, s0, 0x3ff
	s_delay_alu instid0(SALU_CYCLE_1) | instskip(NEXT) | instid1(SALU_CYCLE_1)
	s_bitset1_b32 s0, 10
	s_mov_b32 m0, s0
	s_sendmsg sendmsg(MSG_INTERRUPT)
	s_mov_b32 m0, ttmp2
.LBB6_18184:                            ; =>This Inner Loop Header: Depth=1
	s_sethalt 5
	s_branch .LBB6_18184
.LBB6_18185:
	s_or_b32 exec_lo, exec_lo, s4
	s_and_saveexec_b32 s4, s5
	s_delay_alu instid0(SALU_CYCLE_1)
	s_xor_b32 s4, exec_lo, s4
	s_cbranch_execz .LBB6_18187
; %bb.18186:
	v_mov_b32_e32 v0, 1
	ds_store_b32 v0, v0
	s_cbranch_execnz .LBB6_18281
.LBB6_18187:
	s_or_b32 exec_lo, exec_lo, s3
	;;#ASMSTART
	s_wakeup
	;;#ASMEND
.LBB6_18188:
	s_or_b32 exec_lo, exec_lo, s2
.LBB6_18189:
	s_and_not1_saveexec_b32 s1, s1
	s_cbranch_execz .LBB6_18191
; %bb.18190:
	s_waitcnt lgkmcnt(0)
	s_waitcnt_vscnt null, 0x0
	buffer_gl1_inv
	buffer_gl0_inv
	s_barrier
.LBB6_18191:
	s_or_b32 exec_lo, exec_lo, s0
.LBB6_18192:
	s_and_not1_saveexec_b32 s21, s18
	s_cbranch_execz .LBB6_18194
; %bb.18193:
	s_getpc_b64 s[0:1]
	s_add_u32 s0, s0, __PRETTY_FUNCTION__._ZN10PrimitivesI12rccl_bfloat813FuncPreMulSumIS0_E12FanSymmetricILi1EELi0E11ProtoSimpleILi2ELi2ELi0ELi4ELi0ELi0EELi0ELb0ELi0ELi0ELi0EEC2EiiPKiS9_PKvPvmhhhP15ncclDevWorkCollP14ncclDevWorkP2pii@rel32@lo+4
	s_addc_u32 s1, s1, __PRETTY_FUNCTION__._ZN10PrimitivesI12rccl_bfloat813FuncPreMulSumIS0_E12FanSymmetricILi1EELi0E11ProtoSimpleILi2ELi2ELi0ELi4ELi0ELi0EELi0ELb0ELi0ELi0ELi0EEC2EiiPKiS9_PKvPvmhhhP15ncclDevWorkCollP14ncclDevWorkP2pii@rel32@hi+12
	s_delay_alu instid0(SALU_CYCLE_1) | instskip(SKIP_3) | instid1(SALU_CYCLE_1)
	v_dual_mov_b32 v0, s0 :: v_dual_mov_b32 v1, s1
	s_getpc_b64 s[2:3]
	s_add_u32 s2, s2, __assert_fail@rel32@lo+4
	s_addc_u32 s3, s3, __assert_fail@rel32@hi+12
	s_swappc_b64 s[30:31], s[2:3]
	; divergent unreachable
.LBB6_18194:
	s_or_b32 exec_lo, exec_lo, s21
	s_clause 0x13
	scratch_load_b32 v189, off, s33
	scratch_load_b32 v188, off, s33 offset:4
	scratch_load_b32 v187, off, s33 offset:8
	;; [unrolled: 1-line block ×19, first 2 shown]
	s_waitcnt lgkmcnt(2)
	s_clause 0x2
	scratch_load_b32 v153, off, s33 offset:80
	scratch_load_b32 v152, off, s33 offset:84
	;; [unrolled: 1-line block ×3, first 2 shown]
	s_waitcnt lgkmcnt(0)
	s_clause 0x1f
	scratch_load_b32 v142, off, s33 offset:92
	scratch_load_b32 v141, off, s33 offset:96
	scratch_load_b32 v140, off, s33 offset:100
	scratch_load_b32 v139, off, s33 offset:104
	scratch_load_b32 v138, off, s33 offset:108
	scratch_load_b32 v137, off, s33 offset:112
	scratch_load_b32 v136, off, s33 offset:116
	scratch_load_b32 v127, off, s33 offset:120
	scratch_load_b32 v126, off, s33 offset:124
	scratch_load_b32 v125, off, s33 offset:128
	scratch_load_b32 v124, off, s33 offset:132
	scratch_load_b32 v123, off, s33 offset:136
	scratch_load_b32 v122, off, s33 offset:140
	scratch_load_b32 v121, off, s33 offset:144
	scratch_load_b32 v120, off, s33 offset:148
	scratch_load_b32 v111, off, s33 offset:152
	scratch_load_b32 v110, off, s33 offset:156
	scratch_load_b32 v109, off, s33 offset:160
	scratch_load_b32 v108, off, s33 offset:164
	scratch_load_b32 v107, off, s33 offset:168
	scratch_load_b32 v106, off, s33 offset:172
	scratch_load_b32 v105, off, s33 offset:176
	scratch_load_b32 v104, off, s33 offset:180
	scratch_load_b32 v95, off, s33 offset:184
	scratch_load_b32 v94, off, s33 offset:188
	scratch_load_b32 v93, off, s33 offset:192
	scratch_load_b32 v92, off, s33 offset:196
	scratch_load_b32 v91, off, s33 offset:200
	scratch_load_b32 v90, off, s33 offset:204
	scratch_load_b32 v89, off, s33 offset:208
	scratch_load_b32 v88, off, s33 offset:212
	scratch_load_b32 v79, off, s33 offset:216
	s_clause 0x16
	scratch_load_b32 v78, off, s33 offset:220
	scratch_load_b32 v77, off, s33 offset:224
	;; [unrolled: 1-line block ×23, first 2 shown]
	v_readlane_b32 s30, v191, 12
	v_readlane_b32 s31, v191, 13
	;; [unrolled: 1-line block ×15, first 2 shown]
	s_or_saveexec_b32 s1, -1
	s_clause 0x1
	scratch_load_b32 v191, off, s33 offset:652
	scratch_load_b32 v190, off, s33 offset:656
	s_mov_b32 exec_lo, s1
	s_addk_i32 s32, 0xfd60
	s_mov_b32 s33, s0
	s_waitcnt vmcnt(0)
	s_setpc_b64 s[30:31]
.LBB6_18195:
	s_trap 2
	s_sendmsg_rtn_b32 s0, sendmsg(MSG_RTN_GET_DOORBELL)
	s_mov_b32 ttmp2, m0
	s_waitcnt lgkmcnt(0)
	s_and_b32 s0, s0, 0x3ff
	s_delay_alu instid0(SALU_CYCLE_1) | instskip(NEXT) | instid1(SALU_CYCLE_1)
	s_bitset1_b32 s0, 10
	s_mov_b32 m0, s0
	s_sendmsg sendmsg(MSG_INTERRUPT)
	s_mov_b32 m0, ttmp2
.LBB6_18196:                            ; =>This Inner Loop Header: Depth=1
	s_sethalt 5
	s_branch .LBB6_18196
.LBB6_18197:
	s_trap 2
	s_sendmsg_rtn_b32 s0, sendmsg(MSG_RTN_GET_DOORBELL)
	s_mov_b32 ttmp2, m0
	s_waitcnt lgkmcnt(0)
	s_and_b32 s0, s0, 0x3ff
	s_delay_alu instid0(SALU_CYCLE_1) | instskip(NEXT) | instid1(SALU_CYCLE_1)
	s_bitset1_b32 s0, 10
	s_mov_b32 m0, s0
	s_sendmsg sendmsg(MSG_INTERRUPT)
	s_mov_b32 m0, ttmp2
.LBB6_18198:                            ; =>This Inner Loop Header: Depth=1
	s_sethalt 5
	s_branch .LBB6_18198
.LBB6_18199:
	s_trap 2
	s_sendmsg_rtn_b32 s0, sendmsg(MSG_RTN_GET_DOORBELL)
	s_mov_b32 ttmp2, m0
	s_waitcnt lgkmcnt(0)
	s_and_b32 s0, s0, 0x3ff
	s_delay_alu instid0(SALU_CYCLE_1) | instskip(NEXT) | instid1(SALU_CYCLE_1)
	s_bitset1_b32 s0, 10
	s_mov_b32 m0, s0
	s_sendmsg sendmsg(MSG_INTERRUPT)
	s_mov_b32 m0, ttmp2
.LBB6_18200:                            ; =>This Inner Loop Header: Depth=1
	s_sethalt 5
	s_branch .LBB6_18200
.LBB6_18201:
	s_trap 2
	s_sendmsg_rtn_b32 s0, sendmsg(MSG_RTN_GET_DOORBELL)
	s_mov_b32 ttmp2, m0
	s_waitcnt lgkmcnt(0)
	s_and_b32 s0, s0, 0x3ff
	s_delay_alu instid0(SALU_CYCLE_1) | instskip(NEXT) | instid1(SALU_CYCLE_1)
	s_bitset1_b32 s0, 10
	s_mov_b32 m0, s0
	s_sendmsg sendmsg(MSG_INTERRUPT)
	s_mov_b32 m0, ttmp2
.LBB6_18202:                            ; =>This Inner Loop Header: Depth=1
	s_sethalt 5
	s_branch .LBB6_18202
.LBB6_18203:
	s_trap 2
	s_sendmsg_rtn_b32 s0, sendmsg(MSG_RTN_GET_DOORBELL)
	s_mov_b32 ttmp2, m0
	s_waitcnt lgkmcnt(0)
	s_and_b32 s0, s0, 0x3ff
	s_delay_alu instid0(SALU_CYCLE_1) | instskip(NEXT) | instid1(SALU_CYCLE_1)
	s_bitset1_b32 s0, 10
	s_mov_b32 m0, s0
	s_sendmsg sendmsg(MSG_INTERRUPT)
	s_mov_b32 m0, ttmp2
.LBB6_18204:                            ; =>This Inner Loop Header: Depth=1
	s_sethalt 5
	s_branch .LBB6_18204
.LBB6_18205:
	s_trap 2
	s_sendmsg_rtn_b32 s0, sendmsg(MSG_RTN_GET_DOORBELL)
	s_mov_b32 ttmp2, m0
	s_waitcnt lgkmcnt(0)
	s_and_b32 s0, s0, 0x3ff
	s_delay_alu instid0(SALU_CYCLE_1) | instskip(NEXT) | instid1(SALU_CYCLE_1)
	s_bitset1_b32 s0, 10
	s_mov_b32 m0, s0
	s_sendmsg sendmsg(MSG_INTERRUPT)
	s_mov_b32 m0, ttmp2
.LBB6_18206:                            ; =>This Inner Loop Header: Depth=1
	s_sethalt 5
	s_branch .LBB6_18206
.LBB6_18207:
	s_trap 2
	s_sendmsg_rtn_b32 s0, sendmsg(MSG_RTN_GET_DOORBELL)
	s_mov_b32 ttmp2, m0
	s_waitcnt lgkmcnt(0)
	s_and_b32 s0, s0, 0x3ff
	s_delay_alu instid0(SALU_CYCLE_1) | instskip(NEXT) | instid1(SALU_CYCLE_1)
	s_bitset1_b32 s0, 10
	s_mov_b32 m0, s0
	s_sendmsg sendmsg(MSG_INTERRUPT)
	s_mov_b32 m0, ttmp2
.LBB6_18208:                            ; =>This Inner Loop Header: Depth=1
	s_sethalt 5
	s_branch .LBB6_18208
.LBB6_18209:
	s_trap 2
	s_sendmsg_rtn_b32 s0, sendmsg(MSG_RTN_GET_DOORBELL)
	s_mov_b32 ttmp2, m0
	s_waitcnt lgkmcnt(0)
	s_and_b32 s0, s0, 0x3ff
	s_delay_alu instid0(SALU_CYCLE_1) | instskip(NEXT) | instid1(SALU_CYCLE_1)
	s_bitset1_b32 s0, 10
	s_mov_b32 m0, s0
	s_sendmsg sendmsg(MSG_INTERRUPT)
	s_mov_b32 m0, ttmp2
.LBB6_18210:                            ; =>This Inner Loop Header: Depth=1
	s_sethalt 5
	s_branch .LBB6_18210
.LBB6_18211:
	s_trap 2
	s_sendmsg_rtn_b32 s0, sendmsg(MSG_RTN_GET_DOORBELL)
	s_mov_b32 ttmp2, m0
	s_waitcnt lgkmcnt(0)
	s_and_b32 s0, s0, 0x3ff
	s_delay_alu instid0(SALU_CYCLE_1) | instskip(NEXT) | instid1(SALU_CYCLE_1)
	s_bitset1_b32 s0, 10
	s_mov_b32 m0, s0
	s_sendmsg sendmsg(MSG_INTERRUPT)
	s_mov_b32 m0, ttmp2
.LBB6_18212:                            ; =>This Inner Loop Header: Depth=1
	s_sethalt 5
	s_branch .LBB6_18212
.LBB6_18213:
	s_trap 2
	s_sendmsg_rtn_b32 s0, sendmsg(MSG_RTN_GET_DOORBELL)
	s_mov_b32 ttmp2, m0
	s_waitcnt lgkmcnt(0)
	s_and_b32 s0, s0, 0x3ff
	s_delay_alu instid0(SALU_CYCLE_1) | instskip(NEXT) | instid1(SALU_CYCLE_1)
	s_bitset1_b32 s0, 10
	s_mov_b32 m0, s0
	s_sendmsg sendmsg(MSG_INTERRUPT)
	s_mov_b32 m0, ttmp2
.LBB6_18214:                            ; =>This Inner Loop Header: Depth=1
	s_sethalt 5
	s_branch .LBB6_18214
.LBB6_18215:
	s_trap 2
	s_sendmsg_rtn_b32 s0, sendmsg(MSG_RTN_GET_DOORBELL)
	s_mov_b32 ttmp2, m0
	s_waitcnt lgkmcnt(0)
	s_and_b32 s0, s0, 0x3ff
	s_delay_alu instid0(SALU_CYCLE_1) | instskip(NEXT) | instid1(SALU_CYCLE_1)
	s_bitset1_b32 s0, 10
	s_mov_b32 m0, s0
	s_sendmsg sendmsg(MSG_INTERRUPT)
	s_mov_b32 m0, ttmp2
.LBB6_18216:                            ; =>This Inner Loop Header: Depth=1
	s_sethalt 5
	s_branch .LBB6_18216
.LBB6_18217:
	s_trap 2
	s_sendmsg_rtn_b32 s0, sendmsg(MSG_RTN_GET_DOORBELL)
	s_mov_b32 ttmp2, m0
	s_waitcnt lgkmcnt(0)
	s_and_b32 s0, s0, 0x3ff
	s_delay_alu instid0(SALU_CYCLE_1) | instskip(NEXT) | instid1(SALU_CYCLE_1)
	s_bitset1_b32 s0, 10
	s_mov_b32 m0, s0
	s_sendmsg sendmsg(MSG_INTERRUPT)
	s_mov_b32 m0, ttmp2
.LBB6_18218:                            ; =>This Inner Loop Header: Depth=1
	s_sethalt 5
	s_branch .LBB6_18218
.LBB6_18219:
	s_trap 2
	s_sendmsg_rtn_b32 s0, sendmsg(MSG_RTN_GET_DOORBELL)
	s_mov_b32 ttmp2, m0
	s_waitcnt lgkmcnt(0)
	s_and_b32 s0, s0, 0x3ff
	s_delay_alu instid0(SALU_CYCLE_1) | instskip(NEXT) | instid1(SALU_CYCLE_1)
	s_bitset1_b32 s0, 10
	s_mov_b32 m0, s0
	s_sendmsg sendmsg(MSG_INTERRUPT)
	s_mov_b32 m0, ttmp2
.LBB6_18220:                            ; =>This Inner Loop Header: Depth=1
	s_sethalt 5
	s_branch .LBB6_18220
.LBB6_18221:
	s_trap 2
	s_sendmsg_rtn_b32 s0, sendmsg(MSG_RTN_GET_DOORBELL)
	s_mov_b32 ttmp2, m0
	s_waitcnt lgkmcnt(0)
	s_and_b32 s0, s0, 0x3ff
	s_delay_alu instid0(SALU_CYCLE_1) | instskip(NEXT) | instid1(SALU_CYCLE_1)
	s_bitset1_b32 s0, 10
	s_mov_b32 m0, s0
	s_sendmsg sendmsg(MSG_INTERRUPT)
	s_mov_b32 m0, ttmp2
.LBB6_18222:                            ; =>This Inner Loop Header: Depth=1
	s_sethalt 5
	s_branch .LBB6_18222
.LBB6_18223:
	s_trap 2
	s_sendmsg_rtn_b32 s0, sendmsg(MSG_RTN_GET_DOORBELL)
	s_mov_b32 ttmp2, m0
	s_waitcnt lgkmcnt(0)
	s_and_b32 s0, s0, 0x3ff
	s_delay_alu instid0(SALU_CYCLE_1) | instskip(NEXT) | instid1(SALU_CYCLE_1)
	s_bitset1_b32 s0, 10
	s_mov_b32 m0, s0
	s_sendmsg sendmsg(MSG_INTERRUPT)
	s_mov_b32 m0, ttmp2
.LBB6_18224:                            ; =>This Inner Loop Header: Depth=1
	s_sethalt 5
	s_branch .LBB6_18224
.LBB6_18225:
	s_trap 2
	s_sendmsg_rtn_b32 s0, sendmsg(MSG_RTN_GET_DOORBELL)
	s_mov_b32 ttmp2, m0
	s_waitcnt lgkmcnt(0)
	s_and_b32 s0, s0, 0x3ff
	s_delay_alu instid0(SALU_CYCLE_1) | instskip(NEXT) | instid1(SALU_CYCLE_1)
	s_bitset1_b32 s0, 10
	s_mov_b32 m0, s0
	s_sendmsg sendmsg(MSG_INTERRUPT)
	s_mov_b32 m0, ttmp2
.LBB6_18226:                            ; =>This Inner Loop Header: Depth=1
	s_sethalt 5
	s_branch .LBB6_18226
.LBB6_18227:
	s_trap 2
	s_sendmsg_rtn_b32 s0, sendmsg(MSG_RTN_GET_DOORBELL)
	s_mov_b32 ttmp2, m0
	s_waitcnt lgkmcnt(0)
	s_and_b32 s0, s0, 0x3ff
	s_delay_alu instid0(SALU_CYCLE_1) | instskip(NEXT) | instid1(SALU_CYCLE_1)
	s_bitset1_b32 s0, 10
	s_mov_b32 m0, s0
	s_sendmsg sendmsg(MSG_INTERRUPT)
	s_mov_b32 m0, ttmp2
.LBB6_18228:                            ; =>This Inner Loop Header: Depth=1
	s_sethalt 5
	s_branch .LBB6_18228
.LBB6_18229:
	s_trap 2
	s_sendmsg_rtn_b32 s0, sendmsg(MSG_RTN_GET_DOORBELL)
	s_mov_b32 ttmp2, m0
	s_waitcnt lgkmcnt(0)
	s_and_b32 s0, s0, 0x3ff
	s_delay_alu instid0(SALU_CYCLE_1) | instskip(NEXT) | instid1(SALU_CYCLE_1)
	s_bitset1_b32 s0, 10
	s_mov_b32 m0, s0
	s_sendmsg sendmsg(MSG_INTERRUPT)
	s_mov_b32 m0, ttmp2
.LBB6_18230:                            ; =>This Inner Loop Header: Depth=1
	s_sethalt 5
	s_branch .LBB6_18230
.LBB6_18231:
	s_trap 2
	s_sendmsg_rtn_b32 s0, sendmsg(MSG_RTN_GET_DOORBELL)
	s_mov_b32 ttmp2, m0
	s_waitcnt lgkmcnt(0)
	s_and_b32 s0, s0, 0x3ff
	s_delay_alu instid0(SALU_CYCLE_1) | instskip(NEXT) | instid1(SALU_CYCLE_1)
	s_bitset1_b32 s0, 10
	s_mov_b32 m0, s0
	s_sendmsg sendmsg(MSG_INTERRUPT)
	s_mov_b32 m0, ttmp2
.LBB6_18232:                            ; =>This Inner Loop Header: Depth=1
	s_sethalt 5
	s_branch .LBB6_18232
.LBB6_18233:
	s_trap 2
	s_sendmsg_rtn_b32 s0, sendmsg(MSG_RTN_GET_DOORBELL)
	s_mov_b32 ttmp2, m0
	s_waitcnt lgkmcnt(0)
	s_and_b32 s0, s0, 0x3ff
	s_delay_alu instid0(SALU_CYCLE_1) | instskip(NEXT) | instid1(SALU_CYCLE_1)
	s_bitset1_b32 s0, 10
	s_mov_b32 m0, s0
	s_sendmsg sendmsg(MSG_INTERRUPT)
	s_mov_b32 m0, ttmp2
.LBB6_18234:                            ; =>This Inner Loop Header: Depth=1
	s_sethalt 5
	s_branch .LBB6_18234
.LBB6_18235:
	s_trap 2
	s_sendmsg_rtn_b32 s0, sendmsg(MSG_RTN_GET_DOORBELL)
	s_mov_b32 ttmp2, m0
	s_waitcnt lgkmcnt(0)
	s_and_b32 s0, s0, 0x3ff
	s_delay_alu instid0(SALU_CYCLE_1) | instskip(NEXT) | instid1(SALU_CYCLE_1)
	s_bitset1_b32 s0, 10
	s_mov_b32 m0, s0
	s_sendmsg sendmsg(MSG_INTERRUPT)
	s_mov_b32 m0, ttmp2
.LBB6_18236:                            ; =>This Inner Loop Header: Depth=1
	s_sethalt 5
	s_branch .LBB6_18236
.LBB6_18237:
	s_trap 2
	s_sendmsg_rtn_b32 s0, sendmsg(MSG_RTN_GET_DOORBELL)
	s_mov_b32 ttmp2, m0
	s_waitcnt lgkmcnt(0)
	s_and_b32 s0, s0, 0x3ff
	s_delay_alu instid0(SALU_CYCLE_1) | instskip(NEXT) | instid1(SALU_CYCLE_1)
	s_bitset1_b32 s0, 10
	s_mov_b32 m0, s0
	s_sendmsg sendmsg(MSG_INTERRUPT)
	s_mov_b32 m0, ttmp2
.LBB6_18238:                            ; =>This Inner Loop Header: Depth=1
	s_sethalt 5
	s_branch .LBB6_18238
.LBB6_18239:
	s_trap 2
	s_sendmsg_rtn_b32 s0, sendmsg(MSG_RTN_GET_DOORBELL)
	s_mov_b32 ttmp2, m0
	s_waitcnt lgkmcnt(0)
	s_and_b32 s0, s0, 0x3ff
	s_delay_alu instid0(SALU_CYCLE_1) | instskip(NEXT) | instid1(SALU_CYCLE_1)
	s_bitset1_b32 s0, 10
	s_mov_b32 m0, s0
	s_sendmsg sendmsg(MSG_INTERRUPT)
	s_mov_b32 m0, ttmp2
.LBB6_18240:                            ; =>This Inner Loop Header: Depth=1
	s_sethalt 5
	s_branch .LBB6_18240
.LBB6_18241:
	s_trap 2
	s_sendmsg_rtn_b32 s0, sendmsg(MSG_RTN_GET_DOORBELL)
	s_mov_b32 ttmp2, m0
	s_waitcnt lgkmcnt(0)
	s_and_b32 s0, s0, 0x3ff
	s_delay_alu instid0(SALU_CYCLE_1) | instskip(NEXT) | instid1(SALU_CYCLE_1)
	s_bitset1_b32 s0, 10
	s_mov_b32 m0, s0
	s_sendmsg sendmsg(MSG_INTERRUPT)
	s_mov_b32 m0, ttmp2
.LBB6_18242:                            ; =>This Inner Loop Header: Depth=1
	s_sethalt 5
	s_branch .LBB6_18242
.LBB6_18243:
	s_trap 2
	s_sendmsg_rtn_b32 s0, sendmsg(MSG_RTN_GET_DOORBELL)
	s_mov_b32 ttmp2, m0
	s_waitcnt lgkmcnt(0)
	s_and_b32 s0, s0, 0x3ff
	s_delay_alu instid0(SALU_CYCLE_1) | instskip(NEXT) | instid1(SALU_CYCLE_1)
	s_bitset1_b32 s0, 10
	s_mov_b32 m0, s0
	s_sendmsg sendmsg(MSG_INTERRUPT)
	s_mov_b32 m0, ttmp2
.LBB6_18244:                            ; =>This Inner Loop Header: Depth=1
	s_sethalt 5
	s_branch .LBB6_18244
.LBB6_18245:
	s_trap 2
	s_sendmsg_rtn_b32 s0, sendmsg(MSG_RTN_GET_DOORBELL)
	s_mov_b32 ttmp2, m0
	s_waitcnt lgkmcnt(0)
	s_and_b32 s0, s0, 0x3ff
	s_delay_alu instid0(SALU_CYCLE_1) | instskip(NEXT) | instid1(SALU_CYCLE_1)
	s_bitset1_b32 s0, 10
	s_mov_b32 m0, s0
	s_sendmsg sendmsg(MSG_INTERRUPT)
	s_mov_b32 m0, ttmp2
.LBB6_18246:                            ; =>This Inner Loop Header: Depth=1
	s_sethalt 5
	s_branch .LBB6_18246
.LBB6_18247:
	s_trap 2
	s_sendmsg_rtn_b32 s0, sendmsg(MSG_RTN_GET_DOORBELL)
	s_mov_b32 ttmp2, m0
	s_waitcnt lgkmcnt(0)
	s_and_b32 s0, s0, 0x3ff
	s_delay_alu instid0(SALU_CYCLE_1) | instskip(NEXT) | instid1(SALU_CYCLE_1)
	s_bitset1_b32 s0, 10
	s_mov_b32 m0, s0
	s_sendmsg sendmsg(MSG_INTERRUPT)
	s_mov_b32 m0, ttmp2
.LBB6_18248:                            ; =>This Inner Loop Header: Depth=1
	s_sethalt 5
	s_branch .LBB6_18248
.LBB6_18249:
	s_trap 2
	s_sendmsg_rtn_b32 s0, sendmsg(MSG_RTN_GET_DOORBELL)
	s_mov_b32 ttmp2, m0
	s_waitcnt lgkmcnt(0)
	s_and_b32 s0, s0, 0x3ff
	s_delay_alu instid0(SALU_CYCLE_1) | instskip(NEXT) | instid1(SALU_CYCLE_1)
	s_bitset1_b32 s0, 10
	s_mov_b32 m0, s0
	s_sendmsg sendmsg(MSG_INTERRUPT)
	s_mov_b32 m0, ttmp2
.LBB6_18250:                            ; =>This Inner Loop Header: Depth=1
	s_sethalt 5
	s_branch .LBB6_18250
.LBB6_18251:
	s_trap 2
	s_sendmsg_rtn_b32 s0, sendmsg(MSG_RTN_GET_DOORBELL)
	s_mov_b32 ttmp2, m0
	s_waitcnt lgkmcnt(0)
	s_and_b32 s0, s0, 0x3ff
	s_delay_alu instid0(SALU_CYCLE_1) | instskip(NEXT) | instid1(SALU_CYCLE_1)
	s_bitset1_b32 s0, 10
	s_mov_b32 m0, s0
	s_sendmsg sendmsg(MSG_INTERRUPT)
	s_mov_b32 m0, ttmp2
.LBB6_18252:                            ; =>This Inner Loop Header: Depth=1
	s_sethalt 5
	s_branch .LBB6_18252
.LBB6_18253:
	s_trap 2
	s_sendmsg_rtn_b32 s0, sendmsg(MSG_RTN_GET_DOORBELL)
	s_mov_b32 ttmp2, m0
	s_waitcnt lgkmcnt(0)
	s_and_b32 s0, s0, 0x3ff
	s_delay_alu instid0(SALU_CYCLE_1) | instskip(NEXT) | instid1(SALU_CYCLE_1)
	s_bitset1_b32 s0, 10
	s_mov_b32 m0, s0
	s_sendmsg sendmsg(MSG_INTERRUPT)
	s_mov_b32 m0, ttmp2
.LBB6_18254:                            ; =>This Inner Loop Header: Depth=1
	s_sethalt 5
	s_branch .LBB6_18254
.LBB6_18255:
	s_trap 2
	s_sendmsg_rtn_b32 s0, sendmsg(MSG_RTN_GET_DOORBELL)
	s_mov_b32 ttmp2, m0
	s_waitcnt lgkmcnt(0)
	s_and_b32 s0, s0, 0x3ff
	s_delay_alu instid0(SALU_CYCLE_1) | instskip(NEXT) | instid1(SALU_CYCLE_1)
	s_bitset1_b32 s0, 10
	s_mov_b32 m0, s0
	s_sendmsg sendmsg(MSG_INTERRUPT)
	s_mov_b32 m0, ttmp2
.LBB6_18256:                            ; =>This Inner Loop Header: Depth=1
	s_sethalt 5
	s_branch .LBB6_18256
.LBB6_18257:
	s_trap 2
	s_sendmsg_rtn_b32 s0, sendmsg(MSG_RTN_GET_DOORBELL)
	s_mov_b32 ttmp2, m0
	s_waitcnt lgkmcnt(0)
	s_and_b32 s0, s0, 0x3ff
	s_delay_alu instid0(SALU_CYCLE_1) | instskip(NEXT) | instid1(SALU_CYCLE_1)
	s_bitset1_b32 s0, 10
	s_mov_b32 m0, s0
	s_sendmsg sendmsg(MSG_INTERRUPT)
	s_mov_b32 m0, ttmp2
.LBB6_18258:                            ; =>This Inner Loop Header: Depth=1
	s_sethalt 5
	s_branch .LBB6_18258
.LBB6_18259:
	s_trap 2
	s_sendmsg_rtn_b32 s0, sendmsg(MSG_RTN_GET_DOORBELL)
	s_mov_b32 ttmp2, m0
	s_waitcnt lgkmcnt(0)
	s_and_b32 s0, s0, 0x3ff
	s_delay_alu instid0(SALU_CYCLE_1) | instskip(NEXT) | instid1(SALU_CYCLE_1)
	s_bitset1_b32 s0, 10
	s_mov_b32 m0, s0
	s_sendmsg sendmsg(MSG_INTERRUPT)
	s_mov_b32 m0, ttmp2
.LBB6_18260:                            ; =>This Inner Loop Header: Depth=1
	s_sethalt 5
	s_branch .LBB6_18260
.LBB6_18261:
	s_trap 2
	s_sendmsg_rtn_b32 s0, sendmsg(MSG_RTN_GET_DOORBELL)
	s_mov_b32 ttmp2, m0
	s_waitcnt lgkmcnt(0)
	s_and_b32 s0, s0, 0x3ff
	s_delay_alu instid0(SALU_CYCLE_1) | instskip(NEXT) | instid1(SALU_CYCLE_1)
	s_bitset1_b32 s0, 10
	s_mov_b32 m0, s0
	s_sendmsg sendmsg(MSG_INTERRUPT)
	s_mov_b32 m0, ttmp2
.LBB6_18262:                            ; =>This Inner Loop Header: Depth=1
	s_sethalt 5
	s_branch .LBB6_18262
.LBB6_18263:
	s_trap 2
	s_sendmsg_rtn_b32 s0, sendmsg(MSG_RTN_GET_DOORBELL)
	s_mov_b32 ttmp2, m0
	s_waitcnt lgkmcnt(0)
	s_and_b32 s0, s0, 0x3ff
	s_delay_alu instid0(SALU_CYCLE_1) | instskip(NEXT) | instid1(SALU_CYCLE_1)
	s_bitset1_b32 s0, 10
	s_mov_b32 m0, s0
	s_sendmsg sendmsg(MSG_INTERRUPT)
	s_mov_b32 m0, ttmp2
.LBB6_18264:                            ; =>This Inner Loop Header: Depth=1
	s_sethalt 5
	s_branch .LBB6_18264
.LBB6_18265:
	s_trap 2
	s_sendmsg_rtn_b32 s0, sendmsg(MSG_RTN_GET_DOORBELL)
	s_mov_b32 ttmp2, m0
	s_waitcnt lgkmcnt(0)
	s_and_b32 s0, s0, 0x3ff
	s_delay_alu instid0(SALU_CYCLE_1) | instskip(NEXT) | instid1(SALU_CYCLE_1)
	s_bitset1_b32 s0, 10
	s_mov_b32 m0, s0
	s_sendmsg sendmsg(MSG_INTERRUPT)
	s_mov_b32 m0, ttmp2
.LBB6_18266:                            ; =>This Inner Loop Header: Depth=1
	s_sethalt 5
	s_branch .LBB6_18266
.LBB6_18267:
	s_trap 2
	s_sendmsg_rtn_b32 s0, sendmsg(MSG_RTN_GET_DOORBELL)
	s_mov_b32 ttmp2, m0
	s_waitcnt lgkmcnt(0)
	s_and_b32 s0, s0, 0x3ff
	s_delay_alu instid0(SALU_CYCLE_1) | instskip(NEXT) | instid1(SALU_CYCLE_1)
	s_bitset1_b32 s0, 10
	s_mov_b32 m0, s0
	s_sendmsg sendmsg(MSG_INTERRUPT)
	s_mov_b32 m0, ttmp2
.LBB6_18268:                            ; =>This Inner Loop Header: Depth=1
	s_sethalt 5
	s_branch .LBB6_18268
.LBB6_18269:
	s_trap 2
	s_sendmsg_rtn_b32 s0, sendmsg(MSG_RTN_GET_DOORBELL)
	s_mov_b32 ttmp2, m0
	s_waitcnt lgkmcnt(0)
	s_and_b32 s0, s0, 0x3ff
	s_delay_alu instid0(SALU_CYCLE_1) | instskip(NEXT) | instid1(SALU_CYCLE_1)
	s_bitset1_b32 s0, 10
	s_mov_b32 m0, s0
	s_sendmsg sendmsg(MSG_INTERRUPT)
	s_mov_b32 m0, ttmp2
.LBB6_18270:                            ; =>This Inner Loop Header: Depth=1
	s_sethalt 5
	s_branch .LBB6_18270
.LBB6_18271:
	s_trap 2
	s_sendmsg_rtn_b32 s0, sendmsg(MSG_RTN_GET_DOORBELL)
	s_mov_b32 ttmp2, m0
	s_waitcnt lgkmcnt(0)
	s_and_b32 s0, s0, 0x3ff
	s_delay_alu instid0(SALU_CYCLE_1) | instskip(NEXT) | instid1(SALU_CYCLE_1)
	s_bitset1_b32 s0, 10
	s_mov_b32 m0, s0
	s_sendmsg sendmsg(MSG_INTERRUPT)
	s_mov_b32 m0, ttmp2
.LBB6_18272:                            ; =>This Inner Loop Header: Depth=1
	s_sethalt 5
	s_branch .LBB6_18272
.LBB6_18273:
	s_trap 2
	s_sendmsg_rtn_b32 s0, sendmsg(MSG_RTN_GET_DOORBELL)
	s_mov_b32 ttmp2, m0
	s_waitcnt lgkmcnt(0)
	s_and_b32 s0, s0, 0x3ff
	s_delay_alu instid0(SALU_CYCLE_1) | instskip(NEXT) | instid1(SALU_CYCLE_1)
	s_bitset1_b32 s0, 10
	s_mov_b32 m0, s0
	s_sendmsg sendmsg(MSG_INTERRUPT)
	s_mov_b32 m0, ttmp2
.LBB6_18274:                            ; =>This Inner Loop Header: Depth=1
	s_sethalt 5
	s_branch .LBB6_18274
.LBB6_18275:
	s_trap 2
	s_sendmsg_rtn_b32 s0, sendmsg(MSG_RTN_GET_DOORBELL)
	s_mov_b32 ttmp2, m0
	s_waitcnt lgkmcnt(0)
	s_and_b32 s0, s0, 0x3ff
	s_delay_alu instid0(SALU_CYCLE_1) | instskip(NEXT) | instid1(SALU_CYCLE_1)
	s_bitset1_b32 s0, 10
	s_mov_b32 m0, s0
	s_sendmsg sendmsg(MSG_INTERRUPT)
	s_mov_b32 m0, ttmp2
.LBB6_18276:                            ; =>This Inner Loop Header: Depth=1
	s_sethalt 5
	s_branch .LBB6_18276
.LBB6_18277:
	s_trap 2
	s_sendmsg_rtn_b32 s0, sendmsg(MSG_RTN_GET_DOORBELL)
	s_mov_b32 ttmp2, m0
	s_waitcnt lgkmcnt(0)
	s_and_b32 s0, s0, 0x3ff
	s_delay_alu instid0(SALU_CYCLE_1) | instskip(NEXT) | instid1(SALU_CYCLE_1)
	s_bitset1_b32 s0, 10
	s_mov_b32 m0, s0
	s_sendmsg sendmsg(MSG_INTERRUPT)
	s_mov_b32 m0, ttmp2
.LBB6_18278:                            ; =>This Inner Loop Header: Depth=1
	s_sethalt 5
	s_branch .LBB6_18278
.LBB6_18279:
	s_trap 2
	s_sendmsg_rtn_b32 s0, sendmsg(MSG_RTN_GET_DOORBELL)
	s_mov_b32 ttmp2, m0
	s_waitcnt lgkmcnt(0)
	s_and_b32 s0, s0, 0x3ff
	s_delay_alu instid0(SALU_CYCLE_1) | instskip(NEXT) | instid1(SALU_CYCLE_1)
	s_bitset1_b32 s0, 10
	s_mov_b32 m0, s0
	s_sendmsg sendmsg(MSG_INTERRUPT)
	s_mov_b32 m0, ttmp2
.LBB6_18280:                            ; =>This Inner Loop Header: Depth=1
	s_sethalt 5
	s_branch .LBB6_18280
.LBB6_18281:
	s_trap 2
	s_sendmsg_rtn_b32 s0, sendmsg(MSG_RTN_GET_DOORBELL)
	s_mov_b32 ttmp2, m0
	s_waitcnt lgkmcnt(0)
	s_and_b32 s0, s0, 0x3ff
	s_delay_alu instid0(SALU_CYCLE_1) | instskip(NEXT) | instid1(SALU_CYCLE_1)
	s_bitset1_b32 s0, 10
	s_mov_b32 m0, s0
	s_sendmsg sendmsg(MSG_INTERRUPT)
	s_mov_b32 m0, ttmp2
.LBB6_18282:                            ; =>This Inner Loop Header: Depth=1
	s_sethalt 5
	s_branch .LBB6_18282
.LBB6_18283:
	s_trap 2
	s_sendmsg_rtn_b32 s0, sendmsg(MSG_RTN_GET_DOORBELL)
	s_mov_b32 ttmp2, m0
	s_waitcnt lgkmcnt(0)
	s_and_b32 s0, s0, 0x3ff
	s_delay_alu instid0(SALU_CYCLE_1) | instskip(NEXT) | instid1(SALU_CYCLE_1)
	s_bitset1_b32 s0, 10
	s_mov_b32 m0, s0
	s_sendmsg sendmsg(MSG_INTERRUPT)
	s_mov_b32 m0, ttmp2
.LBB6_18284:                            ; =>This Inner Loop Header: Depth=1
	s_sethalt 5
	s_branch .LBB6_18284
.LBB6_18285:
	s_trap 2
	s_sendmsg_rtn_b32 s0, sendmsg(MSG_RTN_GET_DOORBELL)
	s_mov_b32 ttmp2, m0
	s_waitcnt lgkmcnt(0)
	s_and_b32 s0, s0, 0x3ff
	s_delay_alu instid0(SALU_CYCLE_1) | instskip(NEXT) | instid1(SALU_CYCLE_1)
	s_bitset1_b32 s0, 10
	s_mov_b32 m0, s0
	s_sendmsg sendmsg(MSG_INTERRUPT)
	s_mov_b32 m0, ttmp2
.LBB6_18286:                            ; =>This Inner Loop Header: Depth=1
	s_sethalt 5
	s_branch .LBB6_18286
.LBB6_18287:
	s_trap 2
	s_sendmsg_rtn_b32 s0, sendmsg(MSG_RTN_GET_DOORBELL)
	s_mov_b32 ttmp2, m0
	s_waitcnt lgkmcnt(0)
	s_and_b32 s0, s0, 0x3ff
	s_delay_alu instid0(SALU_CYCLE_1) | instskip(NEXT) | instid1(SALU_CYCLE_1)
	s_bitset1_b32 s0, 10
	s_mov_b32 m0, s0
	s_sendmsg sendmsg(MSG_INTERRUPT)
	s_mov_b32 m0, ttmp2
.LBB6_18288:                            ; =>This Inner Loop Header: Depth=1
	s_sethalt 5
	s_branch .LBB6_18288
.LBB6_18289:
	s_trap 2
	s_sendmsg_rtn_b32 s0, sendmsg(MSG_RTN_GET_DOORBELL)
	s_mov_b32 ttmp2, m0
	s_waitcnt lgkmcnt(0)
	s_and_b32 s0, s0, 0x3ff
	s_delay_alu instid0(SALU_CYCLE_1) | instskip(NEXT) | instid1(SALU_CYCLE_1)
	s_bitset1_b32 s0, 10
	s_mov_b32 m0, s0
	s_sendmsg sendmsg(MSG_INTERRUPT)
	s_mov_b32 m0, ttmp2
.LBB6_18290:                            ; =>This Inner Loop Header: Depth=1
	s_sethalt 5
	s_branch .LBB6_18290
.LBB6_18291:
	s_trap 2
	s_sendmsg_rtn_b32 s0, sendmsg(MSG_RTN_GET_DOORBELL)
	s_mov_b32 ttmp2, m0
	s_waitcnt lgkmcnt(0)
	s_and_b32 s0, s0, 0x3ff
	s_delay_alu instid0(SALU_CYCLE_1) | instskip(NEXT) | instid1(SALU_CYCLE_1)
	s_bitset1_b32 s0, 10
	s_mov_b32 m0, s0
	s_sendmsg sendmsg(MSG_INTERRUPT)
	s_mov_b32 m0, ttmp2
.LBB6_18292:                            ; =>This Inner Loop Header: Depth=1
	s_sethalt 5
	s_branch .LBB6_18292
.LBB6_18293:
	s_trap 2
	s_sendmsg_rtn_b32 s0, sendmsg(MSG_RTN_GET_DOORBELL)
	s_mov_b32 ttmp2, m0
	s_waitcnt lgkmcnt(0)
	s_and_b32 s0, s0, 0x3ff
	s_delay_alu instid0(SALU_CYCLE_1) | instskip(NEXT) | instid1(SALU_CYCLE_1)
	s_bitset1_b32 s0, 10
	s_mov_b32 m0, s0
	s_sendmsg sendmsg(MSG_INTERRUPT)
	s_mov_b32 m0, ttmp2
.LBB6_18294:                            ; =>This Inner Loop Header: Depth=1
	s_sethalt 5
	s_branch .LBB6_18294
.LBB6_18295:
	s_trap 2
	s_sendmsg_rtn_b32 s0, sendmsg(MSG_RTN_GET_DOORBELL)
	s_mov_b32 ttmp2, m0
	s_waitcnt lgkmcnt(0)
	s_and_b32 s0, s0, 0x3ff
	s_delay_alu instid0(SALU_CYCLE_1) | instskip(NEXT) | instid1(SALU_CYCLE_1)
	s_bitset1_b32 s0, 10
	s_mov_b32 m0, s0
	s_sendmsg sendmsg(MSG_INTERRUPT)
	s_mov_b32 m0, ttmp2
.LBB6_18296:                            ; =>This Inner Loop Header: Depth=1
	s_sethalt 5
	s_branch .LBB6_18296
.LBB6_18297:
	s_trap 2
	s_sendmsg_rtn_b32 s0, sendmsg(MSG_RTN_GET_DOORBELL)
	s_mov_b32 ttmp2, m0
	s_waitcnt lgkmcnt(0)
	s_and_b32 s0, s0, 0x3ff
	s_delay_alu instid0(SALU_CYCLE_1) | instskip(NEXT) | instid1(SALU_CYCLE_1)
	s_bitset1_b32 s0, 10
	s_mov_b32 m0, s0
	s_sendmsg sendmsg(MSG_INTERRUPT)
	s_mov_b32 m0, ttmp2
.LBB6_18298:                            ; =>This Inner Loop Header: Depth=1
	s_sethalt 5
	s_branch .LBB6_18298
.LBB6_18299:
	s_trap 2
	s_sendmsg_rtn_b32 s0, sendmsg(MSG_RTN_GET_DOORBELL)
	s_mov_b32 ttmp2, m0
	s_waitcnt lgkmcnt(0)
	s_and_b32 s0, s0, 0x3ff
	s_delay_alu instid0(SALU_CYCLE_1) | instskip(NEXT) | instid1(SALU_CYCLE_1)
	s_bitset1_b32 s0, 10
	s_mov_b32 m0, s0
	s_sendmsg sendmsg(MSG_INTERRUPT)
	s_mov_b32 m0, ttmp2
.LBB6_18300:                            ; =>This Inner Loop Header: Depth=1
	s_sethalt 5
	s_branch .LBB6_18300
.LBB6_18301:
	s_trap 2
	s_sendmsg_rtn_b32 s0, sendmsg(MSG_RTN_GET_DOORBELL)
	s_mov_b32 ttmp2, m0
	s_waitcnt lgkmcnt(0)
	s_and_b32 s0, s0, 0x3ff
	s_delay_alu instid0(SALU_CYCLE_1) | instskip(NEXT) | instid1(SALU_CYCLE_1)
	s_bitset1_b32 s0, 10
	s_mov_b32 m0, s0
	s_sendmsg sendmsg(MSG_INTERRUPT)
	s_mov_b32 m0, ttmp2
.LBB6_18302:                            ; =>This Inner Loop Header: Depth=1
	s_sethalt 5
	s_branch .LBB6_18302
.LBB6_18303:
	s_trap 2
	s_sendmsg_rtn_b32 s0, sendmsg(MSG_RTN_GET_DOORBELL)
	s_mov_b32 ttmp2, m0
	s_waitcnt lgkmcnt(0)
	s_and_b32 s0, s0, 0x3ff
	s_delay_alu instid0(SALU_CYCLE_1) | instskip(NEXT) | instid1(SALU_CYCLE_1)
	s_bitset1_b32 s0, 10
	s_mov_b32 m0, s0
	s_sendmsg sendmsg(MSG_INTERRUPT)
	s_mov_b32 m0, ttmp2
.LBB6_18304:                            ; =>This Inner Loop Header: Depth=1
	s_sethalt 5
	s_branch .LBB6_18304
.LBB6_18305:
	s_trap 2
	s_sendmsg_rtn_b32 s0, sendmsg(MSG_RTN_GET_DOORBELL)
	s_mov_b32 ttmp2, m0
	s_waitcnt lgkmcnt(0)
	s_and_b32 s0, s0, 0x3ff
	s_delay_alu instid0(SALU_CYCLE_1) | instskip(NEXT) | instid1(SALU_CYCLE_1)
	s_bitset1_b32 s0, 10
	s_mov_b32 m0, s0
	s_sendmsg sendmsg(MSG_INTERRUPT)
	s_mov_b32 m0, ttmp2
.LBB6_18306:                            ; =>This Inner Loop Header: Depth=1
	s_sethalt 5
	s_branch .LBB6_18306
.LBB6_18307:
	s_trap 2
	s_sendmsg_rtn_b32 s0, sendmsg(MSG_RTN_GET_DOORBELL)
	s_mov_b32 ttmp2, m0
	s_waitcnt lgkmcnt(0)
	s_and_b32 s0, s0, 0x3ff
	s_delay_alu instid0(SALU_CYCLE_1) | instskip(NEXT) | instid1(SALU_CYCLE_1)
	s_bitset1_b32 s0, 10
	s_mov_b32 m0, s0
	s_sendmsg sendmsg(MSG_INTERRUPT)
	s_mov_b32 m0, ttmp2
.LBB6_18308:                            ; =>This Inner Loop Header: Depth=1
	s_sethalt 5
	s_branch .LBB6_18308
.LBB6_18309:
	s_trap 2
	s_sendmsg_rtn_b32 s0, sendmsg(MSG_RTN_GET_DOORBELL)
	s_mov_b32 ttmp2, m0
	s_waitcnt lgkmcnt(0)
	s_and_b32 s0, s0, 0x3ff
	s_delay_alu instid0(SALU_CYCLE_1) | instskip(NEXT) | instid1(SALU_CYCLE_1)
	s_bitset1_b32 s0, 10
	s_mov_b32 m0, s0
	s_sendmsg sendmsg(MSG_INTERRUPT)
	s_mov_b32 m0, ttmp2
.LBB6_18310:                            ; =>This Inner Loop Header: Depth=1
	s_sethalt 5
	s_branch .LBB6_18310
.LBB6_18311:
	s_trap 2
	s_sendmsg_rtn_b32 s0, sendmsg(MSG_RTN_GET_DOORBELL)
	s_mov_b32 ttmp2, m0
	s_waitcnt lgkmcnt(0)
	s_and_b32 s0, s0, 0x3ff
	s_delay_alu instid0(SALU_CYCLE_1) | instskip(NEXT) | instid1(SALU_CYCLE_1)
	s_bitset1_b32 s0, 10
	s_mov_b32 m0, s0
	s_sendmsg sendmsg(MSG_INTERRUPT)
	s_mov_b32 m0, ttmp2
.LBB6_18312:                            ; =>This Inner Loop Header: Depth=1
	s_sethalt 5
	s_branch .LBB6_18312
.LBB6_18313:
	s_trap 2
	s_sendmsg_rtn_b32 s0, sendmsg(MSG_RTN_GET_DOORBELL)
	s_mov_b32 ttmp2, m0
	s_waitcnt lgkmcnt(0)
	s_and_b32 s0, s0, 0x3ff
	s_delay_alu instid0(SALU_CYCLE_1) | instskip(NEXT) | instid1(SALU_CYCLE_1)
	s_bitset1_b32 s0, 10
	s_mov_b32 m0, s0
	s_sendmsg sendmsg(MSG_INTERRUPT)
	s_mov_b32 m0, ttmp2
.LBB6_18314:                            ; =>This Inner Loop Header: Depth=1
	s_sethalt 5
	s_branch .LBB6_18314
.LBB6_18315:
	s_trap 2
	s_sendmsg_rtn_b32 s0, sendmsg(MSG_RTN_GET_DOORBELL)
	s_mov_b32 ttmp2, m0
	s_waitcnt lgkmcnt(0)
	s_and_b32 s0, s0, 0x3ff
	s_delay_alu instid0(SALU_CYCLE_1) | instskip(NEXT) | instid1(SALU_CYCLE_1)
	s_bitset1_b32 s0, 10
	s_mov_b32 m0, s0
	s_sendmsg sendmsg(MSG_INTERRUPT)
	s_mov_b32 m0, ttmp2
.LBB6_18316:                            ; =>This Inner Loop Header: Depth=1
	s_sethalt 5
	s_branch .LBB6_18316
.LBB6_18317:
	s_trap 2
	s_sendmsg_rtn_b32 s0, sendmsg(MSG_RTN_GET_DOORBELL)
	s_mov_b32 ttmp2, m0
	s_waitcnt lgkmcnt(0)
	s_and_b32 s0, s0, 0x3ff
	s_delay_alu instid0(SALU_CYCLE_1) | instskip(NEXT) | instid1(SALU_CYCLE_1)
	s_bitset1_b32 s0, 10
	s_mov_b32 m0, s0
	s_sendmsg sendmsg(MSG_INTERRUPT)
	s_mov_b32 m0, ttmp2
.LBB6_18318:                            ; =>This Inner Loop Header: Depth=1
	s_sethalt 5
	s_branch .LBB6_18318
.LBB6_18319:
	s_trap 2
	s_sendmsg_rtn_b32 s0, sendmsg(MSG_RTN_GET_DOORBELL)
	s_mov_b32 ttmp2, m0
	s_waitcnt lgkmcnt(0)
	s_and_b32 s0, s0, 0x3ff
	s_delay_alu instid0(SALU_CYCLE_1) | instskip(NEXT) | instid1(SALU_CYCLE_1)
	s_bitset1_b32 s0, 10
	s_mov_b32 m0, s0
	s_sendmsg sendmsg(MSG_INTERRUPT)
	s_mov_b32 m0, ttmp2
.LBB6_18320:                            ; =>This Inner Loop Header: Depth=1
	s_sethalt 5
	s_branch .LBB6_18320
.LBB6_18321:
	s_trap 2
	s_sendmsg_rtn_b32 s0, sendmsg(MSG_RTN_GET_DOORBELL)
	s_mov_b32 ttmp2, m0
	s_waitcnt lgkmcnt(0)
	s_and_b32 s0, s0, 0x3ff
	s_delay_alu instid0(SALU_CYCLE_1) | instskip(NEXT) | instid1(SALU_CYCLE_1)
	s_bitset1_b32 s0, 10
	s_mov_b32 m0, s0
	s_sendmsg sendmsg(MSG_INTERRUPT)
	s_mov_b32 m0, ttmp2
.LBB6_18322:                            ; =>This Inner Loop Header: Depth=1
	s_sethalt 5
	s_branch .LBB6_18322
.LBB6_18323:
	s_trap 2
	s_sendmsg_rtn_b32 s0, sendmsg(MSG_RTN_GET_DOORBELL)
	s_mov_b32 ttmp2, m0
	s_waitcnt lgkmcnt(0)
	s_and_b32 s0, s0, 0x3ff
	s_delay_alu instid0(SALU_CYCLE_1) | instskip(NEXT) | instid1(SALU_CYCLE_1)
	s_bitset1_b32 s0, 10
	s_mov_b32 m0, s0
	s_sendmsg sendmsg(MSG_INTERRUPT)
	s_mov_b32 m0, ttmp2
.LBB6_18324:                            ; =>This Inner Loop Header: Depth=1
	s_sethalt 5
	s_branch .LBB6_18324
.LBB6_18325:
	s_trap 2
	s_sendmsg_rtn_b32 s0, sendmsg(MSG_RTN_GET_DOORBELL)
	s_mov_b32 ttmp2, m0
	s_waitcnt lgkmcnt(0)
	s_and_b32 s0, s0, 0x3ff
	s_delay_alu instid0(SALU_CYCLE_1) | instskip(NEXT) | instid1(SALU_CYCLE_1)
	s_bitset1_b32 s0, 10
	s_mov_b32 m0, s0
	s_sendmsg sendmsg(MSG_INTERRUPT)
	s_mov_b32 m0, ttmp2
.LBB6_18326:                            ; =>This Inner Loop Header: Depth=1
	s_sethalt 5
	s_branch .LBB6_18326
.LBB6_18327:
	s_trap 2
	s_sendmsg_rtn_b32 s0, sendmsg(MSG_RTN_GET_DOORBELL)
	s_mov_b32 ttmp2, m0
	s_waitcnt lgkmcnt(0)
	s_and_b32 s0, s0, 0x3ff
	s_delay_alu instid0(SALU_CYCLE_1) | instskip(NEXT) | instid1(SALU_CYCLE_1)
	s_bitset1_b32 s0, 10
	s_mov_b32 m0, s0
	s_sendmsg sendmsg(MSG_INTERRUPT)
	s_mov_b32 m0, ttmp2
.LBB6_18328:                            ; =>This Inner Loop Header: Depth=1
	s_sethalt 5
	s_branch .LBB6_18328
.LBB6_18329:
	s_trap 2
	s_sendmsg_rtn_b32 s0, sendmsg(MSG_RTN_GET_DOORBELL)
	s_mov_b32 ttmp2, m0
	s_waitcnt lgkmcnt(0)
	s_and_b32 s0, s0, 0x3ff
	s_delay_alu instid0(SALU_CYCLE_1) | instskip(NEXT) | instid1(SALU_CYCLE_1)
	s_bitset1_b32 s0, 10
	s_mov_b32 m0, s0
	s_sendmsg sendmsg(MSG_INTERRUPT)
	s_mov_b32 m0, ttmp2
.LBB6_18330:                            ; =>This Inner Loop Header: Depth=1
	s_sethalt 5
	s_branch .LBB6_18330
.LBB6_18331:
	s_trap 2
	s_sendmsg_rtn_b32 s0, sendmsg(MSG_RTN_GET_DOORBELL)
	s_mov_b32 ttmp2, m0
	s_waitcnt lgkmcnt(0)
	s_and_b32 s0, s0, 0x3ff
	s_delay_alu instid0(SALU_CYCLE_1) | instskip(NEXT) | instid1(SALU_CYCLE_1)
	s_bitset1_b32 s0, 10
	s_mov_b32 m0, s0
	s_sendmsg sendmsg(MSG_INTERRUPT)
	s_mov_b32 m0, ttmp2
.LBB6_18332:                            ; =>This Inner Loop Header: Depth=1
	s_sethalt 5
	s_branch .LBB6_18332
.LBB6_18333:
	s_trap 2
	s_sendmsg_rtn_b32 s0, sendmsg(MSG_RTN_GET_DOORBELL)
	s_mov_b32 ttmp2, m0
	s_waitcnt lgkmcnt(0)
	s_and_b32 s0, s0, 0x3ff
	s_delay_alu instid0(SALU_CYCLE_1) | instskip(NEXT) | instid1(SALU_CYCLE_1)
	s_bitset1_b32 s0, 10
	s_mov_b32 m0, s0
	s_sendmsg sendmsg(MSG_INTERRUPT)
	s_mov_b32 m0, ttmp2
.LBB6_18334:                            ; =>This Inner Loop Header: Depth=1
	s_sethalt 5
	s_branch .LBB6_18334
.LBB6_18335:
	s_trap 2
	s_sendmsg_rtn_b32 s0, sendmsg(MSG_RTN_GET_DOORBELL)
	s_mov_b32 ttmp2, m0
	s_waitcnt lgkmcnt(0)
	s_and_b32 s0, s0, 0x3ff
	s_delay_alu instid0(SALU_CYCLE_1) | instskip(NEXT) | instid1(SALU_CYCLE_1)
	s_bitset1_b32 s0, 10
	s_mov_b32 m0, s0
	s_sendmsg sendmsg(MSG_INTERRUPT)
	s_mov_b32 m0, ttmp2
.LBB6_18336:                            ; =>This Inner Loop Header: Depth=1
	s_sethalt 5
	s_branch .LBB6_18336
.LBB6_18337:
	s_trap 2
	s_sendmsg_rtn_b32 s0, sendmsg(MSG_RTN_GET_DOORBELL)
	s_mov_b32 ttmp2, m0
	s_waitcnt lgkmcnt(0)
	s_and_b32 s0, s0, 0x3ff
	s_delay_alu instid0(SALU_CYCLE_1) | instskip(NEXT) | instid1(SALU_CYCLE_1)
	s_bitset1_b32 s0, 10
	s_mov_b32 m0, s0
	s_sendmsg sendmsg(MSG_INTERRUPT)
	s_mov_b32 m0, ttmp2
.LBB6_18338:                            ; =>This Inner Loop Header: Depth=1
	s_sethalt 5
	s_branch .LBB6_18338
.LBB6_18339:
	s_trap 2
	s_sendmsg_rtn_b32 s0, sendmsg(MSG_RTN_GET_DOORBELL)
	s_mov_b32 ttmp2, m0
	s_waitcnt lgkmcnt(0)
	s_and_b32 s0, s0, 0x3ff
	s_delay_alu instid0(SALU_CYCLE_1) | instskip(NEXT) | instid1(SALU_CYCLE_1)
	s_bitset1_b32 s0, 10
	s_mov_b32 m0, s0
	s_sendmsg sendmsg(MSG_INTERRUPT)
	s_mov_b32 m0, ttmp2
.LBB6_18340:                            ; =>This Inner Loop Header: Depth=1
	s_sethalt 5
	s_branch .LBB6_18340
.LBB6_18341:
	s_trap 2
	s_sendmsg_rtn_b32 s0, sendmsg(MSG_RTN_GET_DOORBELL)
	s_mov_b32 ttmp2, m0
	s_waitcnt lgkmcnt(0)
	s_and_b32 s0, s0, 0x3ff
	s_delay_alu instid0(SALU_CYCLE_1) | instskip(NEXT) | instid1(SALU_CYCLE_1)
	s_bitset1_b32 s0, 10
	s_mov_b32 m0, s0
	s_sendmsg sendmsg(MSG_INTERRUPT)
	s_mov_b32 m0, ttmp2
.LBB6_18342:                            ; =>This Inner Loop Header: Depth=1
	s_sethalt 5
	s_branch .LBB6_18342
.LBB6_18343:
	s_trap 2
	s_sendmsg_rtn_b32 s0, sendmsg(MSG_RTN_GET_DOORBELL)
	s_mov_b32 ttmp2, m0
	s_waitcnt lgkmcnt(0)
	s_and_b32 s0, s0, 0x3ff
	s_delay_alu instid0(SALU_CYCLE_1) | instskip(NEXT) | instid1(SALU_CYCLE_1)
	s_bitset1_b32 s0, 10
	s_mov_b32 m0, s0
	s_sendmsg sendmsg(MSG_INTERRUPT)
	s_mov_b32 m0, ttmp2
.LBB6_18344:                            ; =>This Inner Loop Header: Depth=1
	s_sethalt 5
	s_branch .LBB6_18344
.LBB6_18345:
	s_trap 2
	s_sendmsg_rtn_b32 s0, sendmsg(MSG_RTN_GET_DOORBELL)
	s_mov_b32 ttmp2, m0
	s_waitcnt lgkmcnt(0)
	s_and_b32 s0, s0, 0x3ff
	s_delay_alu instid0(SALU_CYCLE_1) | instskip(NEXT) | instid1(SALU_CYCLE_1)
	s_bitset1_b32 s0, 10
	s_mov_b32 m0, s0
	s_sendmsg sendmsg(MSG_INTERRUPT)
	s_mov_b32 m0, ttmp2
.LBB6_18346:                            ; =>This Inner Loop Header: Depth=1
	s_sethalt 5
	s_branch .LBB6_18346
.LBB6_18347:
	s_trap 2
	s_sendmsg_rtn_b32 s0, sendmsg(MSG_RTN_GET_DOORBELL)
	s_mov_b32 ttmp2, m0
	s_waitcnt lgkmcnt(0)
	s_and_b32 s0, s0, 0x3ff
	s_delay_alu instid0(SALU_CYCLE_1) | instskip(NEXT) | instid1(SALU_CYCLE_1)
	s_bitset1_b32 s0, 10
	s_mov_b32 m0, s0
	s_sendmsg sendmsg(MSG_INTERRUPT)
	s_mov_b32 m0, ttmp2
.LBB6_18348:                            ; =>This Inner Loop Header: Depth=1
	s_sethalt 5
	s_branch .LBB6_18348
.LBB6_18349:
	s_trap 2
	s_sendmsg_rtn_b32 s0, sendmsg(MSG_RTN_GET_DOORBELL)
	s_mov_b32 ttmp2, m0
	s_waitcnt lgkmcnt(0)
	s_and_b32 s0, s0, 0x3ff
	s_delay_alu instid0(SALU_CYCLE_1) | instskip(NEXT) | instid1(SALU_CYCLE_1)
	s_bitset1_b32 s0, 10
	s_mov_b32 m0, s0
	s_sendmsg sendmsg(MSG_INTERRUPT)
	s_mov_b32 m0, ttmp2
.LBB6_18350:                            ; =>This Inner Loop Header: Depth=1
	s_sethalt 5
	s_branch .LBB6_18350
.LBB6_18351:
	s_trap 2
	s_sendmsg_rtn_b32 s0, sendmsg(MSG_RTN_GET_DOORBELL)
	s_mov_b32 ttmp2, m0
	s_waitcnt lgkmcnt(0)
	s_and_b32 s0, s0, 0x3ff
	s_delay_alu instid0(SALU_CYCLE_1) | instskip(NEXT) | instid1(SALU_CYCLE_1)
	s_bitset1_b32 s0, 10
	s_mov_b32 m0, s0
	s_sendmsg sendmsg(MSG_INTERRUPT)
	s_mov_b32 m0, ttmp2
.LBB6_18352:                            ; =>This Inner Loop Header: Depth=1
	s_sethalt 5
	s_branch .LBB6_18352
.LBB6_18353:
	s_trap 2
	s_sendmsg_rtn_b32 s0, sendmsg(MSG_RTN_GET_DOORBELL)
	s_mov_b32 ttmp2, m0
	s_waitcnt lgkmcnt(0)
	s_and_b32 s0, s0, 0x3ff
	s_delay_alu instid0(SALU_CYCLE_1) | instskip(NEXT) | instid1(SALU_CYCLE_1)
	s_bitset1_b32 s0, 10
	s_mov_b32 m0, s0
	s_sendmsg sendmsg(MSG_INTERRUPT)
	s_mov_b32 m0, ttmp2
.LBB6_18354:                            ; =>This Inner Loop Header: Depth=1
	s_sethalt 5
	s_branch .LBB6_18354
.LBB6_18355:
	s_trap 2
	s_sendmsg_rtn_b32 s0, sendmsg(MSG_RTN_GET_DOORBELL)
	s_mov_b32 ttmp2, m0
	s_waitcnt lgkmcnt(0)
	s_and_b32 s0, s0, 0x3ff
	s_delay_alu instid0(SALU_CYCLE_1) | instskip(NEXT) | instid1(SALU_CYCLE_1)
	s_bitset1_b32 s0, 10
	s_mov_b32 m0, s0
	s_sendmsg sendmsg(MSG_INTERRUPT)
	s_mov_b32 m0, ttmp2
.LBB6_18356:                            ; =>This Inner Loop Header: Depth=1
	s_sethalt 5
	s_branch .LBB6_18356
.LBB6_18357:
	s_trap 2
	s_sendmsg_rtn_b32 s0, sendmsg(MSG_RTN_GET_DOORBELL)
	s_mov_b32 ttmp2, m0
	s_waitcnt lgkmcnt(0)
	s_and_b32 s0, s0, 0x3ff
	s_delay_alu instid0(SALU_CYCLE_1) | instskip(NEXT) | instid1(SALU_CYCLE_1)
	s_bitset1_b32 s0, 10
	s_mov_b32 m0, s0
	s_sendmsg sendmsg(MSG_INTERRUPT)
	s_mov_b32 m0, ttmp2
.LBB6_18358:                            ; =>This Inner Loop Header: Depth=1
	s_sethalt 5
	s_branch .LBB6_18358
.LBB6_18359:
	s_trap 2
	s_sendmsg_rtn_b32 s0, sendmsg(MSG_RTN_GET_DOORBELL)
	s_mov_b32 ttmp2, m0
	s_waitcnt lgkmcnt(0)
	s_and_b32 s0, s0, 0x3ff
	s_delay_alu instid0(SALU_CYCLE_1) | instskip(NEXT) | instid1(SALU_CYCLE_1)
	s_bitset1_b32 s0, 10
	s_mov_b32 m0, s0
	s_sendmsg sendmsg(MSG_INTERRUPT)
	s_mov_b32 m0, ttmp2
.LBB6_18360:                            ; =>This Inner Loop Header: Depth=1
	s_sethalt 5
	s_branch .LBB6_18360
.LBB6_18361:
	s_trap 2
	s_sendmsg_rtn_b32 s0, sendmsg(MSG_RTN_GET_DOORBELL)
	s_mov_b32 ttmp2, m0
	s_waitcnt lgkmcnt(0)
	s_and_b32 s0, s0, 0x3ff
	s_delay_alu instid0(SALU_CYCLE_1) | instskip(NEXT) | instid1(SALU_CYCLE_1)
	s_bitset1_b32 s0, 10
	s_mov_b32 m0, s0
	s_sendmsg sendmsg(MSG_INTERRUPT)
	s_mov_b32 m0, ttmp2
.LBB6_18362:                            ; =>This Inner Loop Header: Depth=1
	s_sethalt 5
	s_branch .LBB6_18362
.LBB6_18363:
	s_trap 2
	s_sendmsg_rtn_b32 s0, sendmsg(MSG_RTN_GET_DOORBELL)
	s_mov_b32 ttmp2, m0
	s_waitcnt lgkmcnt(0)
	s_and_b32 s0, s0, 0x3ff
	s_delay_alu instid0(SALU_CYCLE_1) | instskip(NEXT) | instid1(SALU_CYCLE_1)
	s_bitset1_b32 s0, 10
	s_mov_b32 m0, s0
	s_sendmsg sendmsg(MSG_INTERRUPT)
	s_mov_b32 m0, ttmp2
.LBB6_18364:                            ; =>This Inner Loop Header: Depth=1
	s_sethalt 5
	s_branch .LBB6_18364
.LBB6_18365:
	s_trap 2
	s_sendmsg_rtn_b32 s0, sendmsg(MSG_RTN_GET_DOORBELL)
	s_mov_b32 ttmp2, m0
	s_waitcnt lgkmcnt(0)
	s_and_b32 s0, s0, 0x3ff
	s_delay_alu instid0(SALU_CYCLE_1) | instskip(NEXT) | instid1(SALU_CYCLE_1)
	s_bitset1_b32 s0, 10
	s_mov_b32 m0, s0
	s_sendmsg sendmsg(MSG_INTERRUPT)
	s_mov_b32 m0, ttmp2
.LBB6_18366:                            ; =>This Inner Loop Header: Depth=1
	s_sethalt 5
	s_branch .LBB6_18366
.LBB6_18367:
	s_trap 2
	s_sendmsg_rtn_b32 s0, sendmsg(MSG_RTN_GET_DOORBELL)
	s_mov_b32 ttmp2, m0
	s_waitcnt lgkmcnt(0)
	s_and_b32 s0, s0, 0x3ff
	s_delay_alu instid0(SALU_CYCLE_1) | instskip(NEXT) | instid1(SALU_CYCLE_1)
	s_bitset1_b32 s0, 10
	s_mov_b32 m0, s0
	s_sendmsg sendmsg(MSG_INTERRUPT)
	s_mov_b32 m0, ttmp2
.LBB6_18368:                            ; =>This Inner Loop Header: Depth=1
	s_sethalt 5
	s_branch .LBB6_18368
.LBB6_18369:
	s_trap 2
	s_sendmsg_rtn_b32 s0, sendmsg(MSG_RTN_GET_DOORBELL)
	s_mov_b32 ttmp2, m0
	s_waitcnt lgkmcnt(0)
	s_and_b32 s0, s0, 0x3ff
	s_delay_alu instid0(SALU_CYCLE_1) | instskip(NEXT) | instid1(SALU_CYCLE_1)
	s_bitset1_b32 s0, 10
	s_mov_b32 m0, s0
	s_sendmsg sendmsg(MSG_INTERRUPT)
	s_mov_b32 m0, ttmp2
.LBB6_18370:                            ; =>This Inner Loop Header: Depth=1
	s_sethalt 5
	s_branch .LBB6_18370
.LBB6_18371:
	s_trap 2
	s_sendmsg_rtn_b32 s0, sendmsg(MSG_RTN_GET_DOORBELL)
	s_mov_b32 ttmp2, m0
	s_waitcnt lgkmcnt(0)
	s_and_b32 s0, s0, 0x3ff
	s_delay_alu instid0(SALU_CYCLE_1) | instskip(NEXT) | instid1(SALU_CYCLE_1)
	s_bitset1_b32 s0, 10
	s_mov_b32 m0, s0
	s_sendmsg sendmsg(MSG_INTERRUPT)
	s_mov_b32 m0, ttmp2
.LBB6_18372:                            ; =>This Inner Loop Header: Depth=1
	s_sethalt 5
	s_branch .LBB6_18372
.LBB6_18373:
	s_trap 2
	s_sendmsg_rtn_b32 s0, sendmsg(MSG_RTN_GET_DOORBELL)
	s_mov_b32 ttmp2, m0
	s_waitcnt lgkmcnt(0)
	s_and_b32 s0, s0, 0x3ff
	s_delay_alu instid0(SALU_CYCLE_1) | instskip(NEXT) | instid1(SALU_CYCLE_1)
	s_bitset1_b32 s0, 10
	s_mov_b32 m0, s0
	s_sendmsg sendmsg(MSG_INTERRUPT)
	s_mov_b32 m0, ttmp2
.LBB6_18374:                            ; =>This Inner Loop Header: Depth=1
	s_sethalt 5
	s_branch .LBB6_18374
.LBB6_18375:
	s_trap 2
	s_sendmsg_rtn_b32 s0, sendmsg(MSG_RTN_GET_DOORBELL)
	s_mov_b32 ttmp2, m0
	s_waitcnt lgkmcnt(0)
	s_and_b32 s0, s0, 0x3ff
	s_delay_alu instid0(SALU_CYCLE_1) | instskip(NEXT) | instid1(SALU_CYCLE_1)
	s_bitset1_b32 s0, 10
	s_mov_b32 m0, s0
	s_sendmsg sendmsg(MSG_INTERRUPT)
	s_mov_b32 m0, ttmp2
.LBB6_18376:                            ; =>This Inner Loop Header: Depth=1
	s_sethalt 5
	s_branch .LBB6_18376
.LBB6_18377:
	s_trap 2
	s_sendmsg_rtn_b32 s0, sendmsg(MSG_RTN_GET_DOORBELL)
	s_mov_b32 ttmp2, m0
	s_waitcnt lgkmcnt(0)
	s_and_b32 s0, s0, 0x3ff
	s_delay_alu instid0(SALU_CYCLE_1) | instskip(NEXT) | instid1(SALU_CYCLE_1)
	s_bitset1_b32 s0, 10
	s_mov_b32 m0, s0
	s_sendmsg sendmsg(MSG_INTERRUPT)
	s_mov_b32 m0, ttmp2
.LBB6_18378:                            ; =>This Inner Loop Header: Depth=1
	s_sethalt 5
	s_branch .LBB6_18378
.LBB6_18379:
	s_trap 2
	s_sendmsg_rtn_b32 s0, sendmsg(MSG_RTN_GET_DOORBELL)
	s_mov_b32 ttmp2, m0
	s_waitcnt lgkmcnt(0)
	s_and_b32 s0, s0, 0x3ff
	s_delay_alu instid0(SALU_CYCLE_1) | instskip(NEXT) | instid1(SALU_CYCLE_1)
	s_bitset1_b32 s0, 10
	s_mov_b32 m0, s0
	s_sendmsg sendmsg(MSG_INTERRUPT)
	s_mov_b32 m0, ttmp2
.LBB6_18380:                            ; =>This Inner Loop Header: Depth=1
	s_sethalt 5
	s_branch .LBB6_18380
.LBB6_18381:
	s_trap 2
	s_sendmsg_rtn_b32 s0, sendmsg(MSG_RTN_GET_DOORBELL)
	s_mov_b32 ttmp2, m0
	s_waitcnt lgkmcnt(0)
	s_and_b32 s0, s0, 0x3ff
	s_delay_alu instid0(SALU_CYCLE_1) | instskip(NEXT) | instid1(SALU_CYCLE_1)
	s_bitset1_b32 s0, 10
	s_mov_b32 m0, s0
	s_sendmsg sendmsg(MSG_INTERRUPT)
	s_mov_b32 m0, ttmp2
.LBB6_18382:                            ; =>This Inner Loop Header: Depth=1
	s_sethalt 5
	s_branch .LBB6_18382
.LBB6_18383:
	s_trap 2
	s_sendmsg_rtn_b32 s0, sendmsg(MSG_RTN_GET_DOORBELL)
	s_mov_b32 ttmp2, m0
	s_waitcnt lgkmcnt(0)
	s_and_b32 s0, s0, 0x3ff
	s_delay_alu instid0(SALU_CYCLE_1) | instskip(NEXT) | instid1(SALU_CYCLE_1)
	s_bitset1_b32 s0, 10
	s_mov_b32 m0, s0
	s_sendmsg sendmsg(MSG_INTERRUPT)
	s_mov_b32 m0, ttmp2
.LBB6_18384:                            ; =>This Inner Loop Header: Depth=1
	s_sethalt 5
	s_branch .LBB6_18384
.LBB6_18385:
	s_trap 2
	s_sendmsg_rtn_b32 s0, sendmsg(MSG_RTN_GET_DOORBELL)
	s_mov_b32 ttmp2, m0
	s_waitcnt lgkmcnt(0)
	s_and_b32 s0, s0, 0x3ff
	s_delay_alu instid0(SALU_CYCLE_1) | instskip(NEXT) | instid1(SALU_CYCLE_1)
	s_bitset1_b32 s0, 10
	s_mov_b32 m0, s0
	s_sendmsg sendmsg(MSG_INTERRUPT)
	s_mov_b32 m0, ttmp2
.LBB6_18386:                            ; =>This Inner Loop Header: Depth=1
	s_sethalt 5
	s_branch .LBB6_18386
.LBB6_18387:
	s_trap 2
	s_sendmsg_rtn_b32 s0, sendmsg(MSG_RTN_GET_DOORBELL)
	s_mov_b32 ttmp2, m0
	s_waitcnt lgkmcnt(0)
	s_and_b32 s0, s0, 0x3ff
	s_delay_alu instid0(SALU_CYCLE_1) | instskip(NEXT) | instid1(SALU_CYCLE_1)
	s_bitset1_b32 s0, 10
	s_mov_b32 m0, s0
	s_sendmsg sendmsg(MSG_INTERRUPT)
	s_mov_b32 m0, ttmp2
.LBB6_18388:                            ; =>This Inner Loop Header: Depth=1
	s_sethalt 5
	s_branch .LBB6_18388
.LBB6_18389:
	s_trap 2
	s_sendmsg_rtn_b32 s0, sendmsg(MSG_RTN_GET_DOORBELL)
	s_mov_b32 ttmp2, m0
	s_waitcnt lgkmcnt(0)
	s_and_b32 s0, s0, 0x3ff
	s_delay_alu instid0(SALU_CYCLE_1) | instskip(NEXT) | instid1(SALU_CYCLE_1)
	s_bitset1_b32 s0, 10
	s_mov_b32 m0, s0
	s_sendmsg sendmsg(MSG_INTERRUPT)
	s_mov_b32 m0, ttmp2
.LBB6_18390:                            ; =>This Inner Loop Header: Depth=1
	s_sethalt 5
	s_branch .LBB6_18390
.LBB6_18391:
	s_trap 2
	s_sendmsg_rtn_b32 s0, sendmsg(MSG_RTN_GET_DOORBELL)
	s_mov_b32 ttmp2, m0
	s_waitcnt lgkmcnt(0)
	s_and_b32 s0, s0, 0x3ff
	s_delay_alu instid0(SALU_CYCLE_1) | instskip(NEXT) | instid1(SALU_CYCLE_1)
	s_bitset1_b32 s0, 10
	s_mov_b32 m0, s0
	s_sendmsg sendmsg(MSG_INTERRUPT)
	s_mov_b32 m0, ttmp2
.LBB6_18392:                            ; =>This Inner Loop Header: Depth=1
	s_sethalt 5
	s_branch .LBB6_18392
.LBB6_18393:
	s_trap 2
	s_sendmsg_rtn_b32 s0, sendmsg(MSG_RTN_GET_DOORBELL)
	s_mov_b32 ttmp2, m0
	s_waitcnt lgkmcnt(0)
	s_and_b32 s0, s0, 0x3ff
	s_delay_alu instid0(SALU_CYCLE_1) | instskip(NEXT) | instid1(SALU_CYCLE_1)
	s_bitset1_b32 s0, 10
	s_mov_b32 m0, s0
	s_sendmsg sendmsg(MSG_INTERRUPT)
	s_mov_b32 m0, ttmp2
.LBB6_18394:                            ; =>This Inner Loop Header: Depth=1
	s_sethalt 5
	s_branch .LBB6_18394
.LBB6_18395:
	s_trap 2
	s_sendmsg_rtn_b32 s0, sendmsg(MSG_RTN_GET_DOORBELL)
	s_mov_b32 ttmp2, m0
	s_waitcnt lgkmcnt(0)
	s_and_b32 s0, s0, 0x3ff
	s_delay_alu instid0(SALU_CYCLE_1) | instskip(NEXT) | instid1(SALU_CYCLE_1)
	s_bitset1_b32 s0, 10
	s_mov_b32 m0, s0
	s_sendmsg sendmsg(MSG_INTERRUPT)
	s_mov_b32 m0, ttmp2
.LBB6_18396:                            ; =>This Inner Loop Header: Depth=1
	s_sethalt 5
	s_branch .LBB6_18396
.LBB6_18397:
	s_trap 2
	s_sendmsg_rtn_b32 s0, sendmsg(MSG_RTN_GET_DOORBELL)
	s_mov_b32 ttmp2, m0
	s_waitcnt lgkmcnt(0)
	s_and_b32 s0, s0, 0x3ff
	s_delay_alu instid0(SALU_CYCLE_1) | instskip(NEXT) | instid1(SALU_CYCLE_1)
	s_bitset1_b32 s0, 10
	s_mov_b32 m0, s0
	s_sendmsg sendmsg(MSG_INTERRUPT)
	s_mov_b32 m0, ttmp2
.LBB6_18398:                            ; =>This Inner Loop Header: Depth=1
	s_sethalt 5
	s_branch .LBB6_18398
.LBB6_18399:
	s_trap 2
	s_sendmsg_rtn_b32 s0, sendmsg(MSG_RTN_GET_DOORBELL)
	s_mov_b32 ttmp2, m0
	s_waitcnt lgkmcnt(0)
	s_and_b32 s0, s0, 0x3ff
	s_delay_alu instid0(SALU_CYCLE_1) | instskip(NEXT) | instid1(SALU_CYCLE_1)
	s_bitset1_b32 s0, 10
	s_mov_b32 m0, s0
	s_sendmsg sendmsg(MSG_INTERRUPT)
	s_mov_b32 m0, ttmp2
.LBB6_18400:                            ; =>This Inner Loop Header: Depth=1
	s_sethalt 5
	s_branch .LBB6_18400
.LBB6_18401:
	s_trap 2
	s_sendmsg_rtn_b32 s0, sendmsg(MSG_RTN_GET_DOORBELL)
	s_mov_b32 ttmp2, m0
	s_waitcnt lgkmcnt(0)
	s_and_b32 s0, s0, 0x3ff
	s_delay_alu instid0(SALU_CYCLE_1) | instskip(NEXT) | instid1(SALU_CYCLE_1)
	s_bitset1_b32 s0, 10
	s_mov_b32 m0, s0
	s_sendmsg sendmsg(MSG_INTERRUPT)
	s_mov_b32 m0, ttmp2
.LBB6_18402:                            ; =>This Inner Loop Header: Depth=1
	s_sethalt 5
	s_branch .LBB6_18402
.LBB6_18403:
	s_trap 2
	s_sendmsg_rtn_b32 s0, sendmsg(MSG_RTN_GET_DOORBELL)
	s_mov_b32 ttmp2, m0
	s_waitcnt lgkmcnt(0)
	s_and_b32 s0, s0, 0x3ff
	s_delay_alu instid0(SALU_CYCLE_1) | instskip(NEXT) | instid1(SALU_CYCLE_1)
	s_bitset1_b32 s0, 10
	s_mov_b32 m0, s0
	s_sendmsg sendmsg(MSG_INTERRUPT)
	s_mov_b32 m0, ttmp2
.LBB6_18404:                            ; =>This Inner Loop Header: Depth=1
	s_sethalt 5
	s_branch .LBB6_18404
.LBB6_18405:
	s_trap 2
	s_sendmsg_rtn_b32 s0, sendmsg(MSG_RTN_GET_DOORBELL)
	s_mov_b32 ttmp2, m0
	s_waitcnt lgkmcnt(0)
	s_and_b32 s0, s0, 0x3ff
	s_delay_alu instid0(SALU_CYCLE_1) | instskip(NEXT) | instid1(SALU_CYCLE_1)
	s_bitset1_b32 s0, 10
	s_mov_b32 m0, s0
	s_sendmsg sendmsg(MSG_INTERRUPT)
	s_mov_b32 m0, ttmp2
.LBB6_18406:                            ; =>This Inner Loop Header: Depth=1
	s_sethalt 5
	s_branch .LBB6_18406
.LBB6_18407:
	s_trap 2
	s_sendmsg_rtn_b32 s0, sendmsg(MSG_RTN_GET_DOORBELL)
	s_mov_b32 ttmp2, m0
	s_waitcnt lgkmcnt(0)
	s_and_b32 s0, s0, 0x3ff
	s_delay_alu instid0(SALU_CYCLE_1) | instskip(NEXT) | instid1(SALU_CYCLE_1)
	s_bitset1_b32 s0, 10
	s_mov_b32 m0, s0
	s_sendmsg sendmsg(MSG_INTERRUPT)
	s_mov_b32 m0, ttmp2
.LBB6_18408:                            ; =>This Inner Loop Header: Depth=1
	s_sethalt 5
	s_branch .LBB6_18408
.LBB6_18409:
	s_trap 2
	s_sendmsg_rtn_b32 s0, sendmsg(MSG_RTN_GET_DOORBELL)
	s_mov_b32 ttmp2, m0
	s_waitcnt lgkmcnt(0)
	s_and_b32 s0, s0, 0x3ff
	s_delay_alu instid0(SALU_CYCLE_1) | instskip(NEXT) | instid1(SALU_CYCLE_1)
	s_bitset1_b32 s0, 10
	s_mov_b32 m0, s0
	s_sendmsg sendmsg(MSG_INTERRUPT)
	s_mov_b32 m0, ttmp2
.LBB6_18410:                            ; =>This Inner Loop Header: Depth=1
	s_sethalt 5
	s_branch .LBB6_18410
.LBB6_18411:
	s_trap 2
	s_sendmsg_rtn_b32 s0, sendmsg(MSG_RTN_GET_DOORBELL)
	s_mov_b32 ttmp2, m0
	s_waitcnt lgkmcnt(0)
	s_and_b32 s0, s0, 0x3ff
	s_delay_alu instid0(SALU_CYCLE_1) | instskip(NEXT) | instid1(SALU_CYCLE_1)
	s_bitset1_b32 s0, 10
	s_mov_b32 m0, s0
	s_sendmsg sendmsg(MSG_INTERRUPT)
	s_mov_b32 m0, ttmp2
.LBB6_18412:                            ; =>This Inner Loop Header: Depth=1
	s_sethalt 5
	s_branch .LBB6_18412
.LBB6_18413:
	s_trap 2
	s_sendmsg_rtn_b32 s0, sendmsg(MSG_RTN_GET_DOORBELL)
	s_mov_b32 ttmp2, m0
	s_waitcnt lgkmcnt(0)
	s_and_b32 s0, s0, 0x3ff
	s_delay_alu instid0(SALU_CYCLE_1) | instskip(NEXT) | instid1(SALU_CYCLE_1)
	s_bitset1_b32 s0, 10
	s_mov_b32 m0, s0
	s_sendmsg sendmsg(MSG_INTERRUPT)
	s_mov_b32 m0, ttmp2
.LBB6_18414:                            ; =>This Inner Loop Header: Depth=1
	s_sethalt 5
	s_branch .LBB6_18414
.LBB6_18415:
	s_trap 2
	s_sendmsg_rtn_b32 s0, sendmsg(MSG_RTN_GET_DOORBELL)
	s_mov_b32 ttmp2, m0
	s_waitcnt lgkmcnt(0)
	s_and_b32 s0, s0, 0x3ff
	s_delay_alu instid0(SALU_CYCLE_1) | instskip(NEXT) | instid1(SALU_CYCLE_1)
	s_bitset1_b32 s0, 10
	s_mov_b32 m0, s0
	s_sendmsg sendmsg(MSG_INTERRUPT)
	s_mov_b32 m0, ttmp2
.LBB6_18416:                            ; =>This Inner Loop Header: Depth=1
	s_sethalt 5
	s_branch .LBB6_18416
.LBB6_18417:
	s_trap 2
	s_sendmsg_rtn_b32 s0, sendmsg(MSG_RTN_GET_DOORBELL)
	s_mov_b32 ttmp2, m0
	s_waitcnt lgkmcnt(0)
	s_and_b32 s0, s0, 0x3ff
	s_delay_alu instid0(SALU_CYCLE_1) | instskip(NEXT) | instid1(SALU_CYCLE_1)
	s_bitset1_b32 s0, 10
	s_mov_b32 m0, s0
	s_sendmsg sendmsg(MSG_INTERRUPT)
	s_mov_b32 m0, ttmp2
.LBB6_18418:                            ; =>This Inner Loop Header: Depth=1
	s_sethalt 5
	s_branch .LBB6_18418
.LBB6_18419:
	s_trap 2
	s_sendmsg_rtn_b32 s0, sendmsg(MSG_RTN_GET_DOORBELL)
	s_mov_b32 ttmp2, m0
	s_waitcnt lgkmcnt(0)
	s_and_b32 s0, s0, 0x3ff
	s_delay_alu instid0(SALU_CYCLE_1) | instskip(NEXT) | instid1(SALU_CYCLE_1)
	s_bitset1_b32 s0, 10
	s_mov_b32 m0, s0
	s_sendmsg sendmsg(MSG_INTERRUPT)
	s_mov_b32 m0, ttmp2
.LBB6_18420:                            ; =>This Inner Loop Header: Depth=1
	s_sethalt 5
	s_branch .LBB6_18420
.LBB6_18421:
	s_trap 2
	s_sendmsg_rtn_b32 s0, sendmsg(MSG_RTN_GET_DOORBELL)
	s_mov_b32 ttmp2, m0
	s_waitcnt lgkmcnt(0)
	s_and_b32 s0, s0, 0x3ff
	s_delay_alu instid0(SALU_CYCLE_1) | instskip(NEXT) | instid1(SALU_CYCLE_1)
	s_bitset1_b32 s0, 10
	s_mov_b32 m0, s0
	s_sendmsg sendmsg(MSG_INTERRUPT)
	s_mov_b32 m0, ttmp2
.LBB6_18422:                            ; =>This Inner Loop Header: Depth=1
	s_sethalt 5
	s_branch .LBB6_18422
.LBB6_18423:
	s_trap 2
	s_sendmsg_rtn_b32 s0, sendmsg(MSG_RTN_GET_DOORBELL)
	s_mov_b32 ttmp2, m0
	s_waitcnt lgkmcnt(0)
	s_and_b32 s0, s0, 0x3ff
	s_delay_alu instid0(SALU_CYCLE_1) | instskip(NEXT) | instid1(SALU_CYCLE_1)
	s_bitset1_b32 s0, 10
	s_mov_b32 m0, s0
	s_sendmsg sendmsg(MSG_INTERRUPT)
	s_mov_b32 m0, ttmp2
.LBB6_18424:                            ; =>This Inner Loop Header: Depth=1
	s_sethalt 5
	s_branch .LBB6_18424
.LBB6_18425:
	s_trap 2
	s_sendmsg_rtn_b32 s0, sendmsg(MSG_RTN_GET_DOORBELL)
	s_mov_b32 ttmp2, m0
	s_waitcnt lgkmcnt(0)
	s_and_b32 s0, s0, 0x3ff
	s_delay_alu instid0(SALU_CYCLE_1) | instskip(NEXT) | instid1(SALU_CYCLE_1)
	s_bitset1_b32 s0, 10
	s_mov_b32 m0, s0
	s_sendmsg sendmsg(MSG_INTERRUPT)
	s_mov_b32 m0, ttmp2
.LBB6_18426:                            ; =>This Inner Loop Header: Depth=1
	s_sethalt 5
	s_branch .LBB6_18426
.LBB6_18427:
	s_trap 2
	s_sendmsg_rtn_b32 s0, sendmsg(MSG_RTN_GET_DOORBELL)
	s_mov_b32 ttmp2, m0
	s_waitcnt lgkmcnt(0)
	s_and_b32 s0, s0, 0x3ff
	s_delay_alu instid0(SALU_CYCLE_1) | instskip(NEXT) | instid1(SALU_CYCLE_1)
	s_bitset1_b32 s0, 10
	s_mov_b32 m0, s0
	s_sendmsg sendmsg(MSG_INTERRUPT)
	s_mov_b32 m0, ttmp2
.LBB6_18428:                            ; =>This Inner Loop Header: Depth=1
	s_sethalt 5
	s_branch .LBB6_18428
.LBB6_18429:
	s_trap 2
	s_sendmsg_rtn_b32 s0, sendmsg(MSG_RTN_GET_DOORBELL)
	s_mov_b32 ttmp2, m0
	s_waitcnt lgkmcnt(0)
	s_and_b32 s0, s0, 0x3ff
	s_delay_alu instid0(SALU_CYCLE_1) | instskip(NEXT) | instid1(SALU_CYCLE_1)
	s_bitset1_b32 s0, 10
	s_mov_b32 m0, s0
	s_sendmsg sendmsg(MSG_INTERRUPT)
	s_mov_b32 m0, ttmp2
.LBB6_18430:                            ; =>This Inner Loop Header: Depth=1
	s_sethalt 5
	s_branch .LBB6_18430
.LBB6_18431:
	s_trap 2
	s_sendmsg_rtn_b32 s0, sendmsg(MSG_RTN_GET_DOORBELL)
	s_mov_b32 ttmp2, m0
	s_waitcnt lgkmcnt(0)
	s_and_b32 s0, s0, 0x3ff
	s_delay_alu instid0(SALU_CYCLE_1) | instskip(NEXT) | instid1(SALU_CYCLE_1)
	s_bitset1_b32 s0, 10
	s_mov_b32 m0, s0
	s_sendmsg sendmsg(MSG_INTERRUPT)
	s_mov_b32 m0, ttmp2
.LBB6_18432:                            ; =>This Inner Loop Header: Depth=1
	s_sethalt 5
	s_branch .LBB6_18432
.LBB6_18433:
	s_trap 2
	s_sendmsg_rtn_b32 s0, sendmsg(MSG_RTN_GET_DOORBELL)
	s_mov_b32 ttmp2, m0
	s_waitcnt lgkmcnt(0)
	s_and_b32 s0, s0, 0x3ff
	s_delay_alu instid0(SALU_CYCLE_1) | instskip(NEXT) | instid1(SALU_CYCLE_1)
	s_bitset1_b32 s0, 10
	s_mov_b32 m0, s0
	s_sendmsg sendmsg(MSG_INTERRUPT)
	s_mov_b32 m0, ttmp2
.LBB6_18434:                            ; =>This Inner Loop Header: Depth=1
	s_sethalt 5
	s_branch .LBB6_18434
.LBB6_18435:
	s_trap 2
	s_sendmsg_rtn_b32 s0, sendmsg(MSG_RTN_GET_DOORBELL)
	s_mov_b32 ttmp2, m0
	s_waitcnt lgkmcnt(0)
	s_and_b32 s0, s0, 0x3ff
	s_delay_alu instid0(SALU_CYCLE_1) | instskip(NEXT) | instid1(SALU_CYCLE_1)
	s_bitset1_b32 s0, 10
	s_mov_b32 m0, s0
	s_sendmsg sendmsg(MSG_INTERRUPT)
	s_mov_b32 m0, ttmp2
.LBB6_18436:                            ; =>This Inner Loop Header: Depth=1
	s_sethalt 5
	s_branch .LBB6_18436
.LBB6_18437:
	s_trap 2
	s_sendmsg_rtn_b32 s0, sendmsg(MSG_RTN_GET_DOORBELL)
	s_mov_b32 ttmp2, m0
	s_waitcnt lgkmcnt(0)
	s_and_b32 s0, s0, 0x3ff
	s_delay_alu instid0(SALU_CYCLE_1) | instskip(NEXT) | instid1(SALU_CYCLE_1)
	s_bitset1_b32 s0, 10
	s_mov_b32 m0, s0
	s_sendmsg sendmsg(MSG_INTERRUPT)
	s_mov_b32 m0, ttmp2
.LBB6_18438:                            ; =>This Inner Loop Header: Depth=1
	s_sethalt 5
	s_branch .LBB6_18438
.LBB6_18439:
	s_trap 2
	s_sendmsg_rtn_b32 s0, sendmsg(MSG_RTN_GET_DOORBELL)
	s_mov_b32 ttmp2, m0
	s_waitcnt lgkmcnt(0)
	s_and_b32 s0, s0, 0x3ff
	s_delay_alu instid0(SALU_CYCLE_1) | instskip(NEXT) | instid1(SALU_CYCLE_1)
	s_bitset1_b32 s0, 10
	s_mov_b32 m0, s0
	s_sendmsg sendmsg(MSG_INTERRUPT)
	s_mov_b32 m0, ttmp2
.LBB6_18440:                            ; =>This Inner Loop Header: Depth=1
	s_sethalt 5
	s_branch .LBB6_18440
.LBB6_18441:
	s_trap 2
	s_sendmsg_rtn_b32 s0, sendmsg(MSG_RTN_GET_DOORBELL)
	s_mov_b32 ttmp2, m0
	s_waitcnt lgkmcnt(0)
	s_and_b32 s0, s0, 0x3ff
	s_delay_alu instid0(SALU_CYCLE_1) | instskip(NEXT) | instid1(SALU_CYCLE_1)
	s_bitset1_b32 s0, 10
	s_mov_b32 m0, s0
	s_sendmsg sendmsg(MSG_INTERRUPT)
	s_mov_b32 m0, ttmp2
.LBB6_18442:                            ; =>This Inner Loop Header: Depth=1
	s_sethalt 5
	s_branch .LBB6_18442
.LBB6_18443:
	s_trap 2
	s_sendmsg_rtn_b32 s0, sendmsg(MSG_RTN_GET_DOORBELL)
	s_mov_b32 ttmp2, m0
	s_waitcnt lgkmcnt(0)
	s_and_b32 s0, s0, 0x3ff
	s_delay_alu instid0(SALU_CYCLE_1) | instskip(NEXT) | instid1(SALU_CYCLE_1)
	s_bitset1_b32 s0, 10
	s_mov_b32 m0, s0
	s_sendmsg sendmsg(MSG_INTERRUPT)
	s_mov_b32 m0, ttmp2
.LBB6_18444:                            ; =>This Inner Loop Header: Depth=1
	s_sethalt 5
	s_branch .LBB6_18444
.LBB6_18445:
	s_trap 2
	s_sendmsg_rtn_b32 s0, sendmsg(MSG_RTN_GET_DOORBELL)
	s_mov_b32 ttmp2, m0
	s_waitcnt lgkmcnt(0)
	s_and_b32 s0, s0, 0x3ff
	s_delay_alu instid0(SALU_CYCLE_1) | instskip(NEXT) | instid1(SALU_CYCLE_1)
	s_bitset1_b32 s0, 10
	s_mov_b32 m0, s0
	s_sendmsg sendmsg(MSG_INTERRUPT)
	s_mov_b32 m0, ttmp2
.LBB6_18446:                            ; =>This Inner Loop Header: Depth=1
	s_sethalt 5
	s_branch .LBB6_18446
.LBB6_18447:
	s_trap 2
	s_sendmsg_rtn_b32 s0, sendmsg(MSG_RTN_GET_DOORBELL)
	s_mov_b32 ttmp2, m0
	s_waitcnt lgkmcnt(0)
	s_and_b32 s0, s0, 0x3ff
	s_delay_alu instid0(SALU_CYCLE_1) | instskip(NEXT) | instid1(SALU_CYCLE_1)
	s_bitset1_b32 s0, 10
	s_mov_b32 m0, s0
	s_sendmsg sendmsg(MSG_INTERRUPT)
	s_mov_b32 m0, ttmp2
.LBB6_18448:                            ; =>This Inner Loop Header: Depth=1
	s_sethalt 5
	s_branch .LBB6_18448
.LBB6_18449:
	s_trap 2
	s_sendmsg_rtn_b32 s0, sendmsg(MSG_RTN_GET_DOORBELL)
	s_mov_b32 ttmp2, m0
	s_waitcnt lgkmcnt(0)
	s_and_b32 s0, s0, 0x3ff
	s_delay_alu instid0(SALU_CYCLE_1) | instskip(NEXT) | instid1(SALU_CYCLE_1)
	s_bitset1_b32 s0, 10
	s_mov_b32 m0, s0
	s_sendmsg sendmsg(MSG_INTERRUPT)
	s_mov_b32 m0, ttmp2
.LBB6_18450:                            ; =>This Inner Loop Header: Depth=1
	s_sethalt 5
	s_branch .LBB6_18450
.LBB6_18451:
	s_trap 2
	s_sendmsg_rtn_b32 s0, sendmsg(MSG_RTN_GET_DOORBELL)
	s_mov_b32 ttmp2, m0
	s_waitcnt lgkmcnt(0)
	s_and_b32 s0, s0, 0x3ff
	s_delay_alu instid0(SALU_CYCLE_1) | instskip(NEXT) | instid1(SALU_CYCLE_1)
	s_bitset1_b32 s0, 10
	s_mov_b32 m0, s0
	s_sendmsg sendmsg(MSG_INTERRUPT)
	s_mov_b32 m0, ttmp2
.LBB6_18452:                            ; =>This Inner Loop Header: Depth=1
	s_sethalt 5
	s_branch .LBB6_18452
.LBB6_18453:
	s_trap 2
	s_sendmsg_rtn_b32 s0, sendmsg(MSG_RTN_GET_DOORBELL)
	s_mov_b32 ttmp2, m0
	s_waitcnt lgkmcnt(0)
	s_and_b32 s0, s0, 0x3ff
	s_delay_alu instid0(SALU_CYCLE_1) | instskip(NEXT) | instid1(SALU_CYCLE_1)
	s_bitset1_b32 s0, 10
	s_mov_b32 m0, s0
	s_sendmsg sendmsg(MSG_INTERRUPT)
	s_mov_b32 m0, ttmp2
.LBB6_18454:                            ; =>This Inner Loop Header: Depth=1
	s_sethalt 5
	s_branch .LBB6_18454
.LBB6_18455:
	s_trap 2
	s_sendmsg_rtn_b32 s0, sendmsg(MSG_RTN_GET_DOORBELL)
	s_mov_b32 ttmp2, m0
	s_waitcnt lgkmcnt(0)
	s_and_b32 s0, s0, 0x3ff
	s_delay_alu instid0(SALU_CYCLE_1) | instskip(NEXT) | instid1(SALU_CYCLE_1)
	s_bitset1_b32 s0, 10
	s_mov_b32 m0, s0
	s_sendmsg sendmsg(MSG_INTERRUPT)
	s_mov_b32 m0, ttmp2
.LBB6_18456:                            ; =>This Inner Loop Header: Depth=1
	s_sethalt 5
	s_branch .LBB6_18456
.LBB6_18457:
	s_trap 2
	s_sendmsg_rtn_b32 s0, sendmsg(MSG_RTN_GET_DOORBELL)
	s_mov_b32 ttmp2, m0
	s_waitcnt lgkmcnt(0)
	s_and_b32 s0, s0, 0x3ff
	s_delay_alu instid0(SALU_CYCLE_1) | instskip(NEXT) | instid1(SALU_CYCLE_1)
	s_bitset1_b32 s0, 10
	s_mov_b32 m0, s0
	s_sendmsg sendmsg(MSG_INTERRUPT)
	s_mov_b32 m0, ttmp2
.LBB6_18458:                            ; =>This Inner Loop Header: Depth=1
	s_sethalt 5
	s_branch .LBB6_18458
.LBB6_18459:
	s_trap 2
	s_sendmsg_rtn_b32 s0, sendmsg(MSG_RTN_GET_DOORBELL)
	s_mov_b32 ttmp2, m0
	s_waitcnt lgkmcnt(0)
	s_and_b32 s0, s0, 0x3ff
	s_delay_alu instid0(SALU_CYCLE_1) | instskip(NEXT) | instid1(SALU_CYCLE_1)
	s_bitset1_b32 s0, 10
	s_mov_b32 m0, s0
	s_sendmsg sendmsg(MSG_INTERRUPT)
	s_mov_b32 m0, ttmp2
.LBB6_18460:                            ; =>This Inner Loop Header: Depth=1
	s_sethalt 5
	s_branch .LBB6_18460
.LBB6_18461:
	s_trap 2
	s_sendmsg_rtn_b32 s0, sendmsg(MSG_RTN_GET_DOORBELL)
	s_mov_b32 ttmp2, m0
	s_waitcnt lgkmcnt(0)
	s_and_b32 s0, s0, 0x3ff
	s_delay_alu instid0(SALU_CYCLE_1) | instskip(NEXT) | instid1(SALU_CYCLE_1)
	s_bitset1_b32 s0, 10
	s_mov_b32 m0, s0
	s_sendmsg sendmsg(MSG_INTERRUPT)
	s_mov_b32 m0, ttmp2
.LBB6_18462:                            ; =>This Inner Loop Header: Depth=1
	s_sethalt 5
	s_branch .LBB6_18462
.LBB6_18463:
	s_trap 2
	s_sendmsg_rtn_b32 s0, sendmsg(MSG_RTN_GET_DOORBELL)
	s_mov_b32 ttmp2, m0
	s_waitcnt lgkmcnt(0)
	s_and_b32 s0, s0, 0x3ff
	s_delay_alu instid0(SALU_CYCLE_1) | instskip(NEXT) | instid1(SALU_CYCLE_1)
	s_bitset1_b32 s0, 10
	s_mov_b32 m0, s0
	s_sendmsg sendmsg(MSG_INTERRUPT)
	s_mov_b32 m0, ttmp2
.LBB6_18464:                            ; =>This Inner Loop Header: Depth=1
	s_sethalt 5
	s_branch .LBB6_18464
.LBB6_18465:
	s_trap 2
	s_sendmsg_rtn_b32 s0, sendmsg(MSG_RTN_GET_DOORBELL)
	s_mov_b32 ttmp2, m0
	s_waitcnt lgkmcnt(0)
	s_and_b32 s0, s0, 0x3ff
	s_delay_alu instid0(SALU_CYCLE_1) | instskip(NEXT) | instid1(SALU_CYCLE_1)
	s_bitset1_b32 s0, 10
	s_mov_b32 m0, s0
	s_sendmsg sendmsg(MSG_INTERRUPT)
	s_mov_b32 m0, ttmp2
.LBB6_18466:                            ; =>This Inner Loop Header: Depth=1
	s_sethalt 5
	s_branch .LBB6_18466
.LBB6_18467:
	s_trap 2
	s_sendmsg_rtn_b32 s0, sendmsg(MSG_RTN_GET_DOORBELL)
	s_mov_b32 ttmp2, m0
	s_waitcnt lgkmcnt(0)
	s_and_b32 s0, s0, 0x3ff
	s_delay_alu instid0(SALU_CYCLE_1) | instskip(NEXT) | instid1(SALU_CYCLE_1)
	s_bitset1_b32 s0, 10
	s_mov_b32 m0, s0
	s_sendmsg sendmsg(MSG_INTERRUPT)
	s_mov_b32 m0, ttmp2
.LBB6_18468:                            ; =>This Inner Loop Header: Depth=1
	s_sethalt 5
	s_branch .LBB6_18468
.LBB6_18469:
	s_trap 2
	s_sendmsg_rtn_b32 s0, sendmsg(MSG_RTN_GET_DOORBELL)
	s_mov_b32 ttmp2, m0
	s_waitcnt lgkmcnt(0)
	s_and_b32 s0, s0, 0x3ff
	s_delay_alu instid0(SALU_CYCLE_1) | instskip(NEXT) | instid1(SALU_CYCLE_1)
	s_bitset1_b32 s0, 10
	s_mov_b32 m0, s0
	s_sendmsg sendmsg(MSG_INTERRUPT)
	s_mov_b32 m0, ttmp2
.LBB6_18470:                            ; =>This Inner Loop Header: Depth=1
	s_sethalt 5
	s_branch .LBB6_18470
.LBB6_18471:
	s_trap 2
	s_sendmsg_rtn_b32 s0, sendmsg(MSG_RTN_GET_DOORBELL)
	s_mov_b32 ttmp2, m0
	s_waitcnt lgkmcnt(0)
	s_and_b32 s0, s0, 0x3ff
	s_delay_alu instid0(SALU_CYCLE_1) | instskip(NEXT) | instid1(SALU_CYCLE_1)
	s_bitset1_b32 s0, 10
	s_mov_b32 m0, s0
	s_sendmsg sendmsg(MSG_INTERRUPT)
	s_mov_b32 m0, ttmp2
.LBB6_18472:                            ; =>This Inner Loop Header: Depth=1
	s_sethalt 5
	s_branch .LBB6_18472
.LBB6_18473:
	s_trap 2
	s_sendmsg_rtn_b32 s0, sendmsg(MSG_RTN_GET_DOORBELL)
	s_mov_b32 ttmp2, m0
	s_waitcnt lgkmcnt(0)
	s_and_b32 s0, s0, 0x3ff
	s_delay_alu instid0(SALU_CYCLE_1) | instskip(NEXT) | instid1(SALU_CYCLE_1)
	s_bitset1_b32 s0, 10
	s_mov_b32 m0, s0
	s_sendmsg sendmsg(MSG_INTERRUPT)
	s_mov_b32 m0, ttmp2
.LBB6_18474:                            ; =>This Inner Loop Header: Depth=1
	s_sethalt 5
	s_branch .LBB6_18474
.LBB6_18475:
	s_trap 2
	s_sendmsg_rtn_b32 s0, sendmsg(MSG_RTN_GET_DOORBELL)
	s_mov_b32 ttmp2, m0
	s_waitcnt lgkmcnt(0)
	s_and_b32 s0, s0, 0x3ff
	s_delay_alu instid0(SALU_CYCLE_1) | instskip(NEXT) | instid1(SALU_CYCLE_1)
	s_bitset1_b32 s0, 10
	s_mov_b32 m0, s0
	s_sendmsg sendmsg(MSG_INTERRUPT)
	s_mov_b32 m0, ttmp2
.LBB6_18476:                            ; =>This Inner Loop Header: Depth=1
	s_sethalt 5
	s_branch .LBB6_18476
.LBB6_18477:
	s_trap 2
	s_sendmsg_rtn_b32 s0, sendmsg(MSG_RTN_GET_DOORBELL)
	s_mov_b32 ttmp2, m0
	s_waitcnt lgkmcnt(0)
	s_and_b32 s0, s0, 0x3ff
	s_delay_alu instid0(SALU_CYCLE_1) | instskip(NEXT) | instid1(SALU_CYCLE_1)
	s_bitset1_b32 s0, 10
	s_mov_b32 m0, s0
	s_sendmsg sendmsg(MSG_INTERRUPT)
	s_mov_b32 m0, ttmp2
.LBB6_18478:                            ; =>This Inner Loop Header: Depth=1
	s_sethalt 5
	s_branch .LBB6_18478
.LBB6_18479:
	s_trap 2
	s_sendmsg_rtn_b32 s0, sendmsg(MSG_RTN_GET_DOORBELL)
	s_mov_b32 ttmp2, m0
	s_waitcnt lgkmcnt(0)
	s_and_b32 s0, s0, 0x3ff
	s_delay_alu instid0(SALU_CYCLE_1) | instskip(NEXT) | instid1(SALU_CYCLE_1)
	s_bitset1_b32 s0, 10
	s_mov_b32 m0, s0
	s_sendmsg sendmsg(MSG_INTERRUPT)
	s_mov_b32 m0, ttmp2
.LBB6_18480:                            ; =>This Inner Loop Header: Depth=1
	s_sethalt 5
	s_branch .LBB6_18480
.LBB6_18481:
	s_trap 2
	s_sendmsg_rtn_b32 s0, sendmsg(MSG_RTN_GET_DOORBELL)
	s_mov_b32 ttmp2, m0
	s_waitcnt lgkmcnt(0)
	s_and_b32 s0, s0, 0x3ff
	s_delay_alu instid0(SALU_CYCLE_1) | instskip(NEXT) | instid1(SALU_CYCLE_1)
	s_bitset1_b32 s0, 10
	s_mov_b32 m0, s0
	s_sendmsg sendmsg(MSG_INTERRUPT)
	s_mov_b32 m0, ttmp2
.LBB6_18482:                            ; =>This Inner Loop Header: Depth=1
	s_sethalt 5
	s_branch .LBB6_18482
.LBB6_18483:
	s_trap 2
	s_sendmsg_rtn_b32 s0, sendmsg(MSG_RTN_GET_DOORBELL)
	s_mov_b32 ttmp2, m0
	s_waitcnt lgkmcnt(0)
	s_and_b32 s0, s0, 0x3ff
	s_delay_alu instid0(SALU_CYCLE_1) | instskip(NEXT) | instid1(SALU_CYCLE_1)
	s_bitset1_b32 s0, 10
	s_mov_b32 m0, s0
	s_sendmsg sendmsg(MSG_INTERRUPT)
	s_mov_b32 m0, ttmp2
.LBB6_18484:                            ; =>This Inner Loop Header: Depth=1
	s_sethalt 5
	s_branch .LBB6_18484
.LBB6_18485:
	s_trap 2
	s_sendmsg_rtn_b32 s0, sendmsg(MSG_RTN_GET_DOORBELL)
	s_mov_b32 ttmp2, m0
	s_waitcnt lgkmcnt(0)
	s_and_b32 s0, s0, 0x3ff
	s_delay_alu instid0(SALU_CYCLE_1) | instskip(NEXT) | instid1(SALU_CYCLE_1)
	s_bitset1_b32 s0, 10
	s_mov_b32 m0, s0
	s_sendmsg sendmsg(MSG_INTERRUPT)
	s_mov_b32 m0, ttmp2
.LBB6_18486:                            ; =>This Inner Loop Header: Depth=1
	s_sethalt 5
	s_branch .LBB6_18486
.LBB6_18487:
	s_trap 2
	s_sendmsg_rtn_b32 s0, sendmsg(MSG_RTN_GET_DOORBELL)
	s_mov_b32 ttmp2, m0
	s_waitcnt lgkmcnt(0)
	s_and_b32 s0, s0, 0x3ff
	s_delay_alu instid0(SALU_CYCLE_1) | instskip(NEXT) | instid1(SALU_CYCLE_1)
	s_bitset1_b32 s0, 10
	s_mov_b32 m0, s0
	s_sendmsg sendmsg(MSG_INTERRUPT)
	s_mov_b32 m0, ttmp2
.LBB6_18488:                            ; =>This Inner Loop Header: Depth=1
	s_sethalt 5
	s_branch .LBB6_18488
.LBB6_18489:
	s_trap 2
	s_sendmsg_rtn_b32 s0, sendmsg(MSG_RTN_GET_DOORBELL)
	s_mov_b32 ttmp2, m0
	s_waitcnt lgkmcnt(0)
	s_and_b32 s0, s0, 0x3ff
	s_delay_alu instid0(SALU_CYCLE_1) | instskip(NEXT) | instid1(SALU_CYCLE_1)
	s_bitset1_b32 s0, 10
	s_mov_b32 m0, s0
	s_sendmsg sendmsg(MSG_INTERRUPT)
	s_mov_b32 m0, ttmp2
.LBB6_18490:                            ; =>This Inner Loop Header: Depth=1
	s_sethalt 5
	s_branch .LBB6_18490
.LBB6_18491:
	s_trap 2
	s_sendmsg_rtn_b32 s0, sendmsg(MSG_RTN_GET_DOORBELL)
	s_mov_b32 ttmp2, m0
	s_waitcnt lgkmcnt(0)
	s_and_b32 s0, s0, 0x3ff
	s_delay_alu instid0(SALU_CYCLE_1) | instskip(NEXT) | instid1(SALU_CYCLE_1)
	s_bitset1_b32 s0, 10
	s_mov_b32 m0, s0
	s_sendmsg sendmsg(MSG_INTERRUPT)
	s_mov_b32 m0, ttmp2
.LBB6_18492:                            ; =>This Inner Loop Header: Depth=1
	s_sethalt 5
	s_branch .LBB6_18492
.Lfunc_end6:
	.size	_ZN12_GLOBAL__N_17runRingI12rccl_bfloat813FuncPreMulSumIS1_E11ProtoSimpleILi2ELi2ELi0ELi4ELi0ELi0EELi0ELi0ELi4ELi0EEEviiP15ncclDevWorkColl, .Lfunc_end6-_ZN12_GLOBAL__N_17runRingI12rccl_bfloat813FuncPreMulSumIS1_E11ProtoSimpleILi2ELi2ELi0ELi4ELi0ELi0EELi0ELi0ELi4ELi0EEEviiP15ncclDevWorkColl
                                        ; -- End function
	.section	.AMDGPU.csdata,"",@progbits
; Function info:
; codeLenInByte = 774784
; NumSgprs: 52
; NumVgprs: 192
; ScratchSize: 736
; MemoryBound: 1
	.text
	.p2align	2                               ; -- Begin function _Z56ncclDevFunc_AllReduce_RING_SIMPLE_PreMulSum_f8e5m2_0_0_4v
	.type	_Z56ncclDevFunc_AllReduce_RING_SIMPLE_PreMulSum_f8e5m2_0_0_4v,@function
_Z56ncclDevFunc_AllReduce_RING_SIMPLE_PreMulSum_f8e5m2_0_0_4v: ; @_Z56ncclDevFunc_AllReduce_RING_SIMPLE_PreMulSum_f8e5m2_0_0_4v
; %bb.0:
	s_waitcnt vmcnt(0) expcnt(0) lgkmcnt(0)
	s_mov_b32 s0, s33
	s_mov_b32 s33, s32
	s_or_saveexec_b32 s1, -1
	scratch_store_b32 off, v42, s33 offset:16 ; 4-byte Folded Spill
	s_mov_b32 exec_lo, s1
	v_writelane_b32 v42, s0, 22
	s_add_i32 s32, s32, 32
	s_clause 0x3
	scratch_store_b32 off, v40, s33 offset:12
	; meta instruction
	scratch_store_b32 off, v41, s33 offset:8
	; meta instruction
	;; [unrolled: 2-line block ×3, first 2 shown]
	scratch_store_b32 off, v191, s33
	v_writelane_b32 v42, s34, 0
	v_writelane_b32 v42, s35, 1
	;; [unrolled: 1-line block ×22, first 2 shown]
	s_cbranch_execnz .LBB7_7
; %bb.1:
	ds_load_b32 v0, v0
	v_and_b32_e32 v40, 0x3ff, v31
	s_mov_b32 s0, exec_lo
	s_waitcnt lgkmcnt(0)
	s_delay_alu instid0(VALU_DEP_1)
	v_cmpx_lt_i32_e64 v40, v0
	s_cbranch_execz .LBB7_9
; %bb.2:
	s_load_b32 s1, s[8:9], 0x0
	v_mov_b32_e32 v1, 0
	s_waitcnt lgkmcnt(0)
	s_cmp_lt_u32 s12, s1
	s_cselect_b32 s1, 12, 18
	s_delay_alu instid0(SALU_CYCLE_1)
	s_add_u32 s2, s8, s1
	s_addc_u32 s3, s9, 0
	s_mov_b32 s1, 0
	global_load_u16 v1, v1, s[2:3]
	s_cbranch_execnz .LBB7_24
; %bb.3:
	ds_load_b32 v2, v0
	v_mov_b32_e32 v3, v40
	s_mov_b32 s2, 0
                                        ; implicit-def: $vgpr4
	s_waitcnt vmcnt(0) lgkmcnt(0)
	v_mul_lo_u32 v2, v2, v1
	s_branch .LBB7_5
	.p2align	6
.LBB7_4:                                ;   in Loop: Header=BB7_5 Depth=1
	s_or_b32 exec_lo, exec_lo, s3
	v_add_nc_u32_e32 v3, v3, v1
	v_add_nc_u32_e32 v4, v4, v2
	s_delay_alu instid0(VALU_DEP_2) | instskip(SKIP_1) | instid1(SALU_CYCLE_1)
	v_cmp_ge_i32_e32 vcc_lo, v3, v0
	s_or_b32 s1, vcc_lo, s1
	s_and_not1_b32 exec_lo, exec_lo, s1
	s_cbranch_execz .LBB7_9
.LBB7_5:                                ; =>This Inner Loop Header: Depth=1
	ds_load_b32 v5, v4
	s_mov_b32 s3, exec_lo
	s_waitcnt lgkmcnt(0)
	v_and_b32_e32 v5, 0x1000000, v5
	s_delay_alu instid0(VALU_DEP_1)
	v_cmpx_ne_u32_e32 0, v5
	s_cbranch_execz .LBB7_4
; %bb.6:                                ;   in Loop: Header=BB7_5 Depth=1
	ds_load_b64 v[5:6], v4 offset:104
	s_waitcnt lgkmcnt(0)
	flat_load_u8 v5, v[5:6]
	s_waitcnt vmcnt(0) lgkmcnt(0)
	v_dual_mov_b32 v6, s2 :: v_dual_and_b32 v5, 0xffff, v5
	ds_store_b64 v4, v[5:6] offset:104
	s_branch .LBB7_4
.LBB7_7:
	s_trap 2
	s_sendmsg_rtn_b32 s0, sendmsg(MSG_RTN_GET_DOORBELL)
	s_mov_b32 ttmp2, m0
	s_waitcnt lgkmcnt(0)
	s_and_b32 s0, s0, 0x3ff
	s_delay_alu instid0(SALU_CYCLE_1) | instskip(NEXT) | instid1(SALU_CYCLE_1)
	s_bitset1_b32 s0, 10
	s_mov_b32 m0, s0
	s_sendmsg sendmsg(MSG_INTERRUPT)
	s_mov_b32 m0, ttmp2
.LBB7_8:                                ; =>This Inner Loop Header: Depth=1
	s_sethalt 5
	s_branch .LBB7_8
.LBB7_9:
	s_or_b32 exec_lo, exec_lo, s0
	s_waitcnt lgkmcnt(0)
	s_waitcnt_vscnt null, 0x0
	s_barrier
	buffer_gl0_inv
	s_cbranch_execnz .LBB7_22
; %bb.10:
	ds_load_b32 v0, v0
	s_waitcnt lgkmcnt(0)
	v_cmp_gt_i32_e32 vcc_lo, 1, v0
	s_cbranch_vccnz .LBB7_21
; %bb.11:
	s_mov_b32 s52, 0
	s_mov_b64 s[50:51], src_shared_base
.LBB7_12:                               ; =>This Inner Loop Header: Depth=1
	s_cbranch_execnz .LBB7_26
; %bb.13:                               ;   in Loop: Header=BB7_12 Depth=1
	ds_load_b32 v0, v0
	s_cmp_eq_u32 s52, 0
	s_cbranch_scc1 .LBB7_17
; %bb.14:                               ;   in Loop: Header=BB7_12 Depth=1
	s_cbranch_execnz .LBB7_30
; %bb.15:                               ;   in Loop: Header=BB7_12 Depth=1
	s_waitcnt lgkmcnt(0)
	ds_load_b32 v1, v0
	s_waitcnt lgkmcnt(0)
	v_xor_b32_e32 v1, v1, v0
	s_delay_alu instid0(VALU_DEP_1) | instskip(NEXT) | instid1(VALU_DEP_1)
	v_and_b32_e32 v1, 0xff0000, v1
	v_cmp_eq_u32_e32 vcc_lo, 0, v1
	s_cbranch_vccnz .LBB7_17
; %bb.16:                               ;   in Loop: Header=BB7_12 Depth=1
	s_waitcnt_vscnt null, 0x0
	s_barrier
	buffer_gl0_inv
	ds_load_b32 v0, v0
.LBB7_17:                               ;   in Loop: Header=BB7_12 Depth=1
	s_waitcnt lgkmcnt(0)
	v_lshrrev_b32_e32 v0, 11, v0
	s_mov_b32 s53, exec_lo
	s_delay_alu instid0(VALU_DEP_1) | instskip(NEXT) | instid1(VALU_DEP_1)
	v_and_b32_e32 v1, 0x1fe0, v0
	v_cmpx_lt_u32_e64 v40, v1
	s_cbranch_execz .LBB7_19
; %bb.18:                               ;   in Loop: Header=BB7_12 Depth=1
	v_dual_mov_b32 v41, v31 :: v_dual_mov_b32 v0, v40
	v_mov_b32_e32 v3, s51
	s_getpc_b64 s[0:1]
	s_add_u32 s0, s0, _ZN12_GLOBAL__N_17runRingI12rccl_bfloat813FuncPreMulSumIS1_E11ProtoSimpleILi2ELi2ELi0ELi4ELi0ELi0EELi0ELi0ELi4ELi0EEEviiP15ncclDevWorkColl@rel32@lo+4
	s_addc_u32 s1, s1, _ZN12_GLOBAL__N_17runRingI12rccl_bfloat813FuncPreMulSumIS1_E11ProtoSimpleILi2ELi2ELi0ELi4ELi0ELi0EELi0ELi0ELi4ELi0EEEviiP15ncclDevWorkColl@rel32@hi+12
	s_mov_b64 s[46:47], s[8:9]
	s_mov_b32 s50, s12
	s_swappc_b64 s[30:31], s[0:1]
	v_mov_b32_e32 v31, v41
	s_mov_b32 s12, s50
	s_mov_b64 s[8:9], s[46:47]
.LBB7_19:                               ;   in Loop: Header=BB7_12 Depth=1
	s_or_b32 exec_lo, exec_lo, s53
	s_cbranch_execnz .LBB7_28
; %bb.20:                               ;   in Loop: Header=BB7_12 Depth=1
	ds_load_b32 v0, v0
	s_add_i32 s52, s52, 1
	s_waitcnt lgkmcnt(0)
	v_cmp_lt_i32_e32 vcc_lo, s52, v0
	s_cbranch_vccnz .LBB7_12
.LBB7_21:
	s_clause 0x3
	scratch_load_b32 v191, off, s33
	scratch_load_b32 v190, off, s33 offset:4
	scratch_load_b32 v41, off, s33 offset:8
	;; [unrolled: 1-line block ×3, first 2 shown]
	v_readlane_b32 s30, v42, 20
	v_readlane_b32 s31, v42, 21
	;; [unrolled: 1-line block ×23, first 2 shown]
	s_or_saveexec_b32 s1, -1
	scratch_load_b32 v42, off, s33 offset:16 ; 4-byte Folded Reload
	s_mov_b32 exec_lo, s1
	s_addk_i32 s32, 0xffe0
	s_mov_b32 s33, s0
	s_waitcnt vmcnt(0)
	s_setpc_b64 s[30:31]
.LBB7_22:
	s_trap 2
	s_sendmsg_rtn_b32 s0, sendmsg(MSG_RTN_GET_DOORBELL)
	s_mov_b32 ttmp2, m0
	s_waitcnt lgkmcnt(0)
	s_and_b32 s0, s0, 0x3ff
	s_delay_alu instid0(SALU_CYCLE_1) | instskip(NEXT) | instid1(SALU_CYCLE_1)
	s_bitset1_b32 s0, 10
	s_mov_b32 m0, s0
	s_sendmsg sendmsg(MSG_INTERRUPT)
	s_mov_b32 m0, ttmp2
.LBB7_23:                               ; =>This Inner Loop Header: Depth=1
	s_sethalt 5
	s_branch .LBB7_23
.LBB7_24:
	s_trap 2
	s_sendmsg_rtn_b32 s0, sendmsg(MSG_RTN_GET_DOORBELL)
	s_mov_b32 ttmp2, m0
	s_waitcnt lgkmcnt(0)
	s_and_b32 s0, s0, 0x3ff
	s_delay_alu instid0(SALU_CYCLE_1) | instskip(NEXT) | instid1(SALU_CYCLE_1)
	s_bitset1_b32 s0, 10
	s_mov_b32 m0, s0
	s_sendmsg sendmsg(MSG_INTERRUPT)
	s_mov_b32 m0, ttmp2
.LBB7_25:                               ; =>This Inner Loop Header: Depth=1
	s_sethalt 5
	s_branch .LBB7_25
.LBB7_26:
	s_trap 2
	s_sendmsg_rtn_b32 s0, sendmsg(MSG_RTN_GET_DOORBELL)
	s_mov_b32 ttmp2, m0
	s_waitcnt lgkmcnt(0)
	s_and_b32 s0, s0, 0x3ff
	s_delay_alu instid0(SALU_CYCLE_1) | instskip(NEXT) | instid1(SALU_CYCLE_1)
	s_bitset1_b32 s0, 10
	s_mov_b32 m0, s0
	s_sendmsg sendmsg(MSG_INTERRUPT)
	s_mov_b32 m0, ttmp2
.LBB7_27:                               ; =>This Inner Loop Header: Depth=1
	s_sethalt 5
	s_branch .LBB7_27
.LBB7_28:
	s_trap 2
	s_sendmsg_rtn_b32 s0, sendmsg(MSG_RTN_GET_DOORBELL)
	s_mov_b32 ttmp2, m0
	s_waitcnt lgkmcnt(0)
	s_and_b32 s0, s0, 0x3ff
	s_delay_alu instid0(SALU_CYCLE_1) | instskip(NEXT) | instid1(SALU_CYCLE_1)
	s_bitset1_b32 s0, 10
	s_mov_b32 m0, s0
	s_sendmsg sendmsg(MSG_INTERRUPT)
	s_mov_b32 m0, ttmp2
.LBB7_29:                               ; =>This Inner Loop Header: Depth=1
	s_sethalt 5
	s_branch .LBB7_29
.LBB7_30:
	s_trap 2
	s_sendmsg_rtn_b32 s0, sendmsg(MSG_RTN_GET_DOORBELL)
	s_mov_b32 ttmp2, m0
	s_waitcnt lgkmcnt(0)
	s_and_b32 s0, s0, 0x3ff
	s_delay_alu instid0(SALU_CYCLE_1) | instskip(NEXT) | instid1(SALU_CYCLE_1)
	s_bitset1_b32 s0, 10
	s_mov_b32 m0, s0
	s_sendmsg sendmsg(MSG_INTERRUPT)
	s_mov_b32 m0, ttmp2
.LBB7_31:                               ; =>This Inner Loop Header: Depth=1
	s_sethalt 5
	s_branch .LBB7_31
.Lfunc_end7:
	.size	_Z56ncclDevFunc_AllReduce_RING_SIMPLE_PreMulSum_f8e5m2_0_0_4v, .Lfunc_end7-_Z56ncclDevFunc_AllReduce_RING_SIMPLE_PreMulSum_f8e5m2_0_0_4v
                                        ; -- End function
	.section	.AMDGPU.csdata,"",@progbits
; Function info:
; codeLenInByte = 1328
; NumSgprs: 56
; NumVgprs: 192
; ScratchSize: 768
; MemoryBound: 0
	.text
	.p2alignl 7, 3214868480
	.fill 96, 4, 3214868480
	.type	__const.__assert_fail.fmt,@object ; @__const.__assert_fail.fmt
	.section	.rodata.str1.16,"aMS",@progbits,1
	.p2align	4, 0x0
__const.__assert_fail.fmt:
	.asciz	"%s:%u: %s: Device-side assertion `%s' failed.\n"
	.size	__const.__assert_fail.fmt, 47

	.type	.str.1,@object                  ; @.str.1
	.section	.rodata.str1.1,"aMS",@progbits,1
.str.1:
	.asciz	"2*(nrecv+nsend) <= nthreads"
	.size	.str.1, 28

	.type	.str.2,@object                  ; @.str.2
.str.2:
	.asciz	"/root/src/amdgpu-assembly/repos/ROCm__rccl/hipify/src/device/prims_simple.h"
	.size	.str.2, 76

	.type	__PRETTY_FUNCTION__._ZN10PrimitivesI12rccl_bfloat813FuncPreMulSumIS0_E12FanSymmetricILi1EELi0E11ProtoSimpleILi2ELi2ELi0ELi1ELi0ELi0EELi0ELb0ELi0ELi0ELi0EEC2EiiPKiS9_PKvPvmhhhP15ncclDevWorkCollP14ncclDevWorkP2pii,@object ; @__PRETTY_FUNCTION__._ZN10PrimitivesI12rccl_bfloat813FuncPreMulSumIS0_E12FanSymmetricILi1EELi0E11ProtoSimpleILi2ELi2ELi0ELi1ELi0ELi0EELi0ELb0ELi0ELi0ELi0EEC2EiiPKiS9_PKvPvmhhhP15ncclDevWorkCollP14ncclDevWorkP2pii
__PRETTY_FUNCTION__._ZN10PrimitivesI12rccl_bfloat813FuncPreMulSumIS0_E12FanSymmetricILi1EELi0E11ProtoSimpleILi2ELi2ELi0ELi1ELi0ELi0EELi0ELb0ELi0ELi0ELi0EEC2EiiPKiS9_PKvPvmhhhP15ncclDevWorkCollP14ncclDevWorkP2pii:
	.asciz	"Primitives<rccl_bfloat8, FuncPreMulSum<rccl_bfloat8>, FanSymmetric<1>, 0, ProtoSimple<2, 2, 0, 1>, 0>::Primitives(int, int, const int *, const int *, const void *, void *, uint64_t, uint8_t, uint8_t, uint8_t, struct ncclDevWorkColl *, struct ncclDevWorkP2p *, int, int) [T = rccl_bfloat8, RedOp = FuncPreMulSum<rccl_bfloat8>, Fan = FanSymmetric<1>, Direct = 0, Proto = ProtoSimple<2, 2, 0, 1>, P2p = 0, isNetOffload = false, Metadata = 0, Pipeline = 0, useAcc = 0]"
	.size	__PRETTY_FUNCTION__._ZN10PrimitivesI12rccl_bfloat813FuncPreMulSumIS0_E12FanSymmetricILi1EELi0E11ProtoSimpleILi2ELi2ELi0ELi1ELi0ELi0EELi0ELb0ELi0ELi0ELi0EEC2EiiPKiS9_PKvPvmhhhP15ncclDevWorkCollP14ncclDevWorkP2pii, 465

	.type	__PRETTY_FUNCTION__._ZN10PrimitivesI12rccl_bfloat813FuncPreMulSumIS0_E12FanSymmetricILi1EELi0E11ProtoSimpleILi2ELi2ELi0ELi2ELi0ELi0EELi0ELb0ELi0ELi0ELi0EEC2EiiPKiS9_PKvPvmhhhP15ncclDevWorkCollP14ncclDevWorkP2pii,@object ; @__PRETTY_FUNCTION__._ZN10PrimitivesI12rccl_bfloat813FuncPreMulSumIS0_E12FanSymmetricILi1EELi0E11ProtoSimpleILi2ELi2ELi0ELi2ELi0ELi0EELi0ELb0ELi0ELi0ELi0EEC2EiiPKiS9_PKvPvmhhhP15ncclDevWorkCollP14ncclDevWorkP2pii
__PRETTY_FUNCTION__._ZN10PrimitivesI12rccl_bfloat813FuncPreMulSumIS0_E12FanSymmetricILi1EELi0E11ProtoSimpleILi2ELi2ELi0ELi2ELi0ELi0EELi0ELb0ELi0ELi0ELi0EEC2EiiPKiS9_PKvPvmhhhP15ncclDevWorkCollP14ncclDevWorkP2pii:
	.asciz	"Primitives<rccl_bfloat8, FuncPreMulSum<rccl_bfloat8>, FanSymmetric<1>, 0, ProtoSimple<2, 2, 0, 2>, 0>::Primitives(int, int, const int *, const int *, const void *, void *, uint64_t, uint8_t, uint8_t, uint8_t, struct ncclDevWorkColl *, struct ncclDevWorkP2p *, int, int) [T = rccl_bfloat8, RedOp = FuncPreMulSum<rccl_bfloat8>, Fan = FanSymmetric<1>, Direct = 0, Proto = ProtoSimple<2, 2, 0, 2>, P2p = 0, isNetOffload = false, Metadata = 0, Pipeline = 0, useAcc = 0]"
	.size	__PRETTY_FUNCTION__._ZN10PrimitivesI12rccl_bfloat813FuncPreMulSumIS0_E12FanSymmetricILi1EELi0E11ProtoSimpleILi2ELi2ELi0ELi2ELi0ELi0EELi0ELb0ELi0ELi0ELi0EEC2EiiPKiS9_PKvPvmhhhP15ncclDevWorkCollP14ncclDevWorkP2pii, 465

	.type	__PRETTY_FUNCTION__._ZN10PrimitivesI12rccl_bfloat813FuncPreMulSumIS0_E12FanSymmetricILi1EELi0E11ProtoSimpleILi2ELi2ELi0ELi4ELi0ELi0EELi0ELb0ELi0ELi0ELi0EEC2EiiPKiS9_PKvPvmhhhP15ncclDevWorkCollP14ncclDevWorkP2pii,@object ; @__PRETTY_FUNCTION__._ZN10PrimitivesI12rccl_bfloat813FuncPreMulSumIS0_E12FanSymmetricILi1EELi0E11ProtoSimpleILi2ELi2ELi0ELi4ELi0ELi0EELi0ELb0ELi0ELi0ELi0EEC2EiiPKiS9_PKvPvmhhhP15ncclDevWorkCollP14ncclDevWorkP2pii
__PRETTY_FUNCTION__._ZN10PrimitivesI12rccl_bfloat813FuncPreMulSumIS0_E12FanSymmetricILi1EELi0E11ProtoSimpleILi2ELi2ELi0ELi4ELi0ELi0EELi0ELb0ELi0ELi0ELi0EEC2EiiPKiS9_PKvPvmhhhP15ncclDevWorkCollP14ncclDevWorkP2pii:
	.asciz	"Primitives<rccl_bfloat8, FuncPreMulSum<rccl_bfloat8>, FanSymmetric<1>, 0, ProtoSimple<2, 2, 0, 4>, 0>::Primitives(int, int, const int *, const int *, const void *, void *, uint64_t, uint8_t, uint8_t, uint8_t, struct ncclDevWorkColl *, struct ncclDevWorkP2p *, int, int) [T = rccl_bfloat8, RedOp = FuncPreMulSum<rccl_bfloat8>, Fan = FanSymmetric<1>, Direct = 0, Proto = ProtoSimple<2, 2, 0, 4>, P2p = 0, isNetOffload = false, Metadata = 0, Pipeline = 0, useAcc = 0]"
	.size	__PRETTY_FUNCTION__._ZN10PrimitivesI12rccl_bfloat813FuncPreMulSumIS0_E12FanSymmetricILi1EELi0E11ProtoSimpleILi2ELi2ELi0ELi4ELi0ELi0EELi0ELb0ELi0ELi0ELi0EEC2EiiPKiS9_PKvPvmhhhP15ncclDevWorkCollP14ncclDevWorkP2pii, 465

	.type	__hip_cuid_cd8cf85c61d97dc6,@object ; @__hip_cuid_cd8cf85c61d97dc6
	.section	.bss,"aw",@nobits
	.globl	__hip_cuid_cd8cf85c61d97dc6
__hip_cuid_cd8cf85c61d97dc6:
	.byte	0                               ; 0x0
	.size	__hip_cuid_cd8cf85c61d97dc6, 1

	.ident	"AMD clang version 19.0.0git (https://github.com/RadeonOpenCompute/llvm-project roc-6.4.0 25133 c7fe45cf4b819c5991fe208aaa96edf142730f1d)"
	.section	".note.GNU-stack","",@progbits
	.addrsig
	.addrsig_sym _Z56ncclDevFunc_AllReduce_RING_SIMPLE_PreMulSum_f8e5m2_0_0_1v
	.addrsig_sym _Z56ncclDevFunc_AllReduce_RING_SIMPLE_PreMulSum_f8e5m2_0_0_2v
	.addrsig_sym _Z56ncclDevFunc_AllReduce_RING_SIMPLE_PreMulSum_f8e5m2_0_0_4v
	.addrsig_sym ncclShmem
	.addrsig_sym __hip_cuid_cd8cf85c61d97dc6
	.amdgpu_metadata
---
amdhsa.kernels:  []
amdhsa.target:   amdgcn-amd-amdhsa--gfx1100
amdhsa.version:
  - 1
  - 2
...

	.end_amdgpu_metadata
